;; amdgpu-corpus repo=ggml-org/llama.cpp kind=compiled arch=gfx90a opt=O3
	.text
	.amdgcn_target "amdgcn-amd-amdhsa--gfx90a"
	.amdhsa_code_object_version 6
	.section	.text._ZL18flash_attn_ext_f16ILi64ELi64ELi8ELi2ELb0ELb0EEvPKcS1_S1_S1_S1_PKiPfP15HIP_vector_typeIfLj2EEffffjfiS5_IjLj3EEiiiiiiiiiiiliiliiiiil,"axG",@progbits,_ZL18flash_attn_ext_f16ILi64ELi64ELi8ELi2ELb0ELb0EEvPKcS1_S1_S1_S1_PKiPfP15HIP_vector_typeIfLj2EEffffjfiS5_IjLj3EEiiiiiiiiiiiliiliiiiil,comdat
	.globl	_ZL18flash_attn_ext_f16ILi64ELi64ELi8ELi2ELb0ELb0EEvPKcS1_S1_S1_S1_PKiPfP15HIP_vector_typeIfLj2EEffffjfiS5_IjLj3EEiiiiiiiiiiiliiliiiiil ; -- Begin function _ZL18flash_attn_ext_f16ILi64ELi64ELi8ELi2ELb0ELb0EEvPKcS1_S1_S1_S1_PKiPfP15HIP_vector_typeIfLj2EEffffjfiS5_IjLj3EEiiiiiiiiiiiliiliiiiil
	.p2align	8
	.type	_ZL18flash_attn_ext_f16ILi64ELi64ELi8ELi2ELb0ELb0EEvPKcS1_S1_S1_S1_PKiPfP15HIP_vector_typeIfLj2EEffffjfiS5_IjLj3EEiiiiiiiiiiiliiliiiiil,@function
_ZL18flash_attn_ext_f16ILi64ELi64ELi8ELi2ELb0ELb0EEvPKcS1_S1_S1_S1_PKiPfP15HIP_vector_typeIfLj2EEffffjfiS5_IjLj3EEiiiiiiiiiiiliiliiiiil: ; @_ZL18flash_attn_ext_f16ILi64ELi64ELi8ELi2ELb0ELb0EEvPKcS1_S1_S1_S1_PKiPfP15HIP_vector_typeIfLj2EEffffjfiS5_IjLj3EEiiiiiiiiiiiliiliiiiil
; %bb.0:
	s_load_dwordx2 s[2:3], s[4:5], 0x80
	s_load_dwordx4 s[20:23], s[4:5], 0x64
	s_mov_b32 s34, s6
                                        ; implicit-def: $vgpr147 : SGPR spill to VGPR lane
	s_load_dword s29, s[4:5], 0xd0
	s_mov_b32 s0, 0
	s_waitcnt lgkmcnt(0)
	s_abs_i32 s1, s3
	v_cvt_f32_u32_e32 v1, s1
	s_sub_i32 s8, 0, s1
	s_abs_i32 s7, s21
	s_xor_b32 s6, s21, s3
	v_rcp_iflag_f32_e32 v1, v1
	s_ashr_i32 s6, s6, 31
	v_cvt_f32_ubyte0_e32 v3, 0
	v_mul_f32_e32 v1, 0x4f7ffffe, v1
	v_cvt_u32_f32_e32 v1, v1
	v_readfirstlane_b32 s9, v1
	s_mul_i32 s8, s8, s9
	s_mul_hi_u32 s8, s9, s8
	s_add_i32 s9, s9, s8
	s_mul_hi_u32 s8, s7, s9
	s_mul_i32 s9, s8, s1
	s_sub_i32 s7, s7, s9
	s_add_i32 s10, s8, 1
	s_sub_i32 s9, s7, s1
	s_cmp_ge_u32 s7, s1
	s_cselect_b32 s8, s10, s8
	s_cselect_b32 s7, s9, s7
	s_add_i32 s9, s8, 1
	s_cmp_ge_u32 s7, s1
	s_cselect_b32 s1, s9, s8
	s_add_i32 s2, s2, 63
	s_xor_b32 s1, s1, s6
	s_ashr_i32 s7, s2, 31
	s_sub_i32 s33, s1, s6
	s_lshr_b32 s1, s7, 26
	s_add_i32 s2, s2, s1
	s_add_i32 s1, s20, 7
	s_lshr_b32 s6, s1, 3
	s_add_i32 s1, s33, 1
	s_ashr_i32 s82, s2, 6
	s_lshr_b32 s2, s1, 31
	s_add_i32 s1, s1, s2
	s_ashr_i32 s1, s1, 1
	v_writelane_b32 v147, s6, 0
	s_mul_i32 s2, s6, s82
	v_writelane_b32 v147, s2, 1
	s_mul_i32 s1, s2, s1
	;; [unrolled: 2-line block ×3, first 2 shown]
	s_mul_i32 s6, s1, s22
	s_ashr_i32 s7, s6, 31
	v_cvt_f32_u32_e32 v1, s29
	v_writelane_b32 v147, s1, 3
	s_mul_i32 s1, s7, s34
	s_mul_hi_u32 s2, s6, s34
	s_add_i32 s1, s2, s1
	s_mul_i32 s8, s6, s34
	s_cmp_lg_u64 s[0:1], 0
	s_cbranch_scc0 .LBB0_2
; %bb.1:
	v_madmk_f32 v2, v3, 0x4f800000, v1
	v_rcp_f32_e32 v2, v2
	s_sub_u32 s0, 0, s29
	s_subb_u32 s9, 0, 0
	s_mov_b64 s[2:3], 0
	v_mul_f32_e32 v2, 0x5f7ffffc, v2
	v_mul_f32_e32 v4, 0x2f800000, v2
	v_trunc_f32_e32 v4, v4
	v_madmk_f32 v2, v4, 0xcf800000, v2
	v_cvt_u32_f32_e32 v4, v4
	v_cvt_u32_f32_e32 v2, v2
	v_readfirstlane_b32 s10, v4
	v_readfirstlane_b32 s11, v2
	s_mul_hi_u32 s13, s0, s11
	s_mul_i32 s14, s0, s10
	s_mul_i32 s12, s9, s11
	s_add_i32 s13, s13, s14
	s_add_i32 s13, s13, s12
	s_mul_i32 s15, s0, s11
	s_mul_hi_u32 s12, s11, s13
	s_mul_i32 s14, s11, s13
	s_mul_hi_u32 s11, s11, s15
	s_add_u32 s11, s11, s14
	s_addc_u32 s12, 0, s12
	s_mul_hi_u32 s16, s10, s15
	s_mul_i32 s15, s10, s15
	s_add_u32 s11, s11, s15
	s_mul_hi_u32 s14, s10, s13
	s_addc_u32 s11, s12, s16
	s_addc_u32 s12, s14, 0
	s_mul_i32 s13, s10, s13
	s_add_u32 s11, s11, s13
	s_addc_u32 s12, 0, s12
	v_add_co_u32_e32 v2, vcc, s11, v2
	s_cmp_lg_u64 vcc, 0
	s_addc_u32 s10, s10, s12
	v_readfirstlane_b32 s12, v2
	s_mul_i32 s11, s0, s10
	s_mul_hi_u32 s13, s0, s12
	s_add_i32 s11, s13, s11
	s_mul_i32 s9, s9, s12
	s_add_i32 s11, s11, s9
	s_mul_i32 s0, s0, s12
	s_mul_hi_u32 s13, s10, s0
	s_mul_i32 s14, s10, s0
	s_mul_i32 s16, s12, s11
	s_mul_hi_u32 s0, s12, s0
	s_mul_hi_u32 s15, s12, s11
	s_add_u32 s0, s0, s16
	s_addc_u32 s12, 0, s15
	s_add_u32 s0, s0, s14
	s_mul_hi_u32 s9, s10, s11
	s_addc_u32 s0, s12, s13
	s_addc_u32 s9, s9, 0
	s_mul_i32 s11, s10, s11
	s_add_u32 s0, s0, s11
	s_addc_u32 s9, 0, s9
	v_add_co_u32_e32 v2, vcc, s0, v2
	s_cmp_lg_u64 vcc, 0
	s_addc_u32 s9, s10, s9
	s_ashr_i32 s10, s1, 31
	s_add_u32 s0, s8, s10
	s_mov_b32 s11, s10
	s_addc_u32 s1, s1, s10
	s_xor_b64 s[0:1], s[0:1], s[10:11]
	v_readfirstlane_b32 s14, v2
	s_mul_i32 s13, s0, s9
	s_mul_hi_u32 s15, s0, s14
	s_mul_hi_u32 s12, s0, s9
	s_add_u32 s13, s15, s13
	s_addc_u32 s12, 0, s12
	s_mul_hi_u32 s16, s1, s14
	s_mul_i32 s14, s1, s14
	s_add_u32 s13, s13, s14
	s_mul_hi_u32 s15, s1, s9
	s_addc_u32 s12, s12, s16
	s_addc_u32 s13, s15, 0
	s_mul_i32 s9, s1, s9
	s_add_u32 s9, s12, s9
	s_addc_u32 s12, 0, s13
	s_add_u32 s13, s9, 1
	s_addc_u32 s14, s12, 0
	s_add_u32 s15, s9, 2
	s_mul_i32 s17, s29, s12
	s_mul_hi_u32 s18, s29, s9
	s_addc_u32 s16, s12, 0
	s_add_i32 s18, s18, s17
	s_mul_i32 s17, s29, s9
	v_mov_b32_e32 v2, s17
	v_sub_co_u32_e32 v2, vcc, s0, v2
	s_cmp_lg_u64 vcc, 0
	s_subb_u32 s0, s1, s18
	v_subrev_co_u32_e32 v4, vcc, s29, v2
	s_cmp_lg_u64 vcc, 0
	s_subb_u32 s1, s0, 0
	v_readfirstlane_b32 s17, v4
	s_cmp_ge_u32 s17, s29
	s_cselect_b32 s17, -1, 0
	s_cmp_eq_u32 s1, 0
	s_cselect_b32 s1, s17, -1
	s_cmp_lg_u32 s1, 0
	s_cselect_b32 s1, s16, s14
	v_readfirstlane_b32 s14, v2
	s_cselect_b32 s13, s15, s13
	s_cmp_ge_u32 s14, s29
	s_cselect_b32 s14, -1, 0
	s_cmp_eq_u32 s0, 0
	s_cselect_b32 s0, s14, -1
	s_cmp_lg_u32 s0, 0
	s_cselect_b32 s1, s1, s12
	s_cselect_b32 s0, s13, s9
	s_xor_b64 s[0:1], s[0:1], s[10:11]
	s_sub_u32 s58, s0, s10
	s_branch .LBB0_3
.LBB0_2:
	s_mov_b64 s[2:3], -1
                                        ; implicit-def: $sgpr58_sgpr59
.LBB0_3:
	s_load_dwordx2 s[0:1], s[4:5], 0x74
	v_cvt_f32_u32_e32 v2, s29
	s_andn2_b64 vcc, exec, s[2:3]
	s_waitcnt lgkmcnt(0)
	v_writelane_b32 v147, s0, 4
	v_writelane_b32 v147, s1, 5
	s_cbranch_vccnz .LBB0_5
; %bb.4:
	v_rcp_iflag_f32_e32 v4, v2
	s_sub_i32 s0, 0, s29
	v_mul_f32_e32 v4, 0x4f7ffffe, v4
	v_cvt_u32_f32_e32 v4, v4
	v_readfirstlane_b32 s1, v4
	s_mul_i32 s0, s0, s1
	s_mul_hi_u32 s0, s1, s0
	s_add_i32 s1, s1, s0
	s_mul_hi_u32 s0, s8, s1
	s_mul_i32 s2, s0, s29
	s_sub_i32 s2, s8, s2
	s_add_i32 s1, s0, 1
	s_sub_i32 s3, s2, s29
	s_cmp_ge_u32 s2, s29
	s_cselect_b32 s0, s1, s0
	s_cselect_b32 s2, s3, s2
	s_add_i32 s1, s0, 1
	s_cmp_ge_u32 s2, s29
	s_cselect_b32 s58, s1, s0
.LBB0_5:
	s_add_i32 s0, s34, 1
	s_mul_i32 s1, s7, s0
	s_mul_hi_u32 s2, s6, s0
	s_add_i32 s3, s2, s1
	s_mov_b32 s2, 0
	s_cmp_lg_u64 s[2:3], 0
	s_mul_i32 s2, s6, s0
	s_cbranch_scc0 .LBB0_154
; %bb.6:
	v_madmk_f32 v1, v3, 0x4f800000, v1
	v_rcp_f32_e32 v1, v1
	s_sub_u32 s6, 0, s29
	s_subb_u32 s7, 0, 0
	v_mul_f32_e32 v1, 0x5f7ffffc, v1
	v_mul_f32_e32 v3, 0x2f800000, v1
	v_trunc_f32_e32 v3, v3
	v_madmk_f32 v1, v3, 0xcf800000, v1
	v_cvt_u32_f32_e32 v3, v3
	v_cvt_u32_f32_e32 v1, v1
	v_readfirstlane_b32 s8, v3
	v_readfirstlane_b32 s9, v1
	s_mul_hi_u32 s11, s6, s9
	s_mul_i32 s12, s6, s8
	s_mul_i32 s10, s7, s9
	s_add_i32 s11, s11, s12
	s_add_i32 s11, s11, s10
	s_mul_i32 s13, s6, s9
	s_mul_hi_u32 s10, s9, s11
	s_mul_i32 s12, s9, s11
	s_mul_hi_u32 s9, s9, s13
	s_add_u32 s9, s9, s12
	s_addc_u32 s10, 0, s10
	s_mul_hi_u32 s14, s8, s13
	s_mul_i32 s13, s8, s13
	s_add_u32 s9, s9, s13
	s_mul_hi_u32 s12, s8, s11
	s_addc_u32 s9, s10, s14
	s_addc_u32 s10, s12, 0
	s_mul_i32 s11, s8, s11
	s_add_u32 s9, s9, s11
	s_addc_u32 s10, 0, s10
	v_add_co_u32_e32 v1, vcc, s9, v1
	s_cmp_lg_u64 vcc, 0
	s_addc_u32 s8, s8, s10
	v_readfirstlane_b32 s10, v1
	s_mul_i32 s9, s6, s8
	s_mul_hi_u32 s11, s6, s10
	s_add_i32 s9, s11, s9
	s_mul_i32 s7, s7, s10
	s_add_i32 s9, s9, s7
	s_mul_i32 s6, s6, s10
	s_mul_hi_u32 s11, s8, s6
	s_mul_i32 s12, s8, s6
	s_mul_i32 s14, s10, s9
	s_mul_hi_u32 s6, s10, s6
	s_mul_hi_u32 s13, s10, s9
	s_add_u32 s6, s6, s14
	s_addc_u32 s10, 0, s13
	s_add_u32 s6, s6, s12
	s_mul_hi_u32 s7, s8, s9
	s_addc_u32 s6, s10, s11
	s_addc_u32 s7, s7, 0
	s_mul_i32 s9, s8, s9
	s_add_u32 s6, s6, s9
	s_addc_u32 s7, 0, s7
	v_add_co_u32_e32 v1, vcc, s6, v1
	s_cmp_lg_u64 vcc, 0
	s_addc_u32 s10, s8, s7
	s_ashr_i32 s6, s3, 31
	s_add_u32 s8, s2, s6
	s_mov_b32 s7, s6
	s_addc_u32 s9, s3, s6
	s_xor_b64 s[8:9], s[8:9], s[6:7]
	v_readfirstlane_b32 s12, v1
	s_mul_i32 s11, s8, s10
	s_mul_hi_u32 s13, s8, s12
	s_mul_hi_u32 s3, s8, s10
	s_add_u32 s11, s13, s11
	s_addc_u32 s3, 0, s3
	s_mul_hi_u32 s14, s9, s12
	s_mul_i32 s12, s9, s12
	s_add_u32 s11, s11, s12
	s_mul_hi_u32 s13, s9, s10
	s_addc_u32 s3, s3, s14
	s_addc_u32 s11, s13, 0
	s_mul_i32 s10, s9, s10
	s_add_u32 s3, s3, s10
	s_addc_u32 s10, 0, s11
	s_add_u32 s11, s3, 1
	s_addc_u32 s12, s10, 0
	s_add_u32 s13, s3, 2
	s_mul_i32 s15, s29, s10
	s_mul_hi_u32 s16, s29, s3
	s_addc_u32 s14, s10, 0
	s_add_i32 s16, s16, s15
	s_mul_i32 s15, s29, s3
	v_mov_b32_e32 v1, s15
	v_sub_co_u32_e32 v1, vcc, s8, v1
	s_cmp_lg_u64 vcc, 0
	s_subb_u32 s8, s9, s16
	v_subrev_co_u32_e32 v3, vcc, s29, v1
	s_cmp_lg_u64 vcc, 0
	s_subb_u32 s9, s8, 0
	v_readfirstlane_b32 s15, v3
	s_cmp_ge_u32 s15, s29
	s_cselect_b32 s15, -1, 0
	s_cmp_eq_u32 s9, 0
	s_cselect_b32 s9, s15, -1
	s_cmp_lg_u32 s9, 0
	s_cselect_b32 s9, s14, s12
	v_readfirstlane_b32 s12, v1
	s_cselect_b32 s11, s13, s11
	s_cmp_ge_u32 s12, s29
	s_cselect_b32 s12, -1, 0
	s_cmp_eq_u32 s8, 0
	s_cselect_b32 s8, s12, -1
	s_cmp_lg_u32 s8, 0
	s_cselect_b32 s9, s9, s10
	s_cselect_b32 s8, s11, s3
	s_xor_b64 s[8:9], s[8:9], s[6:7]
	s_sub_u32 s62, s8, s6
	s_load_dwordx2 s[30:31], s[4:5], 0x5c
	s_cbranch_execnz .LBB0_8
.LBB0_7:
	v_rcp_iflag_f32_e32 v1, v2
	s_sub_i32 s0, 0, s29
	v_mul_f32_e32 v1, 0x4f7ffffe, v1
	v_cvt_u32_f32_e32 v1, v1
	v_readfirstlane_b32 s1, v1
	s_mul_i32 s0, s0, s1
	s_mul_hi_u32 s0, s1, s0
	s_add_i32 s1, s1, s0
	s_mul_hi_u32 s0, s2, s1
	s_mul_i32 s3, s0, s29
	s_sub_i32 s2, s2, s3
	s_add_i32 s1, s0, 1
	s_sub_i32 s3, s2, s29
	s_cmp_ge_u32 s2, s29
	s_cselect_b32 s0, s1, s0
	s_cselect_b32 s2, s3, s2
	s_add_i32 s1, s0, 1
	s_cmp_ge_u32 s2, s29
	s_cselect_b32 s62, s1, s0
.LBB0_8:
	s_abs_i32 s83, s82
	v_cvt_f32_u32_e32 v1, s83
	v_readlane_b32 s0, v147, 4
	s_load_dwordx16 s[36:51], s[4:5], 0x0
	s_load_dword s6, s[4:5], 0x40
	s_load_dwordx2 s[2:3], s[4:5], 0x8c
	s_load_dwordx4 s[24:27], s[4:5], 0x98
	s_load_dwordx2 s[52:53], s[4:5], 0xa8
	s_load_dwordx2 s[14:15], s[4:5], 0xb8
	;; [unrolled: 1-line block ×3, first 2 shown]
	v_readlane_b32 s1, v147, 5
	v_rcp_iflag_f32_e32 v1, v1
	s_waitcnt lgkmcnt(0)
	s_mov_b32 s1, s3
	s_ashr_i32 s22, s2, 2
	s_sub_i32 s2, 0, s83
	v_mul_f32_e32 v1, 0x4f7ffffe, v1
	v_cvt_u32_f32_e32 v1, v1
	s_ashr_i32 s13, s0, 3
	v_writelane_b32 v147, s0, 6
	v_writelane_b32 v147, s1, 7
	v_readfirstlane_b32 s56, v1
	s_mul_i32 s2, s2, s56
	s_ashr_i32 s1, s82, 31
	s_mul_hi_u32 s2, s56, s2
	v_writelane_b32 v147, s1, 8
	s_abs_i32 s1, s58
	s_add_i32 s56, s56, s2
	s_mul_hi_u32 s2, s1, s56
	s_mul_i32 s2, s2, s83
	s_sub_i32 s1, s1, s2
	s_ashr_i32 s59, s23, 3
	s_ashr_i32 s28, s15, 1
	;; [unrolled: 1-line block ×4, first 2 shown]
	s_sub_i32 s2, s1, s83
	s_cmp_ge_u32 s1, s83
	s_cselect_b32 s1, s2, s1
	s_sub_i32 s2, s1, s83
	s_cmp_ge_u32 s1, s83
	s_cselect_b32 s1, s2, s1
	s_xor_b32 s1, s1, s0
	s_sub_i32 s78, s1, s0
	s_sub_i32 s0, s62, s58
	s_add_i32 s2, s0, s78
	s_min_i32 s63, s82, s2
	s_cmp_gt_i32 s62, s58
	s_cselect_b64 s[8:9], -1, 0
	s_cmp_le_i32 s62, s58
	v_cvt_f16_f32_e32 v1, s6
	s_cselect_b64 s[0:1], -1, 0
	s_cmp_gt_i32 s82, s2
	s_cselect_b64 s[2:3], -1, 0
	s_or_b64 s[0:1], s[2:3], s[0:1]
	v_bfe_u32 v27, v0, 10, 10
	s_mov_b32 s65, 0
	s_and_b64 vcc, exec, s[0:1]
	v_pack_b32_f16 v41, v1, v1
	v_lshlrev_b32_e32 v43, 1, v27
	v_lshlrev_b32_e32 v29, 2, v27
	v_and_b32_e32 v39, 3, v27
	s_cbranch_vccz .LBB0_11
; %bb.9:
	s_andn2_b64 vcc, exec, s[8:9]
	s_cbranch_vccz .LBB0_142
.LBB0_10:
	s_endpgm
.LBB0_11:
	s_cmp_eq_u64 s[44:45], 0
	v_writelane_b32 v147, s29, 9
	s_cselect_b64 s[0:1], -1, 0
	v_writelane_b32 v147, s0, 10
	s_cmp_lg_u64 s[46:47], 0
	v_writelane_b32 v147, s1, 11
	s_cselect_b64 s[0:1], -1, 0
	v_and_b32_e32 v1, 0x3ff, v0
	v_writelane_b32 v147, s0, 12
	v_lshrrev_b32_e32 v3, 3, v1
	v_writelane_b32 v147, s1, 13
	v_and_b32_e32 v6, 0x3f0, v29
	s_movk_i32 s0, 0x90
	v_and_b32_e32 v13, 15, v1
	v_and_b32_e32 v17, 30, v3
	v_mad_u32_u24 v2, v6, s0, 0
	v_mul_u32_u24_e32 v14, 0x90, v13
	v_lshlrev_b32_e32 v15, 2, v17
	v_add3_u32 v45, v2, v14, v15
	v_lshlrev_b32_e32 v2, 1, v1
	v_and_b32_e32 v12, 62, v2
	v_lshlrev_b32_e32 v2, 2, v1
	v_lshlrev_b32_e32 v19, 4, v27
	v_lshrrev_b32_e32 v21, 2, v1
	v_and_or_b32 v6, v1, 14, v6
	v_lshl_add_u32 v7, v27, 3, v3
	v_and_b32_e32 v16, 28, v2
	v_and_b32_e32 v20, 48, v19
	;; [unrolled: 1-line block ×3, first 2 shown]
	v_lshrrev_b32_e32 v6, 1, v6
	v_mul_u32_u24_e32 v18, 0x90, v7
	v_mul_u32_u24_e32 v23, 0x90, v6
	v_add_u16_e32 v6, v20, v22
	v_lshlrev_b32_e32 v28, 2, v16
	v_lshrrev_b16_e32 v24, 1, v6
	v_add3_u32 v47, 0, v18, v28
	v_mad_u32_u24 v18, v20, s0, 0
	v_mul_u32_u24_e32 v25, 0x48, v22
	v_or_b32_e32 v21, 3, v21
	v_add3_u32 v48, v18, v14, v15
	v_lshlrev_b32_e32 v14, 2, v24
	v_or_b32_e32 v25, v25, v13
	v_mul_u32_u24_e32 v22, 0x90, v22
	v_mul_u32_u24_e32 v21, 0x90, v21
	v_add3_u32 v49, 0, v23, v14
	v_lshlrev_b32_e32 v14, 1, v13
	s_lshl_b32 s64, s34, 4
	v_lshrrev_b32_e32 v11, 5, v1
	s_ashr_i32 s29, s28, 31
	s_ashr_i32 s23, s22, 31
	;; [unrolled: 1-line block ×3, first 2 shown]
	v_lshl_add_u32 v50, v25, 1, v18
	v_add3_u32 v51, v18, v22, v14
	v_add3_u32 v52, v18, v21, v14
	s_lshl_b64 s[6:7], s[64:65], 3
	v_or_b32_e32 v14, v29, v1
	v_lshrrev_b32_e32 v18, 1, v27
	v_or_b32_e32 v13, v19, v13
	v_add_u32_e32 v44, v11, v43
	s_add_u32 s6, s50, s6
	v_lshlrev_b32_e32 v14, 3, v14
	v_add_u32_e32 v25, v11, v18
	v_add_u16_e32 v20, v11, v43
	v_mad_u32_u24 v13, v13, 36, v17
	v_add_u16_e32 v11, v11, v18
	v_add_co_u32_e32 v14, vcc, s6, v14
	v_lshl_add_u32 v58, v13, 2, 0
	v_lshrrev_b16_e32 v59, 1, v11
	v_lshlrev_b32_e32 v11, 2, v25
	v_and_b32_e32 v13, 15, v25
	s_movk_i32 s6, 0x3c0
	v_and_b32_e32 v10, 31, v1
	v_and_or_b32 v11, v11, s6, v13
	v_mul_u32_u24_e32 v60, 0x90, v11
	v_mad_u32_u24 v11, v11, 36, v10
	v_lshl_add_u32 v61, v11, 2, 0
	v_add_u32_e32 v11, 2, v25
	v_lshrrev_b32_e32 v62, 1, v11
	v_lshlrev_b32_e32 v13, 2, v11
	v_and_b32_e32 v11, 15, v11
	s_movk_i32 s6, 0x7c0
	v_and_or_b32 v11, v13, s6, v11
	v_mul_u32_u24_e32 v63, 0x90, v11
	v_mad_u32_u24 v11, v11, 36, v10
	v_lshl_add_u32 v64, v11, 2, 0
	v_add_u32_e32 v11, 4, v25
	v_lshrrev_b32_e32 v65, 1, v11
	v_lshlrev_b32_e32 v13, 2, v11
	v_and_b32_e32 v11, 15, v11
	v_add_u32_e32 v21, 8, v44
	v_and_or_b32 v11, v13, s6, v11
	v_add_u32_e32 v13, 6, v25
	v_writelane_b32 v147, s34, 14
	v_lshrrev_b32_e32 v55, 1, v21
	v_or_b32_e32 v21, v19, v1
	v_lshlrev_b32_e32 v17, 2, v13
	v_and_b32_e32 v18, 15, v13
	v_mul_u32_u24_e32 v56, 0x90, v21
	v_add_u32_e32 v21, v19, v1
	v_and_or_b32 v17, v17, s6, v18
	v_add_u32_e32 v18, 8, v25
	v_readlane_b32 s12, v147, 3
	v_readlane_b32 s11, v147, 2
	s_addc_u32 s7, s51, s7
	v_mul_u32_u24_e32 v57, 0x90, v21
	v_lshlrev_b32_e32 v19, 2, v18
	v_and_b32_e32 v21, 15, v18
	s_abs_i32 s84, s12
	s_abs_i32 s85, s11
	v_and_or_b32 v19, v19, s6, v21
	v_add_u32_e32 v21, 10, v25
	v_cvt_f32_u32_e32 v28, s84
	v_cvt_f32_u32_e32 v30, s85
	v_lshlrev_b32_e32 v22, 2, v21
	v_and_b32_e32 v23, 15, v21
	v_mad_u32_u24 v26, v44, s0, 0
	v_lshrrev_b16_e32 v53, 1, v20
	v_lshlrev_b32_e32 v20, 2, v10
	v_and_or_b32 v22, v22, s6, v23
	v_add_u32_e32 v23, 12, v25
	v_lshl_add_u32 v46, v12, 1, v26
	v_add_u32_e32 v54, v26, v20
	v_lshlrev_b32_e32 v24, 2, v23
	v_and_b32_e32 v26, 15, v23
	v_and_or_b32 v24, v24, s6, v26
	v_rcp_iflag_f32_e32 v26, v28
	v_rcp_iflag_f32_e32 v30, v30
	v_add_u32_e32 v28, 14, v25
	v_readlane_b32 s10, v147, 1
	v_mul_f32_e32 v26, 0x4f7ffffe, v26
	v_mul_f32_e32 v30, 0x4f7ffffe, v30
	v_cvt_u32_f32_e32 v26, v26
	v_cvt_u32_f32_e32 v30, v30
	v_lshlrev_b32_e32 v31, 2, v28
	v_and_b32_e32 v32, 15, v28
	s_abs_i32 s86, s10
	s_abs_i32 s87, s14
	v_mov_b32_e32 v15, s7
	v_and_or_b32 v31, v31, s6, v32
	v_readfirstlane_b32 s6, v26
	v_readfirstlane_b32 s7, v30
	v_cvt_f32_u32_e32 v26, s86
	v_cvt_f32_u32_e32 v30, s87
	v_mul_u32_u24_e32 v66, 0x90, v11
	v_mad_u32_u24 v11, v11, 36, v10
	v_rcp_iflag_f32_e32 v26, v26
	v_rcp_iflag_f32_e32 v30, v30
	v_lshl_add_u32 v67, v11, 2, 0
	s_mov_b32 s8, s14
	v_mul_f32_e32 v11, 0x4f7ffffe, v26
	v_mul_f32_e32 v26, 0x4f7ffffe, v30
	v_cvt_u32_f32_e32 v11, v11
	v_cvt_u32_f32_e32 v26, v26
	v_writelane_b32 v147, s8, 15
	v_writelane_b32 v147, s9, 16
	s_sub_i32 s9, 0, s87
	v_readfirstlane_b32 s8, v11
	v_mul_lo_u32 v11, s9, v26
	v_mul_hi_u32 v11, v26, v11
	s_ashr_i32 s9, s12, 31
	v_add_u32_e32 v69, v26, v11
	v_mad_u32_u24 v11, v17, 36, v10
	v_writelane_b32 v147, s9, 17
	s_sub_i32 s9, 0, s84
	v_lshl_add_u32 v71, v11, 2, 0
	v_mad_u32_u24 v11, v19, 36, v10
	s_mul_i32 s9, s9, s6
	v_lshl_add_u32 v75, v11, 2, 0
	v_mad_u32_u24 v11, v22, 36, v10
	s_mul_hi_u32 s9, s6, s9
	v_lshl_add_u32 v78, v11, 2, 0
	v_mad_u32_u24 v11, v24, 36, v10
	s_add_i32 s6, s6, s9
	v_mul_lo_u32 v8, s18, v7
	v_addc_co_u32_e32 v15, vcc, 0, v15, vcc
	v_lshl_add_u32 v81, v11, 2, 0
	v_mad_u32_u24 v11, v31, 36, v10
	v_writelane_b32 v147, s6, 18
	s_ashr_i32 s6, s11, 31
	v_ashrrev_i32_e32 v9, 31, v8
	v_lshl_add_u32 v84, v11, 2, 0
	v_writelane_b32 v147, s6, 19
	s_sub_i32 s6, 0, s85
	v_mov_b32_e32 v11, s43
	v_add_co_u32_e32 v85, vcc, s42, v20
	v_lshl_add_u32 v6, s18, 5, v8
	v_mul_u32_u24_e32 v70, 0x90, v17
	v_lshlrev_b32_e32 v73, 2, v16
	s_mul_i32 s6, s6, s7
	v_addc_co_u32_e32 v86, vcc, 0, v11, vcc
	v_lshlrev_b64 v[16:17], 2, v[8:9]
	v_mul_lo_u32 v4, s22, v7
	v_ashrrev_i32_e32 v7, 31, v6
	s_mul_hi_u32 s6, s7, s6
	v_mov_b32_e32 v8, s41
	v_add_co_u32_e32 v87, vcc, s40, v16
	v_lshrrev_b32_e32 v72, 1, v18
	v_mul_u32_u24_e32 v74, 0x90, v19
	s_add_i32 s6, s7, s6
	v_addc_co_u32_e32 v88, vcc, v8, v17, vcc
	v_lshlrev_b64 v[18:19], 2, v[6:7]
	v_ashrrev_i32_e32 v5, 31, v4
	v_writelane_b32 v147, s6, 20
	s_ashr_i32 s6, s10, 31
	v_mov_b32_e32 v6, s41
	v_add_co_u32_e32 v89, vcc, s40, v18
	v_lshl_add_u32 v2, s22, 5, v4
	v_lshrrev_b32_e32 v76, 1, v21
	v_writelane_b32 v147, s6, 21
	s_sub_i32 s6, 0, s86
	v_addc_co_u32_e32 v90, vcc, v6, v19, vcc
	v_lshlrev_b64 v[20:21], 2, v[4:5]
	v_ashrrev_i32_e32 v3, 31, v2
	s_mul_i32 s6, s6, s8
	v_mov_b32_e32 v4, s39
	v_add_co_u32_e32 v91, vcc, s38, v20
	v_mul_u32_u24_e32 v77, 0x90, v22
	v_lshrrev_b32_e32 v79, 1, v23
	s_mul_hi_u32 s6, s8, s6
	v_addc_co_u32_e32 v92, vcc, v4, v21, vcc
	v_lshlrev_b64 v[22:23], 2, v[2:3]
	s_add_i32 s93, s8, s6
	s_lshl_b64 s[6:7], s[28:29], 1
	v_mov_b32_e32 v2, s39
	v_add_co_u32_e32 v93, vcc, s38, v22
	v_writelane_b32 v147, s6, 22
	v_addc_co_u32_e32 v94, vcc, v2, v23, vcc
	v_bfe_u32 v95, v1, 5, 1
	v_and_b32_e32 v2, 7, v1
	v_mbcnt_lo_u32_b32 v101, -1, 0
	v_cmp_eq_u32_e64 s[0:1], 0, v39
	v_cmp_ne_u32_e64 s[2:3], 0, v39
	v_cmp_gt_u32_e64 s[4:5], 16, v1
	v_lshrrev_b32_e32 v68, 1, v13
	v_mul_u32_u24_e32 v80, 0x90, v24
	v_lshrrev_b32_e32 v82, 1, v28
	v_mul_u32_u24_e32 v83, 0x90, v31
	v_writelane_b32 v147, s7, 23
	s_lshl_b64 s[72:73], s[18:19], 8
	s_lshl_b64 s[74:75], s[22:23], 8
	s_mov_b32 s29, 0x3fb8aa3b
	s_mov_b32 s71, 0xc2ce8ed0
	;; [unrolled: 1-line block ×5, first 2 shown]
	s_movk_i32 s70, 0x80
	v_mov_b32_e32 v96, 0
	v_add_u32_e32 v97, 0x1200, v47
	v_add_u32_e32 v98, 32, v51
	;; [unrolled: 1-line block ×4, first 2 shown]
	v_and_b32_e32 v24, 1, v1
	v_and_b32_e32 v26, 1, v25
	v_lshlrev_b32_e32 v28, 4, v2
	v_mbcnt_hi_u32_b32 v102, -1, v101
	v_mov_b32_e32 v103, 0x7f800000
	v_mad_u64_u32 v[30:31], s[6:7], s13, v95, v[10:11]
	v_writelane_b32 v147, s13, 24
	s_branch .LBB0_14
.LBB0_12:                               ;   in Loop: Header=BB0_14 Depth=1
	s_or_b64 exec, exec, s[10:11]
	s_barrier
.LBB0_13:                               ;   in Loop: Header=BB0_14 Depth=1
	s_add_i32 s6, s58, s82
	s_abs_i32 s8, s6
	s_mul_hi_u32 s9, s8, s56
	s_mul_i32 s9, s9, s83
	s_sub_i32 s8, s8, s9
	s_ashr_i32 s7, s6, 31
	s_sub_i32 s9, s8, s83
	s_cmp_ge_u32 s8, s83
	s_cselect_b32 s8, s9, s8
	s_sub_i32 s9, s8, s83
	s_cmp_ge_u32 s8, s83
	s_cselect_b32 s8, s9, s8
	s_xor_b32 s8, s8, s7
	s_sub_i32 s7, s7, s8
	s_add_i32 s58, s6, s7
	s_sub_i32 s6, s62, s58
	s_min_i32 s63, s82, s6
	s_cmp_gt_i32 s62, s58
	s_cselect_b64 s[8:9], -1, 0
	s_cmp_le_i32 s82, s6
	s_cselect_b64 s[6:7], -1, 0
	s_and_b64 s[6:7], s[6:7], s[8:9]
	s_mov_b32 s78, 0
	s_and_b64 vcc, exec, s[6:7]
	s_cbranch_vccz .LBB0_141
.LBB0_14:                               ; =>This Loop Header: Depth=1
                                        ;     Child Loop BB0_94 Depth 2
                                        ;     Child Loop BB0_31 Depth 2
	s_ashr_i32 s6, s58, 31
	v_readlane_b32 s7, v147, 17
	s_xor_b32 s6, s6, s7
	s_abs_i32 s7, s58
	v_readlane_b32 s8, v147, 18
	s_mul_hi_u32 s8, s7, s8
	s_mul_i32 s9, s8, s84
	s_sub_i32 s7, s7, s9
	s_add_i32 s9, s8, 1
	s_sub_i32 s10, s7, s84
	s_cmp_ge_u32 s7, s84
	s_cselect_b32 s8, s9, s8
	s_cselect_b32 s7, s10, s7
	s_add_i32 s9, s8, 1
	s_cmp_ge_u32 s7, s84
	s_cselect_b32 s7, s9, s8
	s_xor_b32 s7, s7, s6
	s_sub_i32 s8, s7, s6
	v_readlane_b32 s6, v147, 3
	s_mul_i32 s6, s8, s6
	s_sub_i32 s6, s58, s6
	s_ashr_i32 s7, s6, 31
	v_readlane_b32 s9, v147, 19
	s_xor_b32 s7, s7, s9
	s_abs_i32 s9, s6
	v_readlane_b32 s10, v147, 20
	s_mul_hi_u32 s10, s9, s10
	s_mul_i32 s11, s10, s85
	s_sub_i32 s9, s9, s11
	s_add_i32 s11, s10, 1
	s_sub_i32 s12, s9, s85
	s_cmp_ge_u32 s9, s85
	s_cselect_b32 s10, s11, s10
	s_cselect_b32 s9, s12, s9
	s_add_i32 s11, s10, 1
	s_cmp_ge_u32 s9, s85
	s_cselect_b32 s9, s11, s10
	s_xor_b32 s9, s9, s7
	s_sub_i32 s9, s9, s7
	v_readlane_b32 s7, v147, 2
	s_mul_i32 s7, s9, s7
	s_sub_i32 s7, s6, s7
	s_ashr_i32 s6, s7, 31
	v_readlane_b32 s10, v147, 21
	s_xor_b32 s6, s6, s10
	s_abs_i32 s10, s7
	s_mul_hi_u32 s11, s10, s93
	s_mul_i32 s12, s11, s86
	s_sub_i32 s10, s10, s12
	s_add_i32 s12, s11, 1
	s_sub_i32 s13, s10, s86
	s_cmp_ge_u32 s10, s86
	s_cselect_b32 s11, s12, s11
	s_cselect_b32 s10, s13, s10
	s_add_i32 s12, s11, 1
	s_cmp_ge_u32 s10, s86
	s_cselect_b32 s10, s12, s11
	s_xor_b32 s10, s10, s6
	s_sub_i32 s6, s10, s6
	v_readlane_b32 s10, v147, 1
	s_mul_i32 s10, s6, s10
	s_sub_i32 s7, s7, s10
	s_ashr_i32 s10, s7, 31
	v_readlane_b32 s11, v147, 8
	s_abs_i32 s7, s7
	s_xor_b32 s10, s10, s11
	s_mul_hi_u32 s11, s7, s56
	s_mul_i32 s12, s11, s83
	s_sub_i32 s7, s7, s12
	s_add_i32 s12, s11, 1
	s_sub_i32 s13, s7, s83
	s_cmp_ge_u32 s7, s83
	s_cselect_b32 s11, s12, s11
	s_cselect_b32 s7, s13, s7
	s_add_i32 s12, s11, 1
	s_cmp_ge_u32 s7, s83
	s_cselect_b32 s7, s12, s11
	v_readlane_b32 s12, v147, 12
	s_xor_b32 s7, s7, s10
	v_readlane_b32 s13, v147, 13
	s_andn2_b64 vcc, exec, s[12:13]
	s_sub_i32 s90, s7, s10
	s_cbranch_vccnz .LBB0_16
; %bb.15:                               ;   in Loop: Header=BB0_14 Depth=1
	v_readlane_b32 s7, v147, 0
	s_mul_i32 s7, s8, s7
	s_add_i32 s10, s90, s7
	s_ashr_i32 s11, s10, 31
	s_lshl_b64 s[10:11], s[10:11], 2
	s_add_u32 s10, s46, s10
	s_addc_u32 s11, s47, s11
	global_load_dword v1, v96, s[10:11]
	s_waitcnt vmcnt(0)
	v_readfirstlane_b32 s7, v1
	s_ashr_i32 s10, s7, 31
	s_lshr_b32 s10, s10, 26
	s_add_i32 s7, s7, s10
	s_ashr_i32 s7, s7, 6
	s_min_i32 s63, s63, s7
.LBB0_16:                               ;   in Loop: Header=BB0_14 Depth=1
	v_readlane_b32 s12, v147, 4
	v_readlane_b32 s13, v147, 5
	s_mul_i32 s7, s9, s33
	s_lshl_b32 s61, s6, 1
	s_mul_i32 s6, s8, s13
	s_add_i32 s10, s61, s7
	s_ashr_i32 s7, s6, 31
	s_add_u32 s6, s36, s6
	s_mul_i32 s11, s10, s12
	s_addc_u32 s7, s37, s7
	s_ashr_i32 s12, s11, 31
	s_add_u32 s88, s6, s11
	s_addc_u32 s89, s7, s12
	s_ashr_i32 s11, s8, 31
	s_mul_i32 s6, s8, s25
	s_mul_hi_u32 s7, s8, s24
	s_add_i32 s6, s7, s6
	s_mul_i32 s7, s11, s24
	v_readlane_b32 s12, v147, 6
	s_add_i32 s34, s6, s7
	s_mul_i32 s35, s8, s24
	v_readlane_b32 s13, v147, 7
	s_add_u32 s6, s38, s35
	s_mul_i32 s66, s9, s13
	s_addc_u32 s7, s39, s34
	s_ashr_i32 s67, s66, 31
	s_add_u32 s80, s6, s66
	s_addc_u32 s81, s7, s67
	s_abs_i32 s6, s8
	v_mul_hi_u32 v1, s6, v69
	v_mul_lo_u32 v1, v1, s87
	v_sub_u32_e32 v1, s6, v1
	s_mul_i32 s6, s20, s21
	s_mul_i32 s6, s6, s8
	v_subrev_u32_e32 v2, s87, v1
	v_cmp_le_u32_e32 vcc, s87, v1
	s_add_i32 s6, s10, s6
	v_cndmask_b32_e32 v1, v1, v2, vcc
	s_lshl_b32 s64, s6, 5
	v_subrev_u32_e32 v2, s87, v1
	v_cmp_le_u32_e32 vcc, s87, v1
	s_lshl_b64 s[12:13], s[64:65], 3
	v_cndmask_b32_e32 v1, v1, v2, vcc
	s_add_u32 s7, s48, s12
	v_xor_b32_e32 v1, s11, v1
	s_addc_u32 s6, s49, s13
	s_mul_i32 s12, s8, s53
	s_mul_hi_u32 s13, s8, s52
	v_subrev_u32_e32 v1, s11, v1
	s_add_i32 s12, s13, s12
	s_mul_i32 s11, s11, s52
	s_add_i32 s64, s12, s11
	s_mul_i32 s68, s8, s52
	s_add_u32 s8, s40, s68
	s_mul_i32 s69, s9, s27
	s_addc_u32 s11, s41, s64
	s_ashr_i32 s26, s69, 31
	s_add_u32 s57, s8, s69
	s_addc_u32 s79, s11, s26
	s_ashr_i32 s11, s10, 31
	s_lshl_b64 s[8:9], s[10:11], 2
	v_ashrrev_i32_e32 v2, 31, v1
	v_mul_lo_u32 v3, v1, s55
	v_mul_hi_u32 v4, v1, s54
	s_add_u32 s10, s44, s8
	v_add_u32_e32 v3, v4, v3
	v_mul_lo_u32 v2, v2, s54
	v_mul_lo_u32 v32, v1, s54
	s_addc_u32 s11, s45, s9
	v_readlane_b32 s8, v147, 10
	v_add_u32_e32 v33, v3, v2
	v_mov_b32_e32 v1, s43
	v_add_co_u32_e32 v31, vcc, s42, v32
	v_readlane_b32 s9, v147, 11
	v_addc_co_u32_e32 v104, vcc, v1, v33, vcc
	s_and_b64 s[8:9], s[8:9], exec
	v_or_b32_e32 v11, s61, v95
	s_cselect_b32 s77, 0, s11
	s_cselect_b32 s76, 0, s10
	s_cmp_lg_u32 s78, 0
	v_cmp_gt_i32_e32 vcc, s33, v11
	s_cbranch_scc0 .LBB0_27
; %bb.17:                               ;   in Loop: Header=BB0_14 Depth=1
	s_lshl_b32 s91, s90, 3
	v_add_u32_e32 v1, s91, v53
	s_xor_b64 s[8:9], vcc, -1
	v_cmp_le_i32_e32 vcc, s20, v1
	s_or_b64 s[10:11], vcc, s[8:9]
	s_and_saveexec_b64 s[12:13], s[10:11]
	s_xor_b64 s[10:11], exec, s[12:13]
	s_cbranch_execz .LBB0_19
; %bb.18:                               ;   in Loop: Header=BB0_14 Depth=1
	ds_write_b32 v54, v96
                                        ; implicit-def: $vgpr1
.LBB0_19:                               ;   in Loop: Header=BB0_14 Depth=1
	s_andn2_saveexec_b64 s[10:11], s[10:11]
	s_cbranch_execz .LBB0_21
; %bb.20:                               ;   in Loop: Header=BB0_14 Depth=1
	v_mad_u64_u32 v[2:3], s[12:13], v1, s59, v[30:31]
	v_ashrrev_i32_e32 v3, 31, v2
	v_lshlrev_b64 v[2:3], 3, v[2:3]
	v_mov_b32_e32 v1, s89
	v_add_co_u32_e32 v2, vcc, s88, v2
	v_addc_co_u32_e32 v3, vcc, v1, v3, vcc
	global_load_dwordx2 v[2:3], v[2:3], off
	s_waitcnt vmcnt(0)
	v_cvt_f16_f32_e32 v1, v2
	v_cvt_f16_f32_e32 v2, v3
	v_pack_b32_f16 v1, v1, v2
	v_pk_mul_f16 v1, v41, v1
	ds_write_b32 v54, v1
.LBB0_21:                               ;   in Loop: Header=BB0_14 Depth=1
	s_or_b64 exec, exec, s[10:11]
	v_add_u32_e32 v1, s91, v55
	v_cmp_le_i32_e32 vcc, s20, v1
	s_or_b64 s[8:9], vcc, s[8:9]
	s_and_saveexec_b64 s[10:11], s[8:9]
	s_xor_b64 s[8:9], exec, s[10:11]
	s_cbranch_execz .LBB0_23
; %bb.22:                               ;   in Loop: Header=BB0_14 Depth=1
	ds_write_b32 v54, v96 offset:1152
                                        ; implicit-def: $vgpr1
.LBB0_23:                               ;   in Loop: Header=BB0_14 Depth=1
	s_andn2_saveexec_b64 s[8:9], s[8:9]
	s_cbranch_execz .LBB0_25
; %bb.24:                               ;   in Loop: Header=BB0_14 Depth=1
	v_mad_u64_u32 v[2:3], s[10:11], v1, s59, v[30:31]
	v_ashrrev_i32_e32 v3, 31, v2
	v_lshlrev_b64 v[2:3], 3, v[2:3]
	v_mov_b32_e32 v1, s89
	v_add_co_u32_e32 v2, vcc, s88, v2
	v_addc_co_u32_e32 v3, vcc, v1, v3, vcc
	global_load_dwordx2 v[2:3], v[2:3], off
	s_waitcnt vmcnt(0)
	v_cvt_f16_f32_e32 v1, v2
	v_cvt_f16_f32_e32 v2, v3
	v_pack_b32_f16 v1, v1, v2
	v_pk_mul_f16 v1, v41, v1
	ds_write_b32 v54, v1 offset:1152
.LBB0_25:                               ;   in Loop: Header=BB0_14 Depth=1
	s_or_b64 exec, exec, s[8:9]
	s_waitcnt lgkmcnt(0)
	s_barrier
	ds_read2_b64 v[6:9], v45 offset1:4
	ds_read2_b64 v[2:5], v45 offset0:8 offset1:12
	s_add_i32 s92, s63, -1
	s_cmp_gt_i32 s92, s78
	s_waitcnt lgkmcnt(0)
	s_barrier
	s_cbranch_scc1 .LBB0_28
; %bb.26:                               ;   in Loop: Header=BB0_14 Depth=1
	v_and_b32_e32 v1, 64, v102
	s_mov_b32 s10, 0
	v_add_u32_e32 v106, 64, v1
	v_xor_b32_e32 v107, 32, v102
	v_xor_b32_e32 v108, 16, v102
	s_mov_b64 s[8:9], 0
	s_mov_b32 s11, 0xfeffffff
	s_branch .LBB0_29
.LBB0_27:                               ;   in Loop: Header=BB0_14 Depth=1
	s_cbranch_execz .LBB0_13
	s_branch .LBB0_81
.LBB0_28:                               ;   in Loop: Header=BB0_14 Depth=1
	s_mov_b64 s[8:9], -1
                                        ; implicit-def: $sgpr10
                                        ; implicit-def: $sgpr11
                                        ; implicit-def: $vgpr106
                                        ; implicit-def: $vgpr107
                                        ; implicit-def: $vgpr108
.LBB0_29:                               ;   in Loop: Header=BB0_14 Depth=1
	v_add_u32_e32 v1, s91, v44
	v_mul_hi_u32 v13, s30, v1
	v_add_u32_e32 v13, v1, v13
	v_lshrrev_b32_e32 v13, s31, v13
	v_mul_lo_u32 v13, v13, s20
	v_sub_u32_e32 v1, v1, v13
	v_mad_i64_i32 v[34:35], s[12:13], v1, s28, 0
	s_andn2_b64 vcc, exec, s[8:9]
	v_mov_b32_e32 v1, s10
	v_mov_b32_e32 v114, s10
	;; [unrolled: 1-line block ×3, first 2 shown]
	v_lshlrev_b64 v[34:35], 1, v[34:35]
	v_mov_b32_e32 v25, s10
	v_mov_b32_e32 v37, s10
	;; [unrolled: 1-line block ×8, first 2 shown]
	s_cbranch_vccnz .LBB0_32
; %bb.30:                               ;   in Loop: Header=BB0_14 Depth=1
	v_add_co_u32_e32 v1, vcc, v31, v34
	v_addc_co_u32_e32 v13, vcc, v104, v35, vcc
	v_lshlrev_b32_e32 v25, 1, v12
	v_mbcnt_hi_u32_b32 v109, -1, v101
	v_add_co_u32_e32 v110, vcc, v1, v25
	v_and_b32_e32 v1, 64, v109
	v_addc_co_u32_e32 v111, vcc, 0, v13, vcc
	v_add_u32_e32 v106, 64, v1
	v_xor_b32_e32 v107, 32, v109
	v_cmp_lt_i32_e32 vcc, v107, v106
	v_xor_b32_e32 v108, 16, v109
	v_cndmask_b32_e32 v1, v109, v107, vcc
	v_cmp_lt_i32_e32 vcc, v108, v106
	v_lshlrev_b32_e32 v112, 2, v1
	v_cndmask_b32_e32 v1, v109, v108, vcc
	v_mov_b32_e32 v13, 0
	v_lshlrev_b32_e32 v113, 2, v1
	s_lshl_b32 s16, s78, 6
	v_mov_b32_e32 v114, 0
	v_mov_b32_e32 v36, 0xfeffffff
	;; [unrolled: 1-line block ×9, first 2 shown]
.LBB0_31:                               ;   Parent Loop BB0_14 Depth=1
                                        ; =>  This Inner Loop Header: Depth=2
	s_ashr_i32 s17, s16, 31
	s_mul_hi_i32 s9, s16, s22
	s_mul_i32 s8, s16, s22
	s_lshl_b64 s[12:13], s[16:17], 1
	s_lshl_b64 s[8:9], s[8:9], 2
	v_mov_b32_e32 v115, v114
	v_mov_b32_e32 v114, s13
	s_add_u32 s8, s80, s8
	v_add_co_u32_e32 v116, vcc, s12, v110
	v_addc_co_u32_e32 v117, vcc, v111, v114, vcc
	s_addc_u32 s9, s81, s9
	v_mov_b32_e32 v114, s9
	v_add_co_u32_e32 v118, vcc, s8, v20
	global_load_dword v124, v[116:117], off
	v_mov_b32_e32 v116, s9
	v_add_co_u32_e64 v117, s[8:9], s8, v22
	v_addc_co_u32_e64 v119, s[8:9], v116, v23, s[8:9]
	v_addc_co_u32_e32 v114, vcc, v114, v21, vcc
	v_add_co_u32_e64 v120, s[8:9], v117, v73
	v_add_co_u32_e32 v116, vcc, v118, v73
	v_addc_co_u32_e32 v117, vcc, 0, v114, vcc
	v_addc_co_u32_e64 v121, vcc, 0, v119, s[8:9]
	global_load_dwordx4 v[116:119], v[116:117], off
	s_nop 0
	global_load_dwordx4 v[120:123], v[120:121], off
	s_mul_hi_i32 s11, s16, s18
	s_mul_i32 s10, s16, s18
	s_lshl_b64 s[10:11], s[10:11], 2
	s_add_u32 s12, s57, s10
	s_addc_u32 s13, s79, s11
	v_mov_b32_e32 v125, s13
	v_add_co_u32_e64 v126, s[10:11], s12, v16
	v_mov_b32_e32 v127, s13
	v_add_co_u32_e64 v128, s[12:13], s12, v18
	v_addc_co_u32_e64 v114, vcc, v127, v19, s[12:13]
	v_add_co_u32_e32 v128, vcc, v128, v73
	v_mov_b32_e32 v134, v36
	v_add_u32_e32 v36, 0x2400, v49
	v_addc_co_u32_e32 v129, vcc, 0, v114, vcc
	s_add_i32 s78, s78, 1
	s_add_i32 s16, s16, 64
	s_cmp_lt_i32 s78, s92
	s_waitcnt vmcnt(2)
	ds_write_b32 v46, v124 offset:9216
	s_waitcnt vmcnt(1)
	ds_write_b128 v47, v[116:119]
	s_waitcnt vmcnt(0)
	ds_write_b128 v97, v[120:123]
	s_waitcnt lgkmcnt(0)
	s_barrier
	ds_read2_b64 v[116:119], v48 offset1:4
	s_waitcnt lgkmcnt(0)
	v_mfma_f32_16x16x16f16 v[120:123], v[116:117], v[6:7], 0
	v_addc_co_u32_e64 v116, s[8:9], v125, v17, s[10:11]
	v_add_co_u32_e64 v124, s[8:9], v126, v73
	v_addc_co_u32_e64 v125, s[8:9], 0, v116, s[8:9]
	v_mfma_f32_16x16x16f16 v[116:119], v[118:119], v[8:9], v[120:123]
	s_nop 6
	ds_read2_b64 v[120:123], v48 offset0:8 offset1:12
	s_waitcnt lgkmcnt(0)
	s_barrier
	v_mfma_f32_16x16x16f16 v[116:119], v[120:121], v[2:3], v[116:119]
	ds_read2_b32 v[120:121], v36 offset1:1
	global_load_dwordx4 v[124:127], v[124:125], off
	s_nop 0
	global_load_dwordx4 v[128:131], v[128:129], off
	s_waitcnt vmcnt(1)
	ds_write_b128 v47, v[124:127]
	s_waitcnt vmcnt(0)
	ds_write_b128 v97, v[128:131]
	v_mfma_f32_16x16x16f16 v[116:119], v[122:123], v[4:5], v[116:119]
	s_waitcnt lgkmcnt(2)
	v_cvt_f32_f16_e32 v132, v120
	v_cvt_f32_f16_sdwa v133, v120 dst_sel:DWORD dst_unused:UNUSED_PAD src0_sel:WORD_1
	v_cvt_f32_f16_e32 v120, v121
	v_cvt_f32_f16_sdwa v121, v121 dst_sel:DWORD dst_unused:UNUSED_PAD src0_sel:WORD_1
	s_waitcnt lgkmcnt(0)
	s_barrier
	s_nop 3
	v_pk_add_f32 v[116:117], v[116:117], v[132:133]
	v_pk_add_f32 v[118:119], v[118:119], v[120:121]
	v_add_f32_e32 v36, 0x40051340, v116
	v_add_f32_e32 v114, 0x40051340, v117
	;; [unrolled: 1-line block ×4, first 2 shown]
	v_max3_f32 v36, v134, v36, v114
	v_max3_f32 v36, v36, v120, v121
	ds_bpermute_b32 v114, v112, v36
	s_waitcnt lgkmcnt(0)
	v_max_f32_e32 v114, v114, v114
	v_max_f32_e32 v36, v36, v114
	ds_bpermute_b32 v114, v113, v36
	s_waitcnt lgkmcnt(0)
	v_max_f32_e32 v114, v114, v114
	v_max_f32_e32 v36, v36, v114
	v_pk_add_f32 v[116:117], v[116:117], v[36:37] op_sel_hi:[1,0] neg_lo:[0,1] neg_hi:[0,1]
	v_pk_add_f32 v[118:119], v[118:119], v[36:37] op_sel_hi:[1,0] neg_lo:[0,1] neg_hi:[0,1]
	v_sub_f32_e32 v114, v134, v36
	v_mul_f32_e32 v120, 0x3fb8aa3b, v117
	v_mul_f32_e32 v121, 0x3fb8aa3b, v116
	;; [unrolled: 1-line block ×5, first 2 shown]
	v_fma_f32 v133, v117, s29, -v120
	v_rndne_f32_e32 v134, v120
	v_fma_f32 v135, v116, s29, -v121
	v_rndne_f32_e32 v136, v121
	;; [unrolled: 2-line block ×5, first 2 shown]
	v_fmac_f32_e32 v133, 0x32a5705f, v117
	v_sub_f32_e32 v120, v120, v134
	v_fmac_f32_e32 v135, 0x32a5705f, v116
	v_sub_f32_e32 v121, v121, v136
	;; [unrolled: 2-line block ×5, first 2 shown]
	v_add_f32_e32 v120, v120, v133
	v_add_f32_e32 v121, v121, v135
	;; [unrolled: 1-line block ×5, first 2 shown]
	v_cvt_i32_f32_e32 v134, v134
	v_cvt_i32_f32_e32 v136, v136
	;; [unrolled: 1-line block ×5, first 2 shown]
	v_exp_f32_e32 v120, v120
	v_exp_f32_e32 v122, v122
	;; [unrolled: 1-line block ×5, first 2 shown]
	v_ldexp_f32 v122, v122, v138
	v_cmp_ngt_f32_e32 vcc, s71, v119
	v_ldexp_f32 v123, v123, v140
	v_cmp_ngt_f32_e64 s[8:9], s71, v118
	v_ldexp_f32 v132, v132, v142
	v_cmp_ngt_f32_e64 s[10:11], s71, v114
	;; [unrolled: 2-line block ×4, first 2 shown]
	v_cndmask_b32_e64 v121, 0, v121, s[14:15]
	v_cmp_nlt_f32_e64 s[14:15], s94, v116
	v_cndmask_b32_e32 v116, 0, v122, vcc
	v_cmp_nlt_f32_e32 vcc, s94, v119
	v_cndmask_b32_e64 v119, 0, v123, s[8:9]
	v_cmp_nlt_f32_e64 s[8:9], s94, v118
	v_cndmask_b32_e64 v118, 0, v132, s[10:11]
	v_cmp_nlt_f32_e64 s[10:11], s94, v114
	;; [unrolled: 2-line block ×3, first 2 shown]
	v_cndmask_b32_e64 v117, v103, v120, s[12:13]
	v_cndmask_b32_e64 v120, v103, v121, s[14:15]
	v_cndmask_b32_e32 v116, v103, v116, vcc
	v_cndmask_b32_e64 v118, v103, v118, s[10:11]
	v_cmp_le_f32_e32 vcc, s95, v114
	v_cndmask_b32_e64 v119, v103, v119, s[8:9]
	v_add_f32_e32 v114, v120, v117
	v_cndmask_b32_e32 v118, 0, v118, vcc
	v_cvt_f16_f32_e32 v122, v119
	v_add_f32_e32 v114, v119, v114
	v_cvt_f16_f32_e32 v119, v118
	v_cvt_f16_f32_e32 v120, v120
	;; [unrolled: 1-line block ×4, first 2 shown]
	v_add_f32_e32 v114, v116, v114
	v_pk_mul_f16 v13, v119, v13 op_sel_hi:[0,1]
	v_pk_mul_f16 v105, v119, v105 op_sel_hi:[0,1]
	v_pk_mul_f16 v42, v119, v42 op_sel_hi:[0,1]
	v_pk_mul_f16 v40, v119, v40 op_sel_hi:[0,1]
	v_pk_mul_f16 v38, v119, v38 op_sel_hi:[0,1]
	v_pk_mul_f16 v37, v119, v37 op_sel_hi:[0,1]
	v_pk_mul_f16 v25, v119, v25 op_sel_hi:[0,1]
	v_pk_mul_f16 v1, v119, v1 op_sel_hi:[0,1]
	v_fmac_f32_e32 v114, v115, v118
	v_pack_b32_f16 v140, v120, v117
	v_pack_b32_f16 v141, v122, v121
	v_cvt_f32_f16_e32 v116, v13
	v_cvt_f32_f16_sdwa v117, v13 dst_sel:DWORD dst_unused:UNUSED_PAD src0_sel:WORD_1
	v_cvt_f32_f16_e32 v118, v105
	v_cvt_f32_f16_sdwa v119, v105 dst_sel:DWORD dst_unused:UNUSED_PAD src0_sel:WORD_1
	;; [unrolled: 2-line block ×8, first 2 shown]
	ds_read_u16 v1, v52
	ds_read_u16 v13, v52 offset:32
	ds_read_u16 v25, v50
	ds_read_u16 v37, v50 offset:32
	ds_read_u16 v38, v50 offset:64
	;; [unrolled: 1-line block ×13, first 2 shown]
	s_waitcnt lgkmcnt(9)
	v_perm_b32 v125, v1, v42, s60
	s_waitcnt lgkmcnt(8)
	v_perm_b32 v124, v105, v25, s60
	;; [unrolled: 2-line block ×3, first 2 shown]
	s_waitcnt lgkmcnt(0)
	v_mfma_f32_16x16x16f16 v[116:119], v[124:125], v[140:141], v[116:119]
	v_perm_b32 v125, v13, v130, s60
	v_perm_b32 v124, v131, v37, s60
	;; [unrolled: 1-line block ×3, first 2 shown]
	s_barrier
	s_nop 6
	v_cvt_f16_f32_e32 v1, v116
	v_mfma_f32_16x16x16f16 v[120:123], v[124:125], v[140:141], v[120:123]
	v_perm_b32 v125, v40, v127, s60
	v_perm_b32 v124, v126, v38, s60
	v_cvt_f16_f32_e32 v13, v117
	v_cvt_f16_f32_e32 v25, v118
	;; [unrolled: 1-line block ×3, first 2 shown]
	v_pack_b32_f16 v13, v1, v13
	v_mfma_f32_16x16x16f16 v[124:127], v[124:125], v[140:141], v[132:135]
	s_nop 3
	v_cvt_f16_f32_e32 v38, v120
	v_cvt_f16_f32_e32 v40, v121
	;; [unrolled: 1-line block ×4, first 2 shown]
	v_pack_b32_f16 v105, v25, v37
	v_pack_b32_f16 v42, v38, v40
	s_nop 0
	v_cvt_f16_f32_e32 v117, v124
	v_mfma_f32_16x16x16f16 v[128:131], v[128:129], v[140:141], v[136:139]
	v_cvt_f16_f32_e32 v118, v125
	v_cvt_f16_f32_e32 v119, v126
	;; [unrolled: 1-line block ×3, first 2 shown]
	v_pack_b32_f16 v40, v115, v116
	v_pack_b32_f16 v38, v117, v118
	;; [unrolled: 1-line block ×3, first 2 shown]
	s_nop 4
	v_cvt_f16_f32_e32 v121, v128
	v_cvt_f16_f32_e32 v122, v129
	;; [unrolled: 1-line block ×4, first 2 shown]
	v_pack_b32_f16 v25, v121, v122
	v_pack_b32_f16 v1, v123, v124
	s_cbranch_scc1 .LBB0_31
.LBB0_32:                               ;   in Loop: Header=BB0_14 Depth=1
	s_lshl_b32 s8, s78, 6
	s_ashr_i32 s9, s8, 31
	s_lshl_b64 s[10:11], s[8:9], 1
	v_mov_b32_e32 v110, s11
	v_add_co_u32_e32 v111, vcc, s10, v31
	v_addc_co_u32_e32 v110, vcc, v104, v110, vcc
	v_add_co_u32_e32 v34, vcc, v111, v34
	s_mul_hi_i32 s11, s22, s8
	s_mul_i32 s10, s22, s8
	v_addc_co_u32_e32 v35, vcc, v110, v35, vcc
	v_lshlrev_b32_e32 v110, 1, v12
	s_lshl_b64 s[10:11], s[10:11], 2
	v_add_co_u32_e32 v34, vcc, v34, v110
	s_add_u32 s9, s80, s10
	v_addc_co_u32_e32 v35, vcc, 0, v35, vcc
	s_addc_u32 s10, s81, s11
	global_load_dword v115, v[34:35], off
	v_mov_b32_e32 v34, s10
	v_add_co_u32_e32 v35, vcc, s9, v20
	v_addc_co_u32_e32 v110, vcc, v34, v21, vcc
	v_add_co_u32_e32 v34, vcc, v35, v73
	v_addc_co_u32_e32 v35, vcc, 0, v110, vcc
	v_mov_b32_e32 v110, s10
	v_add_co_u32_e32 v111, vcc, s9, v22
	v_addc_co_u32_e32 v110, vcc, v110, v23, vcc
	v_add_co_u32_e32 v116, vcc, v111, v73
	v_addc_co_u32_e32 v117, vcc, 0, v110, vcc
	global_load_dwordx4 v[110:113], v[34:35], off
	s_nop 0
	global_load_dwordx4 v[116:119], v[116:117], off
	v_cmp_lt_i32_e32 vcc, v107, v106
	v_cndmask_b32_e32 v35, v109, v107, vcc
	v_cmp_lt_i32_e32 vcc, v108, v106
	v_cndmask_b32_e32 v106, v109, v108, vcc
	v_add_u32_e32 v34, 0x2400, v49
	s_mul_hi_i32 s9, s18, s8
	s_mul_i32 s8, s18, s8
	s_lshl_b64 s[8:9], s[8:9], 2
	s_add_u32 s8, s57, s8
	s_addc_u32 s9, s79, s9
	v_mov_b32_e32 v107, s9
	v_add_co_u32_e32 v120, vcc, s8, v16
	v_lshlrev_b32_e32 v35, 2, v35
	v_addc_co_u32_e32 v107, vcc, v107, v17, vcc
	v_lshlrev_b32_e32 v106, 2, v106
	s_cmp_eq_u64 s[76:77], 0
	s_waitcnt vmcnt(2)
	ds_write_b32 v46, v115 offset:9216
	s_waitcnt vmcnt(1)
	ds_write_b128 v47, v[110:113]
	s_waitcnt vmcnt(0)
	ds_write_b128 v97, v[116:119]
	s_waitcnt lgkmcnt(0)
	s_barrier
	ds_read2_b64 v[110:113], v48 offset1:4
	s_waitcnt lgkmcnt(0)
	v_mfma_f32_16x16x16f16 v[108:111], v[110:111], v[6:7], 0
	ds_read2_b64 v[116:119], v48 offset0:8 offset1:12
	s_waitcnt lgkmcnt(0)
	s_barrier
	v_mov_b32_e32 v115, s9
	v_mfma_f32_16x16x16f16 v[6:9], v[112:113], v[8:9], v[108:111]
	v_mfma_f32_16x16x16f16 v[6:9], v[116:117], v[2:3], v[6:9]
	s_nop 5
	ds_read2_b32 v[108:109], v34 offset1:1
	v_add_co_u32_e32 v34, vcc, s8, v18
	v_addc_co_u32_e32 v115, vcc, v115, v19, vcc
	s_waitcnt lgkmcnt(0)
	v_cvt_f32_f16_e32 v110, v108
	v_cvt_f32_f16_sdwa v111, v108 dst_sel:DWORD dst_unused:UNUSED_PAD src0_sel:WORD_1
	v_mfma_f32_16x16x16f16 v[2:5], v[118:119], v[4:5], v[6:9]
	v_cvt_f32_f16_e32 v108, v109
	v_cvt_f32_f16_sdwa v109, v109 dst_sel:DWORD dst_unused:UNUSED_PAD src0_sel:WORD_1
	s_cselect_b64 s[8:9], -1, 0
	s_xor_b64 s[10:11], s[0:1], -1
	s_or_b64 s[8:9], s[10:11], s[8:9]
	s_nop 5
	v_pk_add_f32 v[8:9], v[2:3], v[110:111]
	v_pk_add_f32 v[112:113], v[4:5], v[108:109]
	v_add_f32_e32 v2, 0x40051340, v8
	v_add_f32_e32 v3, 0x40051340, v9
	;; [unrolled: 1-line block ×4, first 2 shown]
	v_max3_f32 v2, v36, v2, v3
	v_max3_f32 v4, v2, v4, v5
	ds_bpermute_b32 v5, v35, v4
	v_add_co_u32_e32 v2, vcc, v120, v73
	v_addc_co_u32_e32 v3, vcc, 0, v107, vcc
	v_add_co_u32_e32 v108, vcc, v34, v73
	s_waitcnt lgkmcnt(0)
	v_max_f32_e32 v5, v5, v5
	v_addc_co_u32_e32 v109, vcc, 0, v115, vcc
	v_max_f32_e32 v107, v4, v5
	global_load_dwordx4 v[4:7], v[2:3], off
	s_nop 0
	global_load_dwordx4 v[108:111], v[108:109], off
	ds_bpermute_b32 v116, v106, v107
	s_waitcnt vmcnt(1)
	ds_write_b128 v47, v[4:7]
	s_waitcnt vmcnt(0)
	ds_write_b128 v97, v[108:111]
	s_waitcnt lgkmcnt(2)
	v_max_f32_e32 v2, v116, v116
	v_max_f32_e32 v2, v107, v2
	v_pk_add_f32 v[8:9], v[8:9], v[2:3] op_sel_hi:[1,0] neg_lo:[0,1] neg_hi:[0,1]
	v_pk_add_f32 v[112:113], v[112:113], v[2:3] op_sel_hi:[1,0] neg_lo:[0,1] neg_hi:[0,1]
	v_mul_f32_e32 v3, 0x3fb8aa3b, v9
	v_mul_f32_e32 v34, 0x3fb8aa3b, v8
	v_fma_f32 v116, v9, s29, -v3
	v_rndne_f32_e32 v117, v3
	v_mul_f32_e32 v107, 0x3fb8aa3b, v113
	v_fma_f32 v118, v8, s29, -v34
	v_rndne_f32_e32 v119, v34
	v_fmac_f32_e32 v116, 0x32a5705f, v9
	v_sub_f32_e32 v3, v3, v117
	v_fma_f32 v120, v113, s29, -v107
	v_rndne_f32_e32 v121, v107
	v_fmac_f32_e32 v118, 0x32a5705f, v8
	v_sub_f32_e32 v34, v34, v119
	v_add_f32_e32 v3, v3, v116
	v_cvt_i32_f32_e32 v117, v117
	v_fmac_f32_e32 v120, 0x32a5705f, v113
	v_sub_f32_e32 v107, v107, v121
	v_add_f32_e32 v34, v34, v118
	v_exp_f32_e32 v3, v3
	v_cvt_i32_f32_e32 v119, v119
	v_add_f32_e32 v107, v107, v120
	v_exp_f32_e32 v34, v34
	v_mul_f32_e32 v115, 0x3fb8aa3b, v112
	v_cvt_i32_f32_e32 v121, v121
	v_exp_f32_e32 v107, v107
	v_fma_f32 v122, v112, s29, -v115
	v_rndne_f32_e32 v123, v115
	v_fmac_f32_e32 v122, 0x32a5705f, v112
	v_sub_f32_e32 v115, v115, v123
	v_ldexp_f32 v3, v3, v117
	v_cmp_ngt_f32_e32 vcc, s71, v9
	v_add_f32_e32 v115, v115, v122
	v_ldexp_f32 v34, v34, v119
	v_cndmask_b32_e32 v3, 0, v3, vcc
	v_cmp_ngt_f32_e32 vcc, s71, v8
	v_cvt_i32_f32_e32 v123, v123
	v_exp_f32_e32 v115, v115
	v_ldexp_f32 v107, v107, v121
	v_cndmask_b32_e32 v34, 0, v34, vcc
	v_cmp_ngt_f32_e32 vcc, s71, v113
	v_cndmask_b32_e32 v107, 0, v107, vcc
	v_cmp_nlt_f32_e32 vcc, s94, v9
	v_cndmask_b32_e32 v3, v103, v3, vcc
	v_cmp_nlt_f32_e32 vcc, s94, v8
	;; [unrolled: 2-line block ×3, first 2 shown]
	v_sub_f32_e32 v36, v36, v2
	v_ldexp_f32 v115, v115, v123
	v_cndmask_b32_e32 v9, v103, v107, vcc
	v_cmp_ngt_f32_e32 vcc, s71, v112
	v_mul_f32_e32 v107, 0x3fb8aa3b, v36
	v_cndmask_b32_e32 v34, 0, v115, vcc
	v_fma_f32 v113, v36, s29, -v107
	v_rndne_f32_e32 v115, v107
	v_fmac_f32_e32 v113, 0x32a5705f, v36
	v_sub_f32_e32 v107, v107, v115
	v_add_f32_e32 v107, v107, v113
	v_exp_f32_e32 v107, v107
	v_cvt_i32_f32_e32 v113, v115
	v_cmp_nlt_f32_e32 vcc, s94, v112
	v_cndmask_b32_e32 v34, v103, v34, vcc
	v_cmp_ngt_f32_e32 vcc, s71, v36
	v_ldexp_f32 v107, v107, v113
	v_cndmask_b32_e32 v107, 0, v107, vcc
	v_cmp_nlt_f32_e32 vcc, s94, v36
	v_cndmask_b32_e32 v107, v103, v107, vcc
	v_cmp_le_f32_e32 vcc, s95, v36
	v_cndmask_b32_e32 v36, 0, v107, vcc
	v_cvt_f16_f32_e32 v107, v36
	v_add_f32_e32 v112, v8, v3
	v_add_f32_e32 v112, v34, v112
	;; [unrolled: 1-line block ×3, first 2 shown]
	v_pk_mul_f16 v13, v107, v13 op_sel_hi:[0,1]
	v_fmac_f32_e32 v116, v114, v36
	v_pk_mul_f16 v36, v107, v105 op_sel_hi:[0,1]
	v_pk_mul_f16 v105, v107, v37 op_sel_hi:[0,1]
	v_cvt_f16_f32_e32 v37, v8
	v_cvt_f16_f32_e32 v112, v9
	s_waitcnt lgkmcnt(0)
	s_barrier
	v_cvt_f32_f16_e32 v4, v13
	ds_read_u16 v7, v51 offset:144
	ds_read_u16 v8, v51 offset:288
	ds_read_u16 v9, v52
	v_cvt_f32_f16_sdwa v5, v13 dst_sel:DWORD dst_unused:UNUSED_PAD src0_sel:WORD_1
	ds_read_u16 v13, v52 offset:32
	ds_read_u16 v108, v50
	v_cvt_f16_f32_e32 v3, v3
	v_cvt_f16_f32_e32 v34, v34
	s_waitcnt lgkmcnt(2)
	v_perm_b32 v9, v9, v8, s60
	v_cvt_f32_f16_e32 v6, v36
	s_waitcnt lgkmcnt(0)
	v_perm_b32 v8, v7, v108, s60
	v_cvt_f32_f16_sdwa v7, v36 dst_sel:DWORD dst_unused:UNUSED_PAD src0_sel:WORD_1
	v_pack_b32_f16 v36, v37, v3
	v_pack_b32_f16 v37, v34, v112
	ds_read_u16 v111, v50 offset:32
	ds_read_u16 v113, v50 offset:64
	;; [unrolled: 1-line block ×3, first 2 shown]
	v_mfma_f32_16x16x16f16 v[4:7], v[8:9], v[36:37], v[4:7]
	v_pk_mul_f16 v42, v107, v42 op_sel_hi:[0,1]
	v_pk_mul_f16 v40, v107, v40 op_sel_hi:[0,1]
	;; [unrolled: 1-line block ×5, first 2 shown]
	v_cvt_f32_f16_e32 v108, v42
	v_cvt_f32_f16_sdwa v109, v42 dst_sel:DWORD dst_unused:UNUSED_PAD src0_sel:WORD_1
	s_nop 3
	v_cvt_f16_f32_e32 v1, v4
	v_cvt_f16_f32_e32 v3, v5
	ds_read_u16 v4, v98 offset:144
	ds_read_u16 v5, v98 offset:288
	ds_read_u16 v34, v99 offset:144
	ds_read_u16 v42, v99 offset:288
	ds_read_u16 v117, v100 offset:144
	ds_read_u16 v118, v100 offset:288
	s_waitcnt lgkmcnt(4)
	v_perm_b32 v9, v13, v5, s60
	v_perm_b32 v8, v4, v111, s60
	v_cvt_f32_f16_e32 v110, v40
	v_cvt_f32_f16_sdwa v111, v40 dst_sel:DWORD dst_unused:UNUSED_PAD src0_sel:WORD_1
	v_cvt_f16_f32_e32 v40, v6
	v_cvt_f16_f32_e32 v112, v7
	v_mfma_f32_16x16x16f16 v[6:9], v[8:9], v[36:37], v[108:111]
	ds_read_u16 v5, v52 offset:64
	ds_read_u16 v13, v52 offset:96
	v_pack_b32_f16 v4, v1, v3
	v_pack_b32_f16 v1, v40, v112
	s_nop 2
	v_cvt_f32_f16_e32 v108, v38
	v_cvt_f32_f16_sdwa v109, v38 dst_sel:DWORD dst_unused:UNUSED_PAD src0_sel:WORD_1
	v_cvt_f32_f16_e32 v110, v105
	v_cvt_f32_f16_sdwa v111, v105 dst_sel:DWORD dst_unused:UNUSED_PAD src0_sel:WORD_1
	v_cvt_f16_f32_e32 v3, v6
	v_cvt_f16_f32_e32 v6, v7
	;; [unrolled: 1-line block ×4, first 2 shown]
	s_waitcnt lgkmcnt(1)
	v_perm_b32 v9, v5, v42, s60
	v_perm_b32 v8, v34, v113, s60
	v_pack_b32_f16 v6, v3, v6
	v_pack_b32_f16 v5, v7, v114
	v_mfma_f32_16x16x16f16 v[108:111], v[8:9], v[36:37], v[108:111]
	v_cvt_f32_f16_e32 v112, v25
	v_cvt_f32_f16_sdwa v113, v25 dst_sel:DWORD dst_unused:UNUSED_PAD src0_sel:WORD_1
	v_cvt_f32_f16_e32 v114, v107
	s_waitcnt lgkmcnt(0)
	s_barrier
	s_nop 5
	v_cvt_f16_f32_e32 v3, v108
	v_cvt_f16_f32_e32 v7, v109
	v_perm_b32 v109, v13, v118, s60
	v_perm_b32 v108, v117, v115, s60
	v_cvt_f32_f16_sdwa v115, v107 dst_sel:DWORD dst_unused:UNUSED_PAD src0_sel:WORD_1
	v_cvt_f16_f32_e32 v9, v110
	v_cvt_f16_f32_e32 v13, v111
	v_mfma_f32_16x16x16f16 v[108:111], v[108:109], v[36:37], v[112:115]
	ds_bpermute_b32 v36, v35, v116
	v_pack_b32_f16 v8, v3, v7
	v_pack_b32_f16 v7, v9, v13
	s_nop 7
	v_cvt_f16_f32_e32 v3, v108
	v_cvt_f16_f32_e32 v25, v109
	;; [unrolled: 1-line block ×4, first 2 shown]
	v_pack_b32_f16 v34, v3, v25
	s_waitcnt lgkmcnt(0)
	v_add_f32_e32 v3, v116, v36
	ds_bpermute_b32 v25, v106, v3
	v_pack_b32_f16 v9, v9, v13
	s_waitcnt lgkmcnt(0)
	v_add_f32_e32 v3, v3, v25
	s_and_saveexec_b64 s[10:11], s[8:9]
	s_xor_b64 s[8:9], exec, s[10:11]
	s_andn2_saveexec_b64 s[8:9], s[8:9]
	s_cbranch_execz .LBB0_34
; %bb.33:                               ;   in Loop: Header=BB0_14 Depth=1
	v_lshlrev_b32_e32 v13, 2, v24
	global_load_dword v13, v13, s[76:77]
	v_max_f32_e32 v25, v2, v2
	s_waitcnt vmcnt(0)
	v_max_f32_e32 v36, v13, v13
	v_max_f32_e32 v36, v25, v36
	v_sub_f32_e32 v2, v2, v36
	v_sub_f32_e32 v13, v13, v36
	v_mul_f32_e32 v25, 0x3fb8aa3b, v2
	v_mul_f32_e32 v37, 0x3fb8aa3b, v13
	v_fma_f32 v38, v2, s29, -v25
	v_rndne_f32_e32 v40, v25
	v_fma_f32 v42, v13, s29, -v37
	v_rndne_f32_e32 v105, v37
	v_fmac_f32_e32 v38, 0x32a5705f, v2
	v_sub_f32_e32 v25, v25, v40
	v_fmac_f32_e32 v42, 0x32a5705f, v13
	v_sub_f32_e32 v37, v37, v105
	v_add_f32_e32 v25, v25, v38
	v_cvt_i32_f32_e32 v40, v40
	v_add_f32_e32 v37, v37, v42
	v_exp_f32_e32 v25, v25
	v_cvt_i32_f32_e32 v105, v105
	v_exp_f32_e32 v37, v37
	v_cmp_ngt_f32_e32 vcc, s71, v2
	v_ldexp_f32 v25, v25, v40
	v_cndmask_b32_e32 v25, 0, v25, vcc
	v_ldexp_f32 v37, v37, v105
	v_cmp_ngt_f32_e32 vcc, s71, v13
	v_cndmask_b32_e32 v37, 0, v37, vcc
	v_cmp_nlt_f32_e32 vcc, s94, v2
	v_cndmask_b32_e32 v25, v103, v25, vcc
	v_cmp_le_f32_e32 vcc, s95, v2
	v_cndmask_b32_e32 v2, 0, v25, vcc
	v_cvt_f16_f32_e32 v25, v2
	v_cmp_nlt_f32_e32 vcc, s94, v13
	v_cndmask_b32_e32 v37, v103, v37, vcc
	v_fmac_f32_e32 v37, v3, v2
	v_pk_mul_f16 v4, v25, v4 op_sel_hi:[0,1]
	v_pk_mul_f16 v1, v25, v1 op_sel_hi:[0,1]
	;; [unrolled: 1-line block ×8, first 2 shown]
	v_pk_mov_b32 v[2:3], v[36:37], v[36:37] op_sel:[0,1]
.LBB0_34:                               ;   in Loop: Header=BB0_14 Depth=1
	s_or_b64 exec, exec, s[8:9]
	s_and_saveexec_b64 s[8:9], s[4:5]
	s_cbranch_execz .LBB0_36
; %bb.35:                               ;   in Loop: Header=BB0_14 Depth=1
	v_add_u32_e32 v13, 0, v56
	ds_write2_b32 v13, v2, v3 offset0:32 offset1:33
.LBB0_36:                               ;   in Loop: Header=BB0_14 Depth=1
	s_or_b64 exec, exec, s[8:9]
	s_waitcnt lgkmcnt(0)
	s_barrier
	s_and_saveexec_b64 s[8:9], s[2:3]
	s_xor_b64 s[8:9], exec, s[8:9]
	s_cbranch_execz .LBB0_38
; %bb.37:                               ;   in Loop: Header=BB0_14 Depth=1
	s_barrier
	s_waitcnt lgkmcnt(0)
                                        ; implicit-def: $vgpr35
                                        ; implicit-def: $vgpr106
.LBB0_38:                               ;   in Loop: Header=BB0_14 Depth=1
	s_andn2_saveexec_b64 s[8:9], s[8:9]
	s_cbranch_execz .LBB0_42
; %bb.39:                               ;   in Loop: Header=BB0_14 Depth=1
	v_add_u32_e32 v3, 0, v57
	ds_read_b64 v[36:37], v3 offset:128
	s_waitcnt lgkmcnt(0)
	s_barrier
	ds_bpermute_b32 v2, v35, v36
	v_max_f32_e32 v13, v36, v36
	s_waitcnt lgkmcnt(0)
	v_max_f32_e32 v2, v2, v2
	v_max_f32_e32 v2, v13, v2
	ds_bpermute_b32 v13, v106, v2
	s_waitcnt lgkmcnt(0)
	v_max_f32_e32 v13, v13, v13
	v_max_f32_e32 v2, v2, v13
	v_sub_f32_e32 v13, v36, v2
	v_mul_f32_e32 v25, 0x3fb8aa3b, v13
	v_fma_f32 v36, v13, s29, -v25
	v_rndne_f32_e32 v38, v25
	v_fmac_f32_e32 v36, 0x32a5705f, v13
	v_sub_f32_e32 v25, v25, v38
	v_add_f32_e32 v25, v25, v36
	v_cvt_i32_f32_e32 v38, v38
	v_exp_f32_e32 v25, v25
	v_cmp_ngt_f32_e32 vcc, s71, v13
	v_ldexp_f32 v25, v25, v38
	v_cndmask_b32_e32 v25, 0, v25, vcc
	v_cmp_nlt_f32_e32 vcc, s94, v13
	v_cndmask_b32_e32 v36, v103, v25, vcc
	v_mul_f32_e32 v13, v37, v36
	ds_bpermute_b32 v13, v35, v13
	s_waitcnt lgkmcnt(0)
	v_fmac_f32_e32 v13, v37, v36
	ds_bpermute_b32 v25, v106, v13
	s_waitcnt lgkmcnt(0)
	v_add_f32_e32 v37, v13, v25
	ds_write_b64 v3, v[36:37] offset:128
	s_and_saveexec_b64 s[10:11], s[4:5]
	s_cbranch_execz .LBB0_41
; %bb.40:                               ;   in Loop: Header=BB0_14 Depth=1
	v_mov_b32_e32 v3, v37
	global_store_dwordx2 v[14:15], v[2:3], off
.LBB0_41:                               ;   in Loop: Header=BB0_14 Depth=1
	s_or_b64 exec, exec, s[10:11]
.LBB0_42:                               ;   in Loop: Header=BB0_14 Depth=1
	s_or_b64 exec, exec, s[8:9]
	ds_write2_b32 v58, v4, v1 offset1:1
	ds_write2_b32 v58, v6, v5 offset0:8 offset1:9
	ds_write2_b32 v58, v8, v7 offset0:16 offset1:17
	;; [unrolled: 1-line block ×3, first 2 shown]
	s_waitcnt lgkmcnt(0)
	s_barrier
	s_and_saveexec_b64 s[10:11], s[0:1]
	s_cbranch_execz .LBB0_80
; %bb.43:                               ;   in Loop: Header=BB0_14 Depth=1
	v_add_u32_e32 v2, s91, v59
	v_or_b32_e32 v1, s61, v26
	v_cmp_gt_i32_e64 s[8:9], s20, v2
	v_cmp_gt_i32_e32 vcc, s33, v1
	s_and_b64 s[8:9], s[8:9], vcc
	v_mov_b32_e32 v1, 0x47
	s_and_saveexec_b64 s[12:13], s[8:9]
	s_cbranch_execz .LBB0_45
; %bb.44:                               ;   in Loop: Header=BB0_14 Depth=1
	v_add_u32_e32 v1, 0, v60
	v_add_u32_e32 v1, 0x80, v1
	ds_read2st64_b32 v[4:5], v1 offset1:9
	ds_read2st64_b32 v[6:7], v61 offset1:9
	ds_read2st64_b32 v[8:9], v1 offset0:18 offset1:27
	ds_read2st64_b32 v[34:35], v61 offset0:18 offset1:27
	v_mad_u64_u32 v[2:3], s[8:9], v2, s21, v[26:27]
	s_waitcnt lgkmcnt(2)
	v_cvt_f32_f16_sdwa v37, v6 dst_sel:DWORD dst_unused:UNUSED_PAD src0_sel:WORD_1
	v_cvt_f32_f16_e32 v36, v6
	v_cvt_f32_f16_sdwa v107, v7 dst_sel:DWORD dst_unused:UNUSED_PAD src0_sel:WORD_1
	v_cvt_f32_f16_e32 v106, v7
	s_waitcnt lgkmcnt(0)
	v_cvt_f32_f16_sdwa v7, v34 dst_sel:DWORD dst_unused:UNUSED_PAD src0_sel:WORD_1
	v_cvt_f32_f16_e32 v6, v34
	v_lshl_or_b32 v2, v2, 5, v10
	v_cvt_f32_f16_sdwa v109, v35 dst_sel:DWORD dst_unused:UNUSED_PAD src0_sel:WORD_1
	v_cvt_f32_f16_e32 v108, v35
	v_ashrrev_i32_e32 v3, 31, v2
	v_pk_fma_f32 v[36:37], v[4:5], v[36:37], 0 op_sel_hi:[0,1,0]
	v_mov_b32_e32 v4, v5
	v_lshlrev_b64 v[2:3], 3, v[2:3]
	v_pk_fma_f32 v[4:5], v[4:5], v[106:107], v[36:37] op_sel_hi:[0,1,1]
	v_mov_b32_e32 v1, s6
	v_add_co_u32_e64 v2, s[8:9], s7, v2
	v_pk_fma_f32 v[4:5], v[8:9], v[6:7], v[4:5] op_sel_hi:[0,1,1]
	v_mov_b32_e32 v6, v9
	v_addc_co_u32_e64 v3, s[8:9], v1, v3, s[8:9]
	v_pk_fma_f32 v[4:5], v[6:7], v[108:109], v[4:5] op_sel_hi:[0,1,1]
	v_mov_b32_e32 v1, 0
	global_store_dwordx2 v[2:3], v[4:5], off
.LBB0_45:                               ;   in Loop: Header=BB0_14 Depth=1
	s_or_b64 exec, exec, s[12:13]
	s_movk_i32 s8, 0x47
	v_cmp_gt_i32_e64 s[8:9], s8, v1
	s_mov_b64 s[12:13], -1
	s_and_saveexec_b64 s[14:15], s[8:9]
; %bb.46:                               ;   in Loop: Header=BB0_14 Depth=1
	v_cmp_eq_u32_e64 s[8:9], 0, v1
	s_orn2_b64 s[12:13], s[8:9], exec
; %bb.47:                               ;   in Loop: Header=BB0_14 Depth=1
	s_or_b64 exec, exec, s[14:15]
	s_and_b64 exec, exec, s[12:13]
	s_cbranch_execz .LBB0_80
; %bb.48:                               ;   in Loop: Header=BB0_14 Depth=1
	v_add_u32_e32 v2, s91, v62
	v_cmp_gt_i32_e64 s[8:9], s20, v2
	s_and_b64 s[8:9], s[8:9], vcc
	v_mov_b32_e32 v1, 0x47
	s_and_saveexec_b64 s[12:13], s[8:9]
	s_cbranch_execz .LBB0_50
; %bb.49:                               ;   in Loop: Header=BB0_14 Depth=1
	v_add_u32_e32 v1, 0, v63
	v_add_u32_e32 v1, 0x80, v1
	ds_read2st64_b32 v[4:5], v1 offset1:9
	ds_read2st64_b32 v[6:7], v64 offset1:9
	ds_read2st64_b32 v[8:9], v1 offset0:18 offset1:27
	ds_read2st64_b32 v[34:35], v64 offset0:18 offset1:27
	v_mad_u64_u32 v[2:3], s[8:9], v2, s21, v[26:27]
	s_waitcnt lgkmcnt(2)
	v_cvt_f32_f16_sdwa v37, v6 dst_sel:DWORD dst_unused:UNUSED_PAD src0_sel:WORD_1
	v_cvt_f32_f16_e32 v36, v6
	v_cvt_f32_f16_sdwa v107, v7 dst_sel:DWORD dst_unused:UNUSED_PAD src0_sel:WORD_1
	v_cvt_f32_f16_e32 v106, v7
	s_waitcnt lgkmcnt(0)
	v_cvt_f32_f16_sdwa v7, v34 dst_sel:DWORD dst_unused:UNUSED_PAD src0_sel:WORD_1
	v_cvt_f32_f16_e32 v6, v34
	v_lshl_or_b32 v2, v2, 5, v10
	v_cvt_f32_f16_sdwa v109, v35 dst_sel:DWORD dst_unused:UNUSED_PAD src0_sel:WORD_1
	v_cvt_f32_f16_e32 v108, v35
	v_ashrrev_i32_e32 v3, 31, v2
	v_pk_fma_f32 v[36:37], v[4:5], v[36:37], 0 op_sel_hi:[0,1,0]
	v_mov_b32_e32 v4, v5
	v_lshlrev_b64 v[2:3], 3, v[2:3]
	v_pk_fma_f32 v[4:5], v[4:5], v[106:107], v[36:37] op_sel_hi:[0,1,1]
	v_mov_b32_e32 v1, s6
	v_add_co_u32_e64 v2, s[8:9], s7, v2
	v_pk_fma_f32 v[4:5], v[8:9], v[6:7], v[4:5] op_sel_hi:[0,1,1]
	v_mov_b32_e32 v6, v9
	v_addc_co_u32_e64 v3, s[8:9], v1, v3, s[8:9]
	v_pk_fma_f32 v[4:5], v[6:7], v[108:109], v[4:5] op_sel_hi:[0,1,1]
	v_mov_b32_e32 v1, 0
	global_store_dwordx2 v[2:3], v[4:5], off
.LBB0_50:                               ;   in Loop: Header=BB0_14 Depth=1
	s_or_b64 exec, exec, s[12:13]
	s_movk_i32 s8, 0x47
	v_cmp_gt_i32_e64 s[8:9], s8, v1
	s_mov_b64 s[12:13], -1
	s_and_saveexec_b64 s[14:15], s[8:9]
; %bb.51:                               ;   in Loop: Header=BB0_14 Depth=1
	v_cmp_eq_u32_e64 s[8:9], 0, v1
	s_orn2_b64 s[12:13], s[8:9], exec
; %bb.52:                               ;   in Loop: Header=BB0_14 Depth=1
	s_or_b64 exec, exec, s[14:15]
	s_and_b64 exec, exec, s[12:13]
	s_cbranch_execz .LBB0_80
; %bb.53:                               ;   in Loop: Header=BB0_14 Depth=1
	v_add_u32_e32 v2, s91, v65
	v_cmp_gt_i32_e64 s[8:9], s20, v2
	;; [unrolled: 52-line block ×7, first 2 shown]
	s_and_b64 s[8:9], s[8:9], vcc
	s_and_b64 exec, exec, s[8:9]
	s_cbranch_execz .LBB0_80
; %bb.79:                               ;   in Loop: Header=BB0_14 Depth=1
	v_mad_u64_u32 v[2:3], s[8:9], v1, s21, v[26:27]
	v_add_u32_e32 v1, 0, v83
	v_add_u32_e32 v1, 0x80, v1
	ds_read2st64_b32 v[4:5], v1 offset1:9
	ds_read2st64_b32 v[6:7], v84 offset1:9
	ds_read2st64_b32 v[8:9], v1 offset0:18 offset1:27
	ds_read2st64_b32 v[34:35], v84 offset0:18 offset1:27
	v_lshl_or_b32 v2, v2, 5, v10
	v_ashrrev_i32_e32 v3, 31, v2
	s_waitcnt lgkmcnt(2)
	v_cvt_f32_f16_sdwa v37, v6 dst_sel:DWORD dst_unused:UNUSED_PAD src0_sel:WORD_1
	v_cvt_f32_f16_e32 v36, v6
	v_cvt_f32_f16_sdwa v107, v7 dst_sel:DWORD dst_unused:UNUSED_PAD src0_sel:WORD_1
	v_cvt_f32_f16_e32 v106, v7
	s_waitcnt lgkmcnt(0)
	v_cvt_f32_f16_sdwa v7, v34 dst_sel:DWORD dst_unused:UNUSED_PAD src0_sel:WORD_1
	v_cvt_f32_f16_e32 v6, v34
	v_cvt_f32_f16_sdwa v109, v35 dst_sel:DWORD dst_unused:UNUSED_PAD src0_sel:WORD_1
	v_cvt_f32_f16_e32 v108, v35
	v_pk_fma_f32 v[36:37], v[4:5], v[36:37], 0 op_sel_hi:[0,1,0]
	v_mov_b32_e32 v4, v5
	v_lshlrev_b64 v[2:3], 3, v[2:3]
	v_pk_fma_f32 v[4:5], v[4:5], v[106:107], v[36:37] op_sel_hi:[0,1,1]
	v_mov_b32_e32 v1, s6
	v_add_co_u32_e32 v2, vcc, s7, v2
	v_pk_fma_f32 v[4:5], v[8:9], v[6:7], v[4:5] op_sel_hi:[0,1,1]
	v_mov_b32_e32 v6, v9
	v_addc_co_u32_e32 v3, vcc, v1, v3, vcc
	v_pk_fma_f32 v[4:5], v[6:7], v[108:109], v[4:5] op_sel_hi:[0,1,1]
	global_store_dwordx2 v[2:3], v[4:5], off
.LBB0_80:                               ;   in Loop: Header=BB0_14 Depth=1
	s_or_b64 exec, exec, s[10:11]
	s_barrier
	s_branch .LBB0_13
.LBB0_81:                               ;   in Loop: Header=BB0_14 Depth=1
	s_lshl_b32 s78, s90, 3
	v_cmp_gt_i32_e32 vcc, s33, v11
	v_add_u32_e32 v1, s78, v53
	s_xor_b64 s[8:9], vcc, -1
	v_cmp_le_i32_e32 vcc, s20, v1
	s_or_b64 s[10:11], vcc, s[8:9]
	s_and_saveexec_b64 s[12:13], s[10:11]
	s_xor_b64 s[10:11], exec, s[12:13]
	s_cbranch_execz .LBB0_83
; %bb.82:                               ;   in Loop: Header=BB0_14 Depth=1
	ds_write_b32 v54, v96
                                        ; implicit-def: $vgpr1
.LBB0_83:                               ;   in Loop: Header=BB0_14 Depth=1
	s_andn2_saveexec_b64 s[10:11], s[10:11]
	s_cbranch_execz .LBB0_85
; %bb.84:                               ;   in Loop: Header=BB0_14 Depth=1
	v_mad_u64_u32 v[2:3], s[12:13], v1, s59, v[30:31]
	v_ashrrev_i32_e32 v3, 31, v2
	v_lshlrev_b64 v[2:3], 3, v[2:3]
	v_mov_b32_e32 v1, s89
	v_add_co_u32_e32 v2, vcc, s88, v2
	v_addc_co_u32_e32 v3, vcc, v1, v3, vcc
	global_load_dwordx2 v[2:3], v[2:3], off
	s_waitcnt vmcnt(0)
	v_cvt_f16_f32_e32 v1, v2
	v_cvt_f16_f32_e32 v2, v3
	v_pack_b32_f16 v1, v1, v2
	v_pk_mul_f16 v1, v41, v1
	ds_write_b32 v54, v1
.LBB0_85:                               ;   in Loop: Header=BB0_14 Depth=1
	s_or_b64 exec, exec, s[10:11]
	v_add_u32_e32 v1, s78, v55
	v_cmp_le_i32_e32 vcc, s20, v1
	s_or_b64 s[8:9], vcc, s[8:9]
	s_and_saveexec_b64 s[10:11], s[8:9]
	s_xor_b64 s[8:9], exec, s[10:11]
	s_cbranch_execz .LBB0_87
; %bb.86:                               ;   in Loop: Header=BB0_14 Depth=1
	ds_write_b32 v54, v96 offset:1152
                                        ; implicit-def: $vgpr1
.LBB0_87:                               ;   in Loop: Header=BB0_14 Depth=1
	s_andn2_saveexec_b64 s[8:9], s[8:9]
	s_cbranch_execz .LBB0_89
; %bb.88:                               ;   in Loop: Header=BB0_14 Depth=1
	v_mad_u64_u32 v[2:3], s[10:11], v1, s59, v[30:31]
	v_ashrrev_i32_e32 v3, 31, v2
	v_lshlrev_b64 v[2:3], 3, v[2:3]
	v_mov_b32_e32 v1, s89
	v_add_co_u32_e32 v2, vcc, s88, v2
	v_addc_co_u32_e32 v3, vcc, v1, v3, vcc
	global_load_dwordx2 v[2:3], v[2:3], off
	s_waitcnt vmcnt(0)
	v_cvt_f16_f32_e32 v1, v2
	v_cvt_f16_f32_e32 v2, v3
	v_pack_b32_f16 v1, v1, v2
	v_pk_mul_f16 v1, v41, v1
	ds_write_b32 v54, v1 offset:1152
.LBB0_89:                               ;   in Loop: Header=BB0_14 Depth=1
	s_or_b64 exec, exec, s[8:9]
	s_waitcnt lgkmcnt(0)
	s_barrier
	ds_read2_b64 v[6:9], v45 offset1:4
	ds_read2_b64 v[2:5], v45 offset0:8 offset1:12
	s_cmp_gt_i32 s63, 1
	s_waitcnt lgkmcnt(0)
	s_barrier
	s_cbranch_scc1 .LBB0_91
; %bb.90:                               ;   in Loop: Header=BB0_14 Depth=1
	v_mbcnt_hi_u32_b32 v112, -1, v101
	v_and_b32_e32 v1, 64, v112
	s_mov_b32 s88, 0
	v_add_u32_e32 v113, 64, v1
	v_xor_b32_e32 v114, 32, v112
	v_xor_b32_e32 v115, 16, v112
	s_mov_b64 s[8:9], 0
	s_mov_b32 s10, 0xfeffffff
	s_branch .LBB0_92
.LBB0_91:                               ;   in Loop: Header=BB0_14 Depth=1
	s_mov_b64 s[8:9], -1
                                        ; implicit-def: $sgpr88
                                        ; implicit-def: $sgpr10
                                        ; implicit-def: $vgpr112
                                        ; implicit-def: $vgpr113
                                        ; implicit-def: $vgpr114
                                        ; implicit-def: $vgpr115
.LBB0_92:                               ;   in Loop: Header=BB0_14 Depth=1
	v_add_u32_e32 v1, s78, v44
	v_mul_hi_u32 v11, s30, v1
	v_add_u32_e32 v11, v1, v11
	v_lshrrev_b32_e32 v11, s31, v11
	v_mul_lo_u32 v11, v11, s20
	v_sub_u32_e32 v116, v1, v11
	s_andn2_b64 vcc, exec, s[8:9]
	v_mov_b32_e32 v37, s88
	v_mov_b32_e32 v35, s88
	;; [unrolled: 1-line block ×10, first 2 shown]
	s_cbranch_vccnz .LBB0_95
; %bb.93:                               ;   in Loop: Header=BB0_14 Depth=1
	v_mbcnt_hi_u32_b32 v112, -1, v101
	v_and_b32_e32 v1, 64, v112
	v_add_u32_e32 v113, 64, v1
	v_xor_b32_e32 v114, 32, v112
	v_readlane_b32 s8, v147, 22
	v_cmp_lt_i32_e32 vcc, v114, v113
	v_xor_b32_e32 v115, 16, v112
	v_readlane_b32 s9, v147, 23
	s_add_i32 s88, s63, -1
	v_cndmask_b32_e32 v1, v112, v114, vcc
	v_cmp_lt_i32_e32 vcc, v115, v113
	v_mad_i64_i32 v[32:33], s[8:9], s8, v116, v[32:33]
	v_lshlrev_b32_e32 v117, 2, v1
	v_cndmask_b32_e32 v1, v112, v115, vcc
	v_add_co_u32_e32 v32, vcc, v85, v32
	s_add_u32 s8, s68, s69
	v_addc_co_u32_e32 v33, vcc, v86, v33, vcc
	s_addc_u32 s9, s64, s26
	v_lshlrev_b32_e32 v118, 2, v1
	v_mov_b32_e32 v1, s9
	v_add_co_u32_e32 v36, vcc, s8, v87
	v_addc_co_u32_e32 v1, vcc, v88, v1, vcc
	v_mov_b32_e32 v11, s9
	v_add_co_u32_e32 v38, vcc, s8, v89
	s_add_u32 s8, s35, s66
	v_addc_co_u32_e32 v11, vcc, v90, v11, vcc
	s_addc_u32 s9, s34, s67
	v_mov_b32_e32 v13, s9
	v_add_co_u32_e32 v40, vcc, s8, v91
	v_addc_co_u32_e32 v13, vcc, v92, v13, vcc
	v_mov_b32_e32 v25, s9
	v_add_co_u32_e32 v42, vcc, s8, v93
	v_mov_b32_e32 v105, 0
	v_addc_co_u32_e32 v25, vcc, v94, v25, vcc
	v_mov_b32_e32 v35, 0
	v_mov_b32_e32 v34, 0xfeffffff
	s_mov_b32 s26, s88
	v_mov_b32_e32 v111, 0
	v_mov_b32_e32 v110, 0
	;; [unrolled: 1-line block ×7, first 2 shown]
.LBB0_94:                               ;   Parent Loop BB0_14 Depth=1
                                        ; =>  This Inner Loop Header: Depth=2
	v_add_co_u32_e64 v120, s[12:13], v40, v28
	v_mov_b32_e32 v119, v34
	v_add_co_u32_e32 v34, vcc, v42, v28
	v_addc_co_u32_e64 v121, s[12:13], 0, v13, s[12:13]
	v_mov_b32_e32 v136, v35
	global_load_dword v130, v[32:33], off
	v_addc_co_u32_e32 v35, vcc, 0, v25, vcc
	global_load_dwordx4 v[120:123], v[120:121], off
	s_nop 0
	global_load_dwordx4 v[124:127], v[34:35], off
	v_add_co_u32_e64 v132, s[8:9], v38, v28
	v_add_co_u32_e32 v128, vcc, v36, v28
	v_addc_co_u32_e32 v129, vcc, 0, v1, vcc
	v_addc_co_u32_e64 v133, vcc, 0, v11, s[8:9]
	v_add_co_u32_e32 v32, vcc, s70, v32
	v_addc_co_u32_e32 v33, vcc, 0, v33, vcc
	v_add_u32_e32 v131, 0x2400, v49
	v_mov_b32_e32 v134, s73
	v_add_co_u32_e64 v38, s[10:11], s72, v38
	v_mov_b32_e32 v135, s75
	v_add_co_u32_e64 v40, s[14:15], s74, v40
	v_add_co_u32_e64 v42, s[16:17], s74, v42
	v_add_co_u32_e32 v36, vcc, s72, v36
	v_addc_co_u32_e32 v1, vcc, v1, v134, vcc
	v_addc_co_u32_e64 v11, vcc, v11, v134, s[10:11]
	v_addc_co_u32_e64 v13, vcc, v13, v135, s[14:15]
	;; [unrolled: 1-line block ×3, first 2 shown]
	s_add_i32 s26, s26, -1
	s_cmp_lg_u32 s26, 0
	s_waitcnt vmcnt(2)
	ds_write_b32 v46, v130 offset:9216
	s_waitcnt vmcnt(1)
	ds_write_b128 v47, v[120:123]
	s_waitcnt vmcnt(0)
	ds_write_b128 v97, v[124:127]
	s_waitcnt lgkmcnt(0)
	s_barrier
	ds_read2_b64 v[120:123], v48 offset1:4
	s_waitcnt lgkmcnt(0)
	v_mfma_f32_16x16x16f16 v[124:127], v[120:121], v[6:7], 0
	v_mfma_f32_16x16x16f16 v[120:123], v[122:123], v[8:9], v[124:127]
	s_nop 7
	s_nop 1
	ds_read2_b64 v[124:127], v48 offset0:8 offset1:12
	s_waitcnt lgkmcnt(0)
	s_barrier
	ds_read2_b32 v[34:35], v131 offset1:1
	global_load_dwordx4 v[128:131], v[128:129], off
	s_nop 0
	global_load_dwordx4 v[132:135], v[132:133], off
	v_mfma_f32_16x16x16f16 v[120:123], v[124:125], v[2:3], v[120:123]
	s_waitcnt lgkmcnt(0)
	v_cvt_f32_f16_e32 v124, v34
	v_cvt_f32_f16_sdwa v125, v34 dst_sel:DWORD dst_unused:UNUSED_PAD src0_sel:WORD_1
	v_cvt_f32_f16_e32 v34, v35
	v_cvt_f32_f16_sdwa v35, v35 dst_sel:DWORD dst_unused:UNUSED_PAD src0_sel:WORD_1
	s_waitcnt vmcnt(1)
	ds_write_b128 v47, v[128:131]
	s_waitcnt vmcnt(0)
	ds_write_b128 v97, v[132:135]
	v_mfma_f32_16x16x16f16 v[120:123], v[126:127], v[4:5], v[120:123]
	s_waitcnt lgkmcnt(0)
	s_barrier
	s_nop 7
	s_nop 0
	v_pk_add_f32 v[120:121], v[120:121], v[124:125]
	v_pk_add_f32 v[122:123], v[122:123], v[34:35]
	v_add_f32_e32 v34, 0x40051340, v120
	v_add_f32_e32 v35, 0x40051340, v121
	;; [unrolled: 1-line block ×4, first 2 shown]
	v_max3_f32 v34, v119, v34, v35
	v_max3_f32 v34, v34, v124, v125
	ds_bpermute_b32 v35, v117, v34
	s_waitcnt lgkmcnt(0)
	v_max_f32_e32 v35, v35, v35
	v_max_f32_e32 v34, v34, v35
	ds_bpermute_b32 v35, v118, v34
	s_waitcnt lgkmcnt(0)
	v_max_f32_e32 v35, v35, v35
	v_max_f32_e32 v34, v34, v35
	v_pk_add_f32 v[120:121], v[120:121], v[34:35] op_sel_hi:[1,0] neg_lo:[0,1] neg_hi:[0,1]
	v_pk_add_f32 v[122:123], v[122:123], v[34:35] op_sel_hi:[1,0] neg_lo:[0,1] neg_hi:[0,1]
	v_sub_f32_e32 v35, v119, v34
	v_mul_f32_e32 v119, 0x3fb8aa3b, v121
	v_mul_f32_e32 v124, 0x3fb8aa3b, v120
	;; [unrolled: 1-line block ×5, first 2 shown]
	v_fma_f32 v137, v121, s29, -v119
	v_rndne_f32_e32 v138, v119
	v_fma_f32 v139, v120, s29, -v124
	v_rndne_f32_e32 v140, v124
	;; [unrolled: 2-line block ×5, first 2 shown]
	v_fmac_f32_e32 v137, 0x32a5705f, v121
	v_sub_f32_e32 v119, v119, v138
	v_fmac_f32_e32 v139, 0x32a5705f, v120
	v_sub_f32_e32 v124, v124, v140
	v_fmac_f32_e32 v141, 0x32a5705f, v123
	v_sub_f32_e32 v125, v125, v142
	v_fmac_f32_e32 v143, 0x32a5705f, v122
	v_sub_f32_e32 v126, v126, v144
	v_fmac_f32_e32 v145, 0x32a5705f, v35
	v_sub_f32_e32 v127, v127, v146
	v_add_f32_e32 v119, v119, v137
	v_add_f32_e32 v124, v124, v139
	;; [unrolled: 1-line block ×5, first 2 shown]
	v_cvt_i32_f32_e32 v138, v138
	v_cvt_i32_f32_e32 v140, v140
	;; [unrolled: 1-line block ×5, first 2 shown]
	v_exp_f32_e32 v119, v119
	v_exp_f32_e32 v125, v125
	;; [unrolled: 1-line block ×5, first 2 shown]
	v_ldexp_f32 v125, v125, v142
	v_cmp_ngt_f32_e32 vcc, s71, v123
	v_ldexp_f32 v126, v126, v144
	v_cmp_ngt_f32_e64 s[8:9], s71, v122
	v_ldexp_f32 v127, v127, v146
	v_cmp_ngt_f32_e64 s[10:11], s71, v35
	;; [unrolled: 2-line block ×4, first 2 shown]
	v_cndmask_b32_e64 v124, 0, v124, s[14:15]
	v_cmp_nlt_f32_e64 s[14:15], s94, v120
	v_cndmask_b32_e32 v120, 0, v125, vcc
	v_cmp_nlt_f32_e32 vcc, s94, v123
	v_cndmask_b32_e64 v123, 0, v126, s[8:9]
	v_cmp_nlt_f32_e64 s[8:9], s94, v122
	v_cndmask_b32_e64 v122, 0, v127, s[10:11]
	v_cmp_nlt_f32_e64 s[10:11], s94, v35
	;; [unrolled: 2-line block ×3, first 2 shown]
	v_cndmask_b32_e64 v119, v103, v119, s[12:13]
	v_cndmask_b32_e64 v121, v103, v124, s[14:15]
	v_cndmask_b32_e32 v120, v103, v120, vcc
	v_cndmask_b32_e64 v122, v103, v122, s[10:11]
	v_cmp_le_f32_e32 vcc, s95, v35
	v_cndmask_b32_e64 v123, v103, v123, s[8:9]
	v_add_f32_e32 v35, v121, v119
	v_cndmask_b32_e32 v122, 0, v122, vcc
	v_cvt_f16_f32_e32 v121, v121
	v_cvt_f16_f32_e32 v119, v119
	;; [unrolled: 1-line block ×3, first 2 shown]
	v_add_f32_e32 v35, v123, v35
	v_cvt_f16_f32_e32 v123, v122
	v_cvt_f16_f32_e32 v124, v120
	v_add_f32_e32 v35, v120, v35
	v_pack_b32_f16 v140, v121, v119
	v_pk_mul_f16 v105, v123, v105 op_sel_hi:[0,1]
	v_pk_mul_f16 v111, v123, v111 op_sel_hi:[0,1]
	;; [unrolled: 1-line block ×5, first 2 shown]
	v_fmac_f32_e32 v35, v136, v122
	v_pack_b32_f16 v141, v125, v124
	v_pk_mul_f16 v125, v123, v108 op_sel_hi:[0,1]
	v_pk_mul_f16 v127, v123, v107 op_sel_hi:[0,1]
	;; [unrolled: 1-line block ×3, first 2 shown]
	v_cvt_f32_f16_e32 v106, v105
	v_cvt_f32_f16_sdwa v107, v105 dst_sel:DWORD dst_unused:UNUSED_PAD src0_sel:WORD_1
	v_cvt_f32_f16_e32 v108, v111
	v_cvt_f32_f16_sdwa v109, v111 dst_sel:DWORD dst_unused:UNUSED_PAD src0_sel:WORD_1
	;; [unrolled: 2-line block ×5, first 2 shown]
	ds_read_u16 v37, v52
	ds_read_u16 v105, v52 offset:32
	ds_read_u16 v110, v50
	ds_read_u16 v119, v50 offset:32
	ds_read_u16 v128, v50 offset:64
	;; [unrolled: 1-line block ×13, first 2 shown]
	s_waitcnt lgkmcnt(9)
	v_perm_b32 v111, v37, v111, s60
	s_waitcnt lgkmcnt(8)
	v_perm_b32 v110, v130, v110, s60
	v_cvt_f32_f16_e32 v124, v125
	v_cvt_f32_f16_sdwa v125, v125 dst_sel:DWORD dst_unused:UNUSED_PAD src0_sel:WORD_1
	v_mfma_f32_16x16x16f16 v[106:109], v[110:111], v[140:141], v[106:109]
	s_waitcnt lgkmcnt(2)
	v_perm_b32 v111, v105, v142, s60
	s_waitcnt lgkmcnt(1)
	v_perm_b32 v110, v143, v119, s60
	v_cvt_f32_f16_e32 v126, v127
	v_cvt_f32_f16_sdwa v127, v127 dst_sel:DWORD dst_unused:UNUSED_PAD src0_sel:WORD_1
	v_cvt_f32_f16_e32 v136, v137
	v_cvt_f32_f16_sdwa v137, v137 dst_sel:DWORD dst_unused:UNUSED_PAD src0_sel:WORD_1
	s_waitcnt lgkmcnt(0)
	v_mfma_f32_16x16x16f16 v[120:123], v[110:111], v[140:141], v[120:123]
	v_perm_b32 v111, v129, v133, s60
	v_perm_b32 v110, v132, v128, s60
	v_cvt_f16_f32_e32 v37, v106
	v_cvt_f16_f32_e32 v105, v107
	;; [unrolled: 1-line block ×4, first 2 shown]
	s_barrier
	v_mfma_f32_16x16x16f16 v[124:127], v[110:111], v[140:141], v[124:127]
	v_perm_b32 v111, v144, v135, s60
	v_perm_b32 v110, v134, v131, s60
	s_nop 0
	v_cvt_f16_f32_e32 v108, v120
	v_cvt_f16_f32_e32 v109, v121
	;; [unrolled: 1-line block ×4, first 2 shown]
	v_pack_b32_f16 v105, v37, v105
	v_mfma_f32_16x16x16f16 v[128:131], v[110:111], v[140:141], v[136:139]
	s_nop 1
	v_cvt_f16_f32_e32 v121, v124
	v_cvt_f16_f32_e32 v122, v125
	;; [unrolled: 1-line block ×4, first 2 shown]
	v_pack_b32_f16 v111, v106, v107
	v_pack_b32_f16 v110, v108, v109
	;; [unrolled: 1-line block ×3, first 2 shown]
	s_nop 1
	v_cvt_f16_f32_e32 v125, v128
	v_cvt_f16_f32_e32 v126, v129
	;; [unrolled: 1-line block ×4, first 2 shown]
	v_pack_b32_f16 v108, v121, v122
	v_pack_b32_f16 v107, v123, v124
	;; [unrolled: 1-line block ×4, first 2 shown]
	s_cbranch_scc1 .LBB0_94
.LBB0_95:                               ;   in Loop: Header=BB0_14 Depth=1
	v_mad_i64_i32 v[32:33], s[8:9], v116, s28, 0
	s_lshl_b32 s64, s88, 6
	s_lshl_b64 s[8:9], s[64:65], 1
	v_mov_b32_e32 v1, s9
	v_add_co_u32_e32 v11, vcc, s8, v31
	v_addc_co_u32_e32 v1, vcc, v104, v1, vcc
	v_lshlrev_b64 v[32:33], 1, v[32:33]
	s_mul_i32 s8, s23, s64
	s_mul_hi_u32 s9, s22, s64
	v_add_co_u32_e32 v11, vcc, v11, v32
	s_add_i32 s9, s9, s8
	s_mul_i32 s8, s22, s64
	v_addc_co_u32_e32 v1, vcc, v1, v33, vcc
	v_lshlrev_b32_e32 v13, 1, v12
	s_lshl_b64 s[8:9], s[8:9], 2
	v_add_co_u32_e32 v32, vcc, v11, v13
	s_add_u32 s8, s80, s8
	v_addc_co_u32_e32 v33, vcc, 0, v1, vcc
	s_addc_u32 s9, s81, s9
	v_mov_b32_e32 v11, s9
	v_add_co_u32_e32 v13, vcc, s8, v20
	v_addc_co_u32_e32 v11, vcc, v11, v21, vcc
	global_load_dword v1, v[32:33], off
	v_add_co_u32_e32 v32, vcc, v13, v73
	v_addc_co_u32_e32 v33, vcc, 0, v11, vcc
	v_mov_b32_e32 v11, s9
	v_add_co_u32_e32 v13, vcc, s8, v22
	v_addc_co_u32_e32 v11, vcc, v11, v23, vcc
	v_add_co_u32_e32 v120, vcc, v13, v73
	v_addc_co_u32_e32 v121, vcc, 0, v11, vcc
	global_load_dwordx4 v[116:119], v[32:33], off
	s_nop 0
	global_load_dwordx4 v[120:123], v[120:121], off
	v_cmp_lt_i32_e32 vcc, v114, v113
	v_add_u32_e32 v25, 0x2400, v49
	s_mul_i32 s9, s19, s64
	s_mul_hi_u32 s10, s18, s64
	s_mul_i32 s8, s18, s64
	s_add_i32 s9, s10, s9
	s_lshl_b64 s[8:9], s[8:9], 2
	s_add_u32 s8, s57, s8
	s_addc_u32 s9, s79, s9
	v_mov_b32_e32 v31, s9
	s_cmp_eq_u64 s[76:77], 0
	s_waitcnt vmcnt(2)
	ds_write_b32 v46, v1 offset:9216
	s_waitcnt vmcnt(1)
	ds_write_b128 v47, v[116:119]
	s_waitcnt vmcnt(0)
	ds_write_b128 v97, v[120:123]
	s_waitcnt lgkmcnt(0)
	s_barrier
	ds_read2_b64 v[116:119], v48 offset1:4
	v_cndmask_b32_e32 v1, v112, v114, vcc
	v_cmp_lt_i32_e32 vcc, v115, v113
	v_cndmask_b32_e32 v11, v112, v115, vcc
	s_waitcnt lgkmcnt(0)
	v_mfma_f32_16x16x16f16 v[112:115], v[116:117], v[6:7], 0
	ds_read2_b64 v[120:123], v48 offset0:8 offset1:12
	s_waitcnt lgkmcnt(0)
	s_barrier
	ds_read2_b32 v[32:33], v25 offset1:1
	v_lshlrev_b32_e32 v13, 2, v1
	v_mov_b32_e32 v1, s9
	v_mfma_f32_16x16x16f16 v[6:9], v[118:119], v[8:9], v[112:115]
	v_add_co_u32_e32 v36, vcc, s8, v16
	v_addc_co_u32_e32 v1, vcc, v1, v17, vcc
	v_add_co_u32_e32 v25, vcc, s8, v18
	s_waitcnt lgkmcnt(0)
	s_nop 2
	v_cvt_f32_f16_e32 v112, v32
	v_mfma_f32_16x16x16f16 v[6:9], v[120:121], v[2:3], v[6:9]
	v_cvt_f32_f16_sdwa v113, v32 dst_sel:DWORD dst_unused:UNUSED_PAD src0_sel:WORD_1
	v_cvt_f32_f16_e32 v32, v33
	v_cvt_f32_f16_sdwa v33, v33 dst_sel:DWORD dst_unused:UNUSED_PAD src0_sel:WORD_1
	v_addc_co_u32_e32 v31, vcc, v31, v19, vcc
	v_lshlrev_b32_e32 v11, 2, v11
	s_cselect_b64 s[8:9], -1, 0
	v_mfma_f32_16x16x16f16 v[2:5], v[122:123], v[4:5], v[6:9]
	s_xor_b64 s[10:11], s[0:1], -1
	s_or_b64 s[8:9], s[10:11], s[8:9]
	s_nop 7
	s_nop 0
	v_pk_add_f32 v[8:9], v[2:3], v[112:113]
	v_pk_add_f32 v[32:33], v[4:5], v[32:33]
	v_add_f32_e32 v2, 0x40051340, v8
	v_add_f32_e32 v3, 0x40051340, v9
	;; [unrolled: 1-line block ×4, first 2 shown]
	v_max3_f32 v2, v34, v2, v3
	v_max3_f32 v4, v2, v4, v5
	ds_bpermute_b32 v5, v13, v4
	v_add_co_u32_e32 v2, vcc, v36, v73
	v_addc_co_u32_e32 v3, vcc, 0, v1, vcc
	v_add_co_u32_e32 v112, vcc, v25, v73
	s_waitcnt lgkmcnt(0)
	v_max_f32_e32 v1, v5, v5
	v_addc_co_u32_e32 v113, vcc, 0, v31, vcc
	v_max_f32_e32 v1, v4, v1
	global_load_dwordx4 v[4:7], v[2:3], off
	s_nop 0
	global_load_dwordx4 v[112:115], v[112:113], off
	ds_bpermute_b32 v36, v11, v1
	s_waitcnt vmcnt(1)
	ds_write_b128 v47, v[4:7]
	s_waitcnt vmcnt(0)
	ds_write_b128 v97, v[112:115]
	s_waitcnt lgkmcnt(2)
	v_max_f32_e32 v2, v36, v36
	v_max_f32_e32 v2, v1, v2
	v_pk_add_f32 v[8:9], v[8:9], v[2:3] op_sel_hi:[1,0] neg_lo:[0,1] neg_hi:[0,1]
	v_mul_f32_e32 v1, 0x3fb8aa3b, v9
	v_pk_add_f32 v[32:33], v[32:33], v[2:3] op_sel_hi:[1,0] neg_lo:[0,1] neg_hi:[0,1]
	v_mul_f32_e32 v3, 0x3fb8aa3b, v8
	v_fma_f32 v36, v9, s29, -v1
	v_rndne_f32_e32 v38, v1
	v_fma_f32 v40, v8, s29, -v3
	v_rndne_f32_e32 v42, v3
	v_fmac_f32_e32 v36, 0x32a5705f, v9
	v_sub_f32_e32 v1, v1, v38
	v_fmac_f32_e32 v40, 0x32a5705f, v8
	v_sub_f32_e32 v3, v3, v42
	v_add_f32_e32 v1, v1, v36
	v_mul_f32_e32 v25, 0x3fb8aa3b, v33
	v_cvt_i32_f32_e32 v38, v38
	v_add_f32_e32 v3, v3, v40
	v_exp_f32_e32 v1, v1
	v_fma_f32 v104, v33, s29, -v25
	v_rndne_f32_e32 v116, v25
	v_cvt_i32_f32_e32 v42, v42
	v_exp_f32_e32 v3, v3
	v_mul_f32_e32 v31, 0x3fb8aa3b, v32
	v_fmac_f32_e32 v104, 0x32a5705f, v33
	v_sub_f32_e32 v25, v25, v116
	v_fma_f32 v117, v32, s29, -v31
	v_rndne_f32_e32 v118, v31
	v_add_f32_e32 v25, v25, v104
	v_cvt_i32_f32_e32 v116, v116
	v_fmac_f32_e32 v117, 0x32a5705f, v32
	v_sub_f32_e32 v31, v31, v118
	v_exp_f32_e32 v25, v25
	v_ldexp_f32 v1, v1, v38
	v_cmp_ngt_f32_e32 vcc, s71, v9
	v_add_f32_e32 v31, v31, v117
	v_ldexp_f32 v3, v3, v42
	v_cndmask_b32_e32 v1, 0, v1, vcc
	v_cmp_ngt_f32_e32 vcc, s71, v8
	v_cvt_i32_f32_e32 v118, v118
	v_exp_f32_e32 v31, v31
	v_cndmask_b32_e32 v3, 0, v3, vcc
	v_cmp_nlt_f32_e32 vcc, s94, v9
	v_cndmask_b32_e32 v1, v103, v1, vcc
	v_cmp_nlt_f32_e32 vcc, s94, v8
	v_ldexp_f32 v25, v25, v116
	v_cndmask_b32_e32 v3, v103, v3, vcc
	v_cmp_ngt_f32_e32 vcc, s71, v33
	v_cndmask_b32_e32 v8, 0, v25, vcc
	v_sub_f32_e32 v25, v34, v2
	v_ldexp_f32 v9, v31, v118
	v_mul_f32_e32 v31, 0x3fb8aa3b, v25
	v_cmp_nlt_f32_e32 vcc, s94, v33
	v_fma_f32 v33, v25, s29, -v31
	v_rndne_f32_e32 v34, v31
	v_fmac_f32_e32 v33, 0x32a5705f, v25
	v_sub_f32_e32 v31, v31, v34
	v_add_f32_e32 v31, v31, v33
	v_exp_f32_e32 v31, v31
	v_cvt_i32_f32_e32 v33, v34
	v_cndmask_b32_e32 v8, v103, v8, vcc
	v_cmp_ngt_f32_e32 vcc, s71, v32
	v_cndmask_b32_e32 v9, 0, v9, vcc
	v_cmp_nlt_f32_e32 vcc, s94, v32
	v_cndmask_b32_e32 v9, v103, v9, vcc
	v_ldexp_f32 v31, v31, v33
	v_cmp_ngt_f32_e32 vcc, s71, v25
	v_cndmask_b32_e32 v31, 0, v31, vcc
	v_cmp_nlt_f32_e32 vcc, s94, v25
	v_cndmask_b32_e32 v31, v103, v31, vcc
	v_cmp_le_f32_e32 vcc, s95, v25
	v_cndmask_b32_e32 v25, 0, v31, vcc
	v_cvt_f16_f32_e32 v31, v25
	v_add_f32_e32 v32, v3, v1
	v_add_f32_e32 v32, v9, v32
	;; [unrolled: 1-line block ×3, first 2 shown]
	v_fmac_f32_e32 v38, v35, v25
	v_pk_mul_f16 v25, v31, v105 op_sel_hi:[0,1]
	v_cvt_f16_f32_e32 v34, v8
	v_cvt_f16_f32_e32 v104, v9
	s_waitcnt lgkmcnt(0)
	s_barrier
	v_cvt_f32_f16_e32 v4, v25
	ds_read_u16 v7, v51 offset:144
	ds_read_u16 v8, v51 offset:288
	ds_read_u16 v9, v52
	v_cvt_f32_f16_sdwa v5, v25 dst_sel:DWORD dst_unused:UNUSED_PAD src0_sel:WORD_1
	ds_read_u16 v25, v52 offset:32
	ds_read_u16 v36, v50
	v_pk_mul_f16 v32, v31, v111 op_sel_hi:[0,1]
	v_cvt_f16_f32_e32 v3, v3
	v_cvt_f16_f32_e32 v1, v1
	s_waitcnt lgkmcnt(2)
	v_perm_b32 v9, v9, v8, s60
	s_waitcnt lgkmcnt(0)
	v_perm_b32 v8, v7, v36, s60
	v_cvt_f32_f16_e32 v6, v32
	v_cvt_f32_f16_sdwa v7, v32 dst_sel:DWORD dst_unused:UNUSED_PAD src0_sel:WORD_1
	v_pk_mul_f16 v33, v31, v110 op_sel_hi:[0,1]
	v_pk_mul_f16 v35, v31, v109 op_sel_hi:[0,1]
	;; [unrolled: 1-line block ×6, first 2 shown]
	v_pack_b32_f16 v36, v3, v1
	v_pack_b32_f16 v37, v104, v34
	ds_read_u16 v106, v50 offset:32
	ds_read_u16 v107, v50 offset:64
	;; [unrolled: 1-line block ×3, first 2 shown]
	v_mfma_f32_16x16x16f16 v[4:7], v[8:9], v[36:37], v[4:7]
	v_cvt_f32_f16_e32 v32, v33
	v_cvt_f32_f16_sdwa v33, v33 dst_sel:DWORD dst_unused:UNUSED_PAD src0_sel:WORD_1
	v_cvt_f32_f16_e32 v34, v35
	v_cvt_f32_f16_sdwa v35, v35 dst_sel:DWORD dst_unused:UNUSED_PAD src0_sel:WORD_1
	s_nop 6
	v_cvt_f16_f32_e32 v1, v4
	v_cvt_f16_f32_e32 v3, v5
	ds_read_u16 v4, v98 offset:144
	ds_read_u16 v5, v98 offset:288
	;; [unrolled: 1-line block ×6, first 2 shown]
	s_waitcnt lgkmcnt(4)
	v_perm_b32 v9, v25, v5, s60
	v_perm_b32 v8, v4, v106, s60
	v_cvt_f16_f32_e32 v106, v6
	v_cvt_f16_f32_e32 v112, v7
	v_mfma_f32_16x16x16f16 v[6:9], v[8:9], v[36:37], v[32:35]
	ds_read_u16 v5, v52 offset:64
	ds_read_u16 v25, v52 offset:96
	v_pack_b32_f16 v4, v1, v3
	s_nop 3
	v_cvt_f32_f16_e32 v32, v40
	v_cvt_f32_f16_sdwa v33, v40 dst_sel:DWORD dst_unused:UNUSED_PAD src0_sel:WORD_1
	v_cvt_f32_f16_e32 v34, v42
	v_cvt_f32_f16_sdwa v35, v42 dst_sel:DWORD dst_unused:UNUSED_PAD src0_sel:WORD_1
	v_pack_b32_f16 v1, v106, v112
	v_cvt_f16_f32_e32 v3, v6
	v_cvt_f16_f32_e32 v6, v7
	;; [unrolled: 1-line block ×4, first 2 shown]
	s_waitcnt lgkmcnt(1)
	v_perm_b32 v9, v5, v109, s60
	v_perm_b32 v8, v104, v107, s60
	v_pack_b32_f16 v6, v3, v6
	v_pack_b32_f16 v5, v7, v113
	v_mfma_f32_16x16x16f16 v[32:35], v[8:9], v[36:37], v[32:35]
	v_cvt_f32_f16_e32 v104, v105
	v_cvt_f32_f16_sdwa v105, v105 dst_sel:DWORD dst_unused:UNUSED_PAD src0_sel:WORD_1
	v_cvt_f32_f16_e32 v106, v31
	v_cvt_f32_f16_sdwa v107, v31 dst_sel:DWORD dst_unused:UNUSED_PAD src0_sel:WORD_1
	s_waitcnt lgkmcnt(0)
	s_barrier
	s_nop 4
	v_cvt_f16_f32_e32 v3, v32
	v_cvt_f16_f32_e32 v7, v33
	v_perm_b32 v33, v25, v111, s60
	v_perm_b32 v32, v110, v108, s60
	v_cvt_f16_f32_e32 v9, v34
	v_cvt_f16_f32_e32 v25, v35
	v_mfma_f32_16x16x16f16 v[32:35], v[32:33], v[36:37], v[104:107]
	v_pack_b32_f16 v8, v3, v7
	v_pack_b32_f16 v7, v9, v25
	s_nop 7
	s_nop 0
	v_cvt_f16_f32_e32 v31, v33
	ds_bpermute_b32 v33, v13, v38
	v_cvt_f16_f32_e32 v3, v32
	v_cvt_f16_f32_e32 v9, v34
	;; [unrolled: 1-line block ×3, first 2 shown]
	v_pack_b32_f16 v32, v3, v31
	s_waitcnt lgkmcnt(0)
	v_add_f32_e32 v3, v38, v33
	ds_bpermute_b32 v31, v11, v3
	v_pack_b32_f16 v9, v9, v25
	s_waitcnt lgkmcnt(0)
	v_add_f32_e32 v3, v3, v31
	s_and_saveexec_b64 s[10:11], s[8:9]
	s_xor_b64 s[8:9], exec, s[10:11]
	s_andn2_saveexec_b64 s[8:9], s[8:9]
	s_cbranch_execz .LBB0_97
; %bb.96:                               ;   in Loop: Header=BB0_14 Depth=1
	v_lshlrev_b32_e32 v25, 2, v24
	global_load_dword v25, v25, s[76:77]
	v_max_f32_e32 v31, v2, v2
	s_waitcnt vmcnt(0)
	v_max_f32_e32 v33, v25, v25
	v_max_f32_e32 v34, v31, v33
	v_sub_f32_e32 v2, v2, v34
	v_sub_f32_e32 v25, v25, v34
	v_mul_f32_e32 v31, 0x3fb8aa3b, v2
	v_mul_f32_e32 v33, 0x3fb8aa3b, v25
	v_fma_f32 v35, v2, s29, -v31
	v_rndne_f32_e32 v36, v31
	v_fma_f32 v37, v25, s29, -v33
	v_rndne_f32_e32 v38, v33
	v_fmac_f32_e32 v35, 0x32a5705f, v2
	v_sub_f32_e32 v31, v31, v36
	v_fmac_f32_e32 v37, 0x32a5705f, v25
	v_sub_f32_e32 v33, v33, v38
	v_add_f32_e32 v31, v31, v35
	v_cvt_i32_f32_e32 v36, v36
	v_add_f32_e32 v33, v33, v37
	v_exp_f32_e32 v31, v31
	v_cvt_i32_f32_e32 v38, v38
	v_exp_f32_e32 v33, v33
	v_cmp_ngt_f32_e32 vcc, s71, v2
	v_ldexp_f32 v31, v31, v36
	v_cndmask_b32_e32 v31, 0, v31, vcc
	v_ldexp_f32 v33, v33, v38
	v_cmp_ngt_f32_e32 vcc, s71, v25
	v_cndmask_b32_e32 v33, 0, v33, vcc
	v_cmp_nlt_f32_e32 vcc, s94, v2
	v_cndmask_b32_e32 v31, v103, v31, vcc
	v_cmp_le_f32_e32 vcc, s95, v2
	v_cndmask_b32_e32 v2, 0, v31, vcc
	v_cvt_f16_f32_e32 v31, v2
	v_cmp_nlt_f32_e32 vcc, s94, v25
	v_cndmask_b32_e32 v35, v103, v33, vcc
	v_fmac_f32_e32 v35, v3, v2
	v_pk_mul_f16 v4, v31, v4 op_sel_hi:[0,1]
	v_pk_mul_f16 v1, v31, v1 op_sel_hi:[0,1]
	;; [unrolled: 1-line block ×8, first 2 shown]
	v_pk_mov_b32 v[2:3], v[34:35], v[34:35] op_sel:[0,1]
.LBB0_97:                               ;   in Loop: Header=BB0_14 Depth=1
	s_or_b64 exec, exec, s[8:9]
	s_and_saveexec_b64 s[8:9], s[4:5]
	s_cbranch_execz .LBB0_99
; %bb.98:                               ;   in Loop: Header=BB0_14 Depth=1
	v_add_u32_e32 v25, 0, v56
	ds_write2_b32 v25, v2, v3 offset0:32 offset1:33
.LBB0_99:                               ;   in Loop: Header=BB0_14 Depth=1
	s_or_b64 exec, exec, s[8:9]
	s_waitcnt lgkmcnt(0)
	s_barrier
	s_and_saveexec_b64 s[8:9], s[2:3]
	s_xor_b64 s[8:9], exec, s[8:9]
	s_cbranch_execz .LBB0_101
; %bb.100:                              ;   in Loop: Header=BB0_14 Depth=1
	s_barrier
	s_waitcnt lgkmcnt(0)
                                        ; implicit-def: $vgpr13
                                        ; implicit-def: $vgpr11
.LBB0_101:                              ;   in Loop: Header=BB0_14 Depth=1
	s_andn2_saveexec_b64 s[8:9], s[8:9]
	s_cbranch_execz .LBB0_103
; %bb.102:                              ;   in Loop: Header=BB0_14 Depth=1
	v_add_u32_e32 v25, 0, v57
	ds_read_b64 v[2:3], v25 offset:128
	s_waitcnt lgkmcnt(0)
	s_barrier
	ds_bpermute_b32 v31, v13, v2
	v_max_f32_e32 v33, v2, v2
	s_waitcnt lgkmcnt(0)
	v_max_f32_e32 v31, v31, v31
	v_max_f32_e32 v31, v33, v31
	ds_bpermute_b32 v33, v11, v31
	s_waitcnt lgkmcnt(0)
	v_max_f32_e32 v33, v33, v33
	v_max_f32_e32 v31, v31, v33
	v_sub_f32_e32 v2, v2, v31
	v_mul_f32_e32 v31, 0x3fb8aa3b, v2
	v_fma_f32 v33, v2, s29, -v31
	v_rndne_f32_e32 v34, v31
	v_fmac_f32_e32 v33, 0x32a5705f, v2
	v_sub_f32_e32 v31, v31, v34
	v_add_f32_e32 v31, v31, v33
	v_cvt_i32_f32_e32 v34, v34
	v_exp_f32_e32 v31, v31
	v_cmp_ngt_f32_e32 vcc, s71, v2
	v_ldexp_f32 v31, v31, v34
	v_cndmask_b32_e32 v31, 0, v31, vcc
	v_cmp_nlt_f32_e32 vcc, s94, v2
	v_cndmask_b32_e32 v2, v103, v31, vcc
	v_mul_f32_e32 v31, v3, v2
	ds_bpermute_b32 v13, v13, v31
	s_waitcnt lgkmcnt(0)
	v_fmac_f32_e32 v13, v3, v2
	ds_bpermute_b32 v3, v11, v13
	s_waitcnt lgkmcnt(0)
	v_add_f32_e32 v3, v13, v3
	ds_write_b64 v25, v[2:3] offset:128
.LBB0_103:                              ;   in Loop: Header=BB0_14 Depth=1
	s_or_b64 exec, exec, s[8:9]
	ds_write2_b32 v58, v4, v1 offset1:1
	ds_write2_b32 v58, v6, v5 offset0:8 offset1:9
	ds_write2_b32 v58, v8, v7 offset0:16 offset1:17
	;; [unrolled: 1-line block ×3, first 2 shown]
	s_waitcnt lgkmcnt(0)
	s_barrier
	s_and_saveexec_b64 s[10:11], s[0:1]
	s_cbranch_execz .LBB0_12
; %bb.104:                              ;   in Loop: Header=BB0_14 Depth=1
	v_add_u32_e32 v2, s78, v59
	v_or_b32_e32 v1, s61, v26
	v_cmp_gt_i32_e32 vcc, s20, v2
	v_cmp_gt_i32_e64 s[8:9], s33, v1
	s_and_b64 s[14:15], vcc, s[8:9]
	v_mov_b32_e32 v1, 0x47
	s_and_saveexec_b64 s[12:13], s[14:15]
	s_cbranch_execz .LBB0_106
; %bb.105:                              ;   in Loop: Header=BB0_14 Depth=1
	ds_read2st64_b32 v[4:5], v61 offset1:9
	v_add_u32_e32 v1, 0, v60
	v_mad_u64_u32 v[2:3], s[14:15], v2, s21, v[26:27]
	v_add_u32_e32 v3, 0x80, v1
	ds_read2st64_b32 v[6:7], v3 offset0:9 offset1:18
	ds_read2st64_b32 v[8:9], v61 offset0:18 offset1:27
	ds_read2_b32 v[32:33], v1 offset0:32 offset1:33
	ds_read_b32 v34, v1 offset:7040
	s_waitcnt lgkmcnt(4)
	v_cvt_f32_f16_sdwa v37, v4 dst_sel:DWORD dst_unused:UNUSED_PAD src0_sel:WORD_1
	v_cvt_f32_f16_e32 v36, v4
	v_cvt_f32_f16_sdwa v105, v5 dst_sel:DWORD dst_unused:UNUSED_PAD src0_sel:WORD_1
	v_cvt_f32_f16_e32 v104, v5
	s_waitcnt lgkmcnt(2)
	v_cvt_f32_f16_sdwa v5, v8 dst_sel:DWORD dst_unused:UNUSED_PAD src0_sel:WORD_1
	v_cvt_f32_f16_e32 v4, v8
	v_cvt_f32_f16_sdwa v107, v9 dst_sel:DWORD dst_unused:UNUSED_PAD src0_sel:WORD_1
	v_cvt_f32_f16_e32 v106, v9
	s_waitcnt lgkmcnt(1)
	v_pk_fma_f32 v[36:37], v[32:33], v[36:37], 0 op_sel_hi:[0,1,0]
	v_pk_fma_f32 v[8:9], v[6:7], v[104:105], v[36:37] op_sel_hi:[0,1,1]
	v_mov_b32_e32 v6, v7
	v_pk_fma_f32 v[4:5], v[6:7], v[4:5], v[8:9] op_sel_hi:[0,1,1]
	s_waitcnt lgkmcnt(0)
	v_pk_fma_f32 v[4:5], v[34:35], v[106:107], v[4:5] op_sel_hi:[0,1,1]
	v_div_scale_f32 v6, s[14:15], v33, v33, v5
	v_lshl_or_b32 v2, v2, 5, v10
	v_rcp_f32_e32 v7, v6
	v_ashrrev_i32_e32 v3, 31, v2
	v_lshlrev_b64 v[2:3], 3, v[2:3]
	v_mov_b32_e32 v1, s6
	v_add_co_u32_e32 v2, vcc, s7, v2
	v_addc_co_u32_e32 v3, vcc, v1, v3, vcc
	v_fma_f32 v1, -v6, v7, 1.0
	v_fmac_f32_e32 v7, v1, v7
	v_div_scale_f32 v1, vcc, v5, v33, v5
	v_mul_f32_e32 v8, v1, v7
	v_fma_f32 v9, -v6, v8, v1
	v_fmac_f32_e32 v8, v9, v7
	v_fma_f32 v1, -v6, v8, v1
	v_div_scale_f32 v6, s[14:15], v33, v33, v4
	v_rcp_f32_e32 v9, v6
	v_div_fmas_f32 v1, v1, v7, v8
	v_div_fixup_f32 v5, v1, v33, v5
	v_fma_f32 v1, -v6, v9, 1.0
	v_fmac_f32_e32 v9, v1, v9
	v_div_scale_f32 v1, vcc, v4, v33, v4
	v_mul_f32_e32 v7, v1, v9
	v_fma_f32 v8, -v6, v7, v1
	v_fmac_f32_e32 v7, v8, v9
	v_fma_f32 v1, -v6, v7, v1
	v_div_fmas_f32 v1, v1, v9, v7
	v_div_fixup_f32 v4, v1, v33, v4
	v_mov_b32_e32 v1, 0
	global_store_dwordx2 v[2:3], v[4:5], off
.LBB0_106:                              ;   in Loop: Header=BB0_14 Depth=1
	s_or_b64 exec, exec, s[12:13]
	s_movk_i32 s12, 0x47
	v_cmp_gt_i32_e32 vcc, s12, v1
	s_mov_b64 s[12:13], -1
	s_and_saveexec_b64 s[14:15], vcc
; %bb.107:                              ;   in Loop: Header=BB0_14 Depth=1
	v_cmp_eq_u32_e32 vcc, 0, v1
	s_orn2_b64 s[12:13], vcc, exec
; %bb.108:                              ;   in Loop: Header=BB0_14 Depth=1
	s_or_b64 exec, exec, s[14:15]
	s_and_b64 exec, exec, s[12:13]
	s_cbranch_execz .LBB0_12
; %bb.109:                              ;   in Loop: Header=BB0_14 Depth=1
	v_add_u32_e32 v2, s78, v62
	v_cmp_gt_i32_e32 vcc, s20, v2
	s_and_b64 s[14:15], vcc, s[8:9]
	v_mov_b32_e32 v1, 0x47
	s_and_saveexec_b64 s[12:13], s[14:15]
	s_cbranch_execz .LBB0_111
; %bb.110:                              ;   in Loop: Header=BB0_14 Depth=1
	ds_read2st64_b32 v[4:5], v64 offset1:9
	v_add_u32_e32 v1, 0, v63
	v_mad_u64_u32 v[2:3], s[14:15], v2, s21, v[26:27]
	v_add_u32_e32 v3, 0x80, v1
	ds_read2st64_b32 v[6:7], v3 offset0:9 offset1:18
	ds_read2st64_b32 v[8:9], v64 offset0:18 offset1:27
	ds_read2_b32 v[32:33], v1 offset0:32 offset1:33
	ds_read_b32 v34, v1 offset:7040
	s_waitcnt lgkmcnt(4)
	v_cvt_f32_f16_sdwa v37, v4 dst_sel:DWORD dst_unused:UNUSED_PAD src0_sel:WORD_1
	v_cvt_f32_f16_e32 v36, v4
	v_cvt_f32_f16_sdwa v105, v5 dst_sel:DWORD dst_unused:UNUSED_PAD src0_sel:WORD_1
	v_cvt_f32_f16_e32 v104, v5
	s_waitcnt lgkmcnt(2)
	v_cvt_f32_f16_sdwa v5, v8 dst_sel:DWORD dst_unused:UNUSED_PAD src0_sel:WORD_1
	v_cvt_f32_f16_e32 v4, v8
	v_cvt_f32_f16_sdwa v107, v9 dst_sel:DWORD dst_unused:UNUSED_PAD src0_sel:WORD_1
	v_cvt_f32_f16_e32 v106, v9
	s_waitcnt lgkmcnt(1)
	v_pk_fma_f32 v[36:37], v[32:33], v[36:37], 0 op_sel_hi:[0,1,0]
	v_pk_fma_f32 v[8:9], v[6:7], v[104:105], v[36:37] op_sel_hi:[0,1,1]
	v_mov_b32_e32 v6, v7
	v_pk_fma_f32 v[4:5], v[6:7], v[4:5], v[8:9] op_sel_hi:[0,1,1]
	s_waitcnt lgkmcnt(0)
	v_pk_fma_f32 v[4:5], v[34:35], v[106:107], v[4:5] op_sel_hi:[0,1,1]
	v_div_scale_f32 v6, s[14:15], v33, v33, v5
	v_lshl_or_b32 v2, v2, 5, v10
	v_rcp_f32_e32 v7, v6
	v_ashrrev_i32_e32 v3, 31, v2
	v_lshlrev_b64 v[2:3], 3, v[2:3]
	v_mov_b32_e32 v1, s6
	v_add_co_u32_e32 v2, vcc, s7, v2
	v_addc_co_u32_e32 v3, vcc, v1, v3, vcc
	v_fma_f32 v1, -v6, v7, 1.0
	v_fmac_f32_e32 v7, v1, v7
	v_div_scale_f32 v1, vcc, v5, v33, v5
	v_mul_f32_e32 v8, v1, v7
	v_fma_f32 v9, -v6, v8, v1
	v_fmac_f32_e32 v8, v9, v7
	v_fma_f32 v1, -v6, v8, v1
	v_div_scale_f32 v6, s[14:15], v33, v33, v4
	v_rcp_f32_e32 v9, v6
	v_div_fmas_f32 v1, v1, v7, v8
	v_div_fixup_f32 v5, v1, v33, v5
	v_fma_f32 v1, -v6, v9, 1.0
	v_fmac_f32_e32 v9, v1, v9
	v_div_scale_f32 v1, vcc, v4, v33, v4
	v_mul_f32_e32 v7, v1, v9
	v_fma_f32 v8, -v6, v7, v1
	v_fmac_f32_e32 v7, v8, v9
	v_fma_f32 v1, -v6, v7, v1
	v_div_fmas_f32 v1, v1, v9, v7
	v_div_fixup_f32 v4, v1, v33, v4
	v_mov_b32_e32 v1, 0
	global_store_dwordx2 v[2:3], v[4:5], off
.LBB0_111:                              ;   in Loop: Header=BB0_14 Depth=1
	s_or_b64 exec, exec, s[12:13]
	s_movk_i32 s12, 0x47
	v_cmp_gt_i32_e32 vcc, s12, v1
	s_mov_b64 s[12:13], -1
	s_and_saveexec_b64 s[14:15], vcc
; %bb.112:                              ;   in Loop: Header=BB0_14 Depth=1
	v_cmp_eq_u32_e32 vcc, 0, v1
	s_orn2_b64 s[12:13], vcc, exec
; %bb.113:                              ;   in Loop: Header=BB0_14 Depth=1
	s_or_b64 exec, exec, s[14:15]
	s_and_b64 exec, exec, s[12:13]
	s_cbranch_execz .LBB0_12
; %bb.114:                              ;   in Loop: Header=BB0_14 Depth=1
	v_add_u32_e32 v2, s78, v65
	v_cmp_gt_i32_e32 vcc, s20, v2
	s_and_b64 s[14:15], vcc, s[8:9]
	v_mov_b32_e32 v1, 0x47
	s_and_saveexec_b64 s[12:13], s[14:15]
	s_cbranch_execz .LBB0_116
; %bb.115:                              ;   in Loop: Header=BB0_14 Depth=1
	ds_read2st64_b32 v[4:5], v67 offset1:9
	v_add_u32_e32 v1, 0, v66
	v_mad_u64_u32 v[2:3], s[14:15], v2, s21, v[26:27]
	v_add_u32_e32 v3, 0x80, v1
	ds_read2st64_b32 v[6:7], v3 offset0:9 offset1:18
	ds_read2st64_b32 v[8:9], v67 offset0:18 offset1:27
	ds_read2_b32 v[32:33], v1 offset0:32 offset1:33
	ds_read_b32 v34, v1 offset:7040
	s_waitcnt lgkmcnt(4)
	v_cvt_f32_f16_sdwa v37, v4 dst_sel:DWORD dst_unused:UNUSED_PAD src0_sel:WORD_1
	v_cvt_f32_f16_e32 v36, v4
	v_cvt_f32_f16_sdwa v105, v5 dst_sel:DWORD dst_unused:UNUSED_PAD src0_sel:WORD_1
	v_cvt_f32_f16_e32 v104, v5
	s_waitcnt lgkmcnt(2)
	v_cvt_f32_f16_sdwa v5, v8 dst_sel:DWORD dst_unused:UNUSED_PAD src0_sel:WORD_1
	v_cvt_f32_f16_e32 v4, v8
	v_cvt_f32_f16_sdwa v107, v9 dst_sel:DWORD dst_unused:UNUSED_PAD src0_sel:WORD_1
	v_cvt_f32_f16_e32 v106, v9
	s_waitcnt lgkmcnt(1)
	v_pk_fma_f32 v[36:37], v[32:33], v[36:37], 0 op_sel_hi:[0,1,0]
	v_pk_fma_f32 v[8:9], v[6:7], v[104:105], v[36:37] op_sel_hi:[0,1,1]
	v_mov_b32_e32 v6, v7
	v_pk_fma_f32 v[4:5], v[6:7], v[4:5], v[8:9] op_sel_hi:[0,1,1]
	s_waitcnt lgkmcnt(0)
	v_pk_fma_f32 v[4:5], v[34:35], v[106:107], v[4:5] op_sel_hi:[0,1,1]
	v_div_scale_f32 v6, s[14:15], v33, v33, v5
	v_lshl_or_b32 v2, v2, 5, v10
	v_rcp_f32_e32 v7, v6
	v_ashrrev_i32_e32 v3, 31, v2
	v_lshlrev_b64 v[2:3], 3, v[2:3]
	v_mov_b32_e32 v1, s6
	v_add_co_u32_e32 v2, vcc, s7, v2
	v_addc_co_u32_e32 v3, vcc, v1, v3, vcc
	v_fma_f32 v1, -v6, v7, 1.0
	v_fmac_f32_e32 v7, v1, v7
	v_div_scale_f32 v1, vcc, v5, v33, v5
	v_mul_f32_e32 v8, v1, v7
	v_fma_f32 v9, -v6, v8, v1
	v_fmac_f32_e32 v8, v9, v7
	v_fma_f32 v1, -v6, v8, v1
	v_div_scale_f32 v6, s[14:15], v33, v33, v4
	v_rcp_f32_e32 v9, v6
	v_div_fmas_f32 v1, v1, v7, v8
	v_div_fixup_f32 v5, v1, v33, v5
	v_fma_f32 v1, -v6, v9, 1.0
	v_fmac_f32_e32 v9, v1, v9
	v_div_scale_f32 v1, vcc, v4, v33, v4
	v_mul_f32_e32 v7, v1, v9
	v_fma_f32 v8, -v6, v7, v1
	v_fmac_f32_e32 v7, v8, v9
	v_fma_f32 v1, -v6, v7, v1
	v_div_fmas_f32 v1, v1, v9, v7
	v_div_fixup_f32 v4, v1, v33, v4
	v_mov_b32_e32 v1, 0
	global_store_dwordx2 v[2:3], v[4:5], off
.LBB0_116:                              ;   in Loop: Header=BB0_14 Depth=1
	s_or_b64 exec, exec, s[12:13]
	s_movk_i32 s12, 0x47
	v_cmp_gt_i32_e32 vcc, s12, v1
	s_mov_b64 s[12:13], -1
	s_and_saveexec_b64 s[14:15], vcc
; %bb.117:                              ;   in Loop: Header=BB0_14 Depth=1
	v_cmp_eq_u32_e32 vcc, 0, v1
	s_orn2_b64 s[12:13], vcc, exec
; %bb.118:                              ;   in Loop: Header=BB0_14 Depth=1
	s_or_b64 exec, exec, s[14:15]
	s_and_b64 exec, exec, s[12:13]
	s_cbranch_execz .LBB0_12
; %bb.119:                              ;   in Loop: Header=BB0_14 Depth=1
	v_add_u32_e32 v2, s78, v68
	v_cmp_gt_i32_e32 vcc, s20, v2
	s_and_b64 s[14:15], vcc, s[8:9]
	v_mov_b32_e32 v1, 0x47
	s_and_saveexec_b64 s[12:13], s[14:15]
	s_cbranch_execz .LBB0_121
; %bb.120:                              ;   in Loop: Header=BB0_14 Depth=1
	ds_read2st64_b32 v[4:5], v71 offset1:9
	v_add_u32_e32 v1, 0, v70
	v_mad_u64_u32 v[2:3], s[14:15], v2, s21, v[26:27]
	v_add_u32_e32 v3, 0x80, v1
	ds_read2st64_b32 v[6:7], v3 offset0:9 offset1:18
	ds_read2st64_b32 v[8:9], v71 offset0:18 offset1:27
	ds_read2_b32 v[32:33], v1 offset0:32 offset1:33
	ds_read_b32 v34, v1 offset:7040
	s_waitcnt lgkmcnt(4)
	v_cvt_f32_f16_sdwa v37, v4 dst_sel:DWORD dst_unused:UNUSED_PAD src0_sel:WORD_1
	v_cvt_f32_f16_e32 v36, v4
	v_cvt_f32_f16_sdwa v105, v5 dst_sel:DWORD dst_unused:UNUSED_PAD src0_sel:WORD_1
	v_cvt_f32_f16_e32 v104, v5
	s_waitcnt lgkmcnt(2)
	v_cvt_f32_f16_sdwa v5, v8 dst_sel:DWORD dst_unused:UNUSED_PAD src0_sel:WORD_1
	v_cvt_f32_f16_e32 v4, v8
	v_cvt_f32_f16_sdwa v107, v9 dst_sel:DWORD dst_unused:UNUSED_PAD src0_sel:WORD_1
	v_cvt_f32_f16_e32 v106, v9
	s_waitcnt lgkmcnt(1)
	v_pk_fma_f32 v[36:37], v[32:33], v[36:37], 0 op_sel_hi:[0,1,0]
	v_pk_fma_f32 v[8:9], v[6:7], v[104:105], v[36:37] op_sel_hi:[0,1,1]
	v_mov_b32_e32 v6, v7
	v_pk_fma_f32 v[4:5], v[6:7], v[4:5], v[8:9] op_sel_hi:[0,1,1]
	s_waitcnt lgkmcnt(0)
	v_pk_fma_f32 v[4:5], v[34:35], v[106:107], v[4:5] op_sel_hi:[0,1,1]
	v_div_scale_f32 v6, s[14:15], v33, v33, v5
	v_lshl_or_b32 v2, v2, 5, v10
	v_rcp_f32_e32 v7, v6
	v_ashrrev_i32_e32 v3, 31, v2
	v_lshlrev_b64 v[2:3], 3, v[2:3]
	v_mov_b32_e32 v1, s6
	v_add_co_u32_e32 v2, vcc, s7, v2
	v_addc_co_u32_e32 v3, vcc, v1, v3, vcc
	v_fma_f32 v1, -v6, v7, 1.0
	v_fmac_f32_e32 v7, v1, v7
	v_div_scale_f32 v1, vcc, v5, v33, v5
	v_mul_f32_e32 v8, v1, v7
	v_fma_f32 v9, -v6, v8, v1
	v_fmac_f32_e32 v8, v9, v7
	v_fma_f32 v1, -v6, v8, v1
	v_div_scale_f32 v6, s[14:15], v33, v33, v4
	v_rcp_f32_e32 v9, v6
	v_div_fmas_f32 v1, v1, v7, v8
	v_div_fixup_f32 v5, v1, v33, v5
	v_fma_f32 v1, -v6, v9, 1.0
	v_fmac_f32_e32 v9, v1, v9
	v_div_scale_f32 v1, vcc, v4, v33, v4
	v_mul_f32_e32 v7, v1, v9
	v_fma_f32 v8, -v6, v7, v1
	v_fmac_f32_e32 v7, v8, v9
	v_fma_f32 v1, -v6, v7, v1
	v_div_fmas_f32 v1, v1, v9, v7
	v_div_fixup_f32 v4, v1, v33, v4
	v_mov_b32_e32 v1, 0
	global_store_dwordx2 v[2:3], v[4:5], off
.LBB0_121:                              ;   in Loop: Header=BB0_14 Depth=1
	s_or_b64 exec, exec, s[12:13]
	s_movk_i32 s12, 0x47
	v_cmp_gt_i32_e32 vcc, s12, v1
	s_mov_b64 s[12:13], -1
	s_and_saveexec_b64 s[14:15], vcc
; %bb.122:                              ;   in Loop: Header=BB0_14 Depth=1
	v_cmp_eq_u32_e32 vcc, 0, v1
	s_orn2_b64 s[12:13], vcc, exec
; %bb.123:                              ;   in Loop: Header=BB0_14 Depth=1
	s_or_b64 exec, exec, s[14:15]
	s_and_b64 exec, exec, s[12:13]
	s_cbranch_execz .LBB0_12
; %bb.124:                              ;   in Loop: Header=BB0_14 Depth=1
	v_add_u32_e32 v2, s78, v72
	v_cmp_gt_i32_e32 vcc, s20, v2
	s_and_b64 s[14:15], vcc, s[8:9]
	v_mov_b32_e32 v1, 0x47
	s_and_saveexec_b64 s[12:13], s[14:15]
	s_cbranch_execz .LBB0_126
; %bb.125:                              ;   in Loop: Header=BB0_14 Depth=1
	ds_read2st64_b32 v[4:5], v75 offset1:9
	v_add_u32_e32 v1, 0, v74
	v_mad_u64_u32 v[2:3], s[14:15], v2, s21, v[26:27]
	v_add_u32_e32 v3, 0x80, v1
	ds_read2st64_b32 v[6:7], v3 offset0:9 offset1:18
	ds_read2st64_b32 v[8:9], v75 offset0:18 offset1:27
	ds_read2_b32 v[32:33], v1 offset0:32 offset1:33
	ds_read_b32 v34, v1 offset:7040
	s_waitcnt lgkmcnt(4)
	v_cvt_f32_f16_sdwa v37, v4 dst_sel:DWORD dst_unused:UNUSED_PAD src0_sel:WORD_1
	v_cvt_f32_f16_e32 v36, v4
	v_cvt_f32_f16_sdwa v105, v5 dst_sel:DWORD dst_unused:UNUSED_PAD src0_sel:WORD_1
	v_cvt_f32_f16_e32 v104, v5
	s_waitcnt lgkmcnt(2)
	v_cvt_f32_f16_sdwa v5, v8 dst_sel:DWORD dst_unused:UNUSED_PAD src0_sel:WORD_1
	v_cvt_f32_f16_e32 v4, v8
	v_cvt_f32_f16_sdwa v107, v9 dst_sel:DWORD dst_unused:UNUSED_PAD src0_sel:WORD_1
	v_cvt_f32_f16_e32 v106, v9
	s_waitcnt lgkmcnt(1)
	v_pk_fma_f32 v[36:37], v[32:33], v[36:37], 0 op_sel_hi:[0,1,0]
	v_pk_fma_f32 v[8:9], v[6:7], v[104:105], v[36:37] op_sel_hi:[0,1,1]
	v_mov_b32_e32 v6, v7
	v_pk_fma_f32 v[4:5], v[6:7], v[4:5], v[8:9] op_sel_hi:[0,1,1]
	s_waitcnt lgkmcnt(0)
	v_pk_fma_f32 v[4:5], v[34:35], v[106:107], v[4:5] op_sel_hi:[0,1,1]
	v_div_scale_f32 v6, s[14:15], v33, v33, v5
	v_lshl_or_b32 v2, v2, 5, v10
	v_rcp_f32_e32 v7, v6
	v_ashrrev_i32_e32 v3, 31, v2
	v_lshlrev_b64 v[2:3], 3, v[2:3]
	v_mov_b32_e32 v1, s6
	v_add_co_u32_e32 v2, vcc, s7, v2
	v_addc_co_u32_e32 v3, vcc, v1, v3, vcc
	v_fma_f32 v1, -v6, v7, 1.0
	v_fmac_f32_e32 v7, v1, v7
	v_div_scale_f32 v1, vcc, v5, v33, v5
	v_mul_f32_e32 v8, v1, v7
	v_fma_f32 v9, -v6, v8, v1
	v_fmac_f32_e32 v8, v9, v7
	v_fma_f32 v1, -v6, v8, v1
	v_div_scale_f32 v6, s[14:15], v33, v33, v4
	v_rcp_f32_e32 v9, v6
	v_div_fmas_f32 v1, v1, v7, v8
	v_div_fixup_f32 v5, v1, v33, v5
	v_fma_f32 v1, -v6, v9, 1.0
	v_fmac_f32_e32 v9, v1, v9
	v_div_scale_f32 v1, vcc, v4, v33, v4
	v_mul_f32_e32 v7, v1, v9
	v_fma_f32 v8, -v6, v7, v1
	v_fmac_f32_e32 v7, v8, v9
	v_fma_f32 v1, -v6, v7, v1
	v_div_fmas_f32 v1, v1, v9, v7
	v_div_fixup_f32 v4, v1, v33, v4
	v_mov_b32_e32 v1, 0
	global_store_dwordx2 v[2:3], v[4:5], off
.LBB0_126:                              ;   in Loop: Header=BB0_14 Depth=1
	s_or_b64 exec, exec, s[12:13]
	s_movk_i32 s12, 0x47
	v_cmp_gt_i32_e32 vcc, s12, v1
	s_mov_b64 s[12:13], -1
	s_and_saveexec_b64 s[14:15], vcc
; %bb.127:                              ;   in Loop: Header=BB0_14 Depth=1
	v_cmp_eq_u32_e32 vcc, 0, v1
	s_orn2_b64 s[12:13], vcc, exec
; %bb.128:                              ;   in Loop: Header=BB0_14 Depth=1
	s_or_b64 exec, exec, s[14:15]
	s_and_b64 exec, exec, s[12:13]
	s_cbranch_execz .LBB0_12
; %bb.129:                              ;   in Loop: Header=BB0_14 Depth=1
	v_add_u32_e32 v2, s78, v76
	v_cmp_gt_i32_e32 vcc, s20, v2
	s_and_b64 s[14:15], vcc, s[8:9]
	v_mov_b32_e32 v1, 0x47
	s_and_saveexec_b64 s[12:13], s[14:15]
	s_cbranch_execz .LBB0_131
; %bb.130:                              ;   in Loop: Header=BB0_14 Depth=1
	ds_read2st64_b32 v[4:5], v78 offset1:9
	v_add_u32_e32 v1, 0, v77
	v_mad_u64_u32 v[2:3], s[14:15], v2, s21, v[26:27]
	v_add_u32_e32 v3, 0x80, v1
	ds_read2st64_b32 v[6:7], v3 offset0:9 offset1:18
	ds_read2st64_b32 v[8:9], v78 offset0:18 offset1:27
	ds_read2_b32 v[32:33], v1 offset0:32 offset1:33
	ds_read_b32 v34, v1 offset:7040
	s_waitcnt lgkmcnt(4)
	v_cvt_f32_f16_sdwa v37, v4 dst_sel:DWORD dst_unused:UNUSED_PAD src0_sel:WORD_1
	v_cvt_f32_f16_e32 v36, v4
	v_cvt_f32_f16_sdwa v105, v5 dst_sel:DWORD dst_unused:UNUSED_PAD src0_sel:WORD_1
	v_cvt_f32_f16_e32 v104, v5
	s_waitcnt lgkmcnt(2)
	v_cvt_f32_f16_sdwa v5, v8 dst_sel:DWORD dst_unused:UNUSED_PAD src0_sel:WORD_1
	v_cvt_f32_f16_e32 v4, v8
	v_cvt_f32_f16_sdwa v107, v9 dst_sel:DWORD dst_unused:UNUSED_PAD src0_sel:WORD_1
	v_cvt_f32_f16_e32 v106, v9
	s_waitcnt lgkmcnt(1)
	v_pk_fma_f32 v[36:37], v[32:33], v[36:37], 0 op_sel_hi:[0,1,0]
	v_pk_fma_f32 v[8:9], v[6:7], v[104:105], v[36:37] op_sel_hi:[0,1,1]
	v_mov_b32_e32 v6, v7
	v_pk_fma_f32 v[4:5], v[6:7], v[4:5], v[8:9] op_sel_hi:[0,1,1]
	s_waitcnt lgkmcnt(0)
	v_pk_fma_f32 v[4:5], v[34:35], v[106:107], v[4:5] op_sel_hi:[0,1,1]
	v_div_scale_f32 v6, s[14:15], v33, v33, v5
	v_lshl_or_b32 v2, v2, 5, v10
	v_rcp_f32_e32 v7, v6
	v_ashrrev_i32_e32 v3, 31, v2
	v_lshlrev_b64 v[2:3], 3, v[2:3]
	v_mov_b32_e32 v1, s6
	v_add_co_u32_e32 v2, vcc, s7, v2
	v_addc_co_u32_e32 v3, vcc, v1, v3, vcc
	v_fma_f32 v1, -v6, v7, 1.0
	v_fmac_f32_e32 v7, v1, v7
	v_div_scale_f32 v1, vcc, v5, v33, v5
	v_mul_f32_e32 v8, v1, v7
	v_fma_f32 v9, -v6, v8, v1
	v_fmac_f32_e32 v8, v9, v7
	v_fma_f32 v1, -v6, v8, v1
	v_div_scale_f32 v6, s[14:15], v33, v33, v4
	v_rcp_f32_e32 v9, v6
	v_div_fmas_f32 v1, v1, v7, v8
	v_div_fixup_f32 v5, v1, v33, v5
	v_fma_f32 v1, -v6, v9, 1.0
	v_fmac_f32_e32 v9, v1, v9
	v_div_scale_f32 v1, vcc, v4, v33, v4
	v_mul_f32_e32 v7, v1, v9
	v_fma_f32 v8, -v6, v7, v1
	v_fmac_f32_e32 v7, v8, v9
	v_fma_f32 v1, -v6, v7, v1
	v_div_fmas_f32 v1, v1, v9, v7
	v_div_fixup_f32 v4, v1, v33, v4
	v_mov_b32_e32 v1, 0
	global_store_dwordx2 v[2:3], v[4:5], off
.LBB0_131:                              ;   in Loop: Header=BB0_14 Depth=1
	s_or_b64 exec, exec, s[12:13]
	s_movk_i32 s12, 0x47
	v_cmp_gt_i32_e32 vcc, s12, v1
	s_mov_b64 s[12:13], -1
	s_and_saveexec_b64 s[14:15], vcc
; %bb.132:                              ;   in Loop: Header=BB0_14 Depth=1
	v_cmp_eq_u32_e32 vcc, 0, v1
	s_orn2_b64 s[12:13], vcc, exec
; %bb.133:                              ;   in Loop: Header=BB0_14 Depth=1
	s_or_b64 exec, exec, s[14:15]
	s_and_b64 exec, exec, s[12:13]
	s_cbranch_execz .LBB0_12
; %bb.134:                              ;   in Loop: Header=BB0_14 Depth=1
	v_add_u32_e32 v2, s78, v79
	v_cmp_gt_i32_e32 vcc, s20, v2
	s_and_b64 s[14:15], vcc, s[8:9]
	v_mov_b32_e32 v1, 0x47
	s_and_saveexec_b64 s[12:13], s[14:15]
	s_cbranch_execz .LBB0_136
; %bb.135:                              ;   in Loop: Header=BB0_14 Depth=1
	ds_read2st64_b32 v[4:5], v81 offset1:9
	v_add_u32_e32 v1, 0, v80
	v_mad_u64_u32 v[2:3], s[14:15], v2, s21, v[26:27]
	v_add_u32_e32 v3, 0x80, v1
	ds_read2st64_b32 v[6:7], v3 offset0:9 offset1:18
	ds_read2st64_b32 v[8:9], v81 offset0:18 offset1:27
	ds_read2_b32 v[32:33], v1 offset0:32 offset1:33
	ds_read_b32 v34, v1 offset:7040
	s_waitcnt lgkmcnt(4)
	v_cvt_f32_f16_sdwa v37, v4 dst_sel:DWORD dst_unused:UNUSED_PAD src0_sel:WORD_1
	v_cvt_f32_f16_e32 v36, v4
	v_cvt_f32_f16_sdwa v105, v5 dst_sel:DWORD dst_unused:UNUSED_PAD src0_sel:WORD_1
	v_cvt_f32_f16_e32 v104, v5
	s_waitcnt lgkmcnt(2)
	v_cvt_f32_f16_sdwa v5, v8 dst_sel:DWORD dst_unused:UNUSED_PAD src0_sel:WORD_1
	v_cvt_f32_f16_e32 v4, v8
	v_cvt_f32_f16_sdwa v107, v9 dst_sel:DWORD dst_unused:UNUSED_PAD src0_sel:WORD_1
	v_cvt_f32_f16_e32 v106, v9
	s_waitcnt lgkmcnt(1)
	v_pk_fma_f32 v[36:37], v[32:33], v[36:37], 0 op_sel_hi:[0,1,0]
	v_pk_fma_f32 v[8:9], v[6:7], v[104:105], v[36:37] op_sel_hi:[0,1,1]
	v_mov_b32_e32 v6, v7
	v_pk_fma_f32 v[4:5], v[6:7], v[4:5], v[8:9] op_sel_hi:[0,1,1]
	s_waitcnt lgkmcnt(0)
	v_pk_fma_f32 v[4:5], v[34:35], v[106:107], v[4:5] op_sel_hi:[0,1,1]
	v_div_scale_f32 v6, s[14:15], v33, v33, v5
	v_lshl_or_b32 v2, v2, 5, v10
	v_rcp_f32_e32 v7, v6
	v_ashrrev_i32_e32 v3, 31, v2
	v_lshlrev_b64 v[2:3], 3, v[2:3]
	v_mov_b32_e32 v1, s6
	v_add_co_u32_e32 v2, vcc, s7, v2
	v_addc_co_u32_e32 v3, vcc, v1, v3, vcc
	v_fma_f32 v1, -v6, v7, 1.0
	v_fmac_f32_e32 v7, v1, v7
	v_div_scale_f32 v1, vcc, v5, v33, v5
	v_mul_f32_e32 v8, v1, v7
	v_fma_f32 v9, -v6, v8, v1
	v_fmac_f32_e32 v8, v9, v7
	v_fma_f32 v1, -v6, v8, v1
	v_div_scale_f32 v6, s[14:15], v33, v33, v4
	v_rcp_f32_e32 v9, v6
	v_div_fmas_f32 v1, v1, v7, v8
	v_div_fixup_f32 v5, v1, v33, v5
	v_fma_f32 v1, -v6, v9, 1.0
	v_fmac_f32_e32 v9, v1, v9
	v_div_scale_f32 v1, vcc, v4, v33, v4
	v_mul_f32_e32 v7, v1, v9
	v_fma_f32 v8, -v6, v7, v1
	v_fmac_f32_e32 v7, v8, v9
	v_fma_f32 v1, -v6, v7, v1
	v_div_fmas_f32 v1, v1, v9, v7
	v_div_fixup_f32 v4, v1, v33, v4
	v_mov_b32_e32 v1, 0
	global_store_dwordx2 v[2:3], v[4:5], off
.LBB0_136:                              ;   in Loop: Header=BB0_14 Depth=1
	s_or_b64 exec, exec, s[12:13]
	s_movk_i32 s12, 0x47
	v_cmp_gt_i32_e32 vcc, s12, v1
	s_mov_b64 s[12:13], -1
	s_and_saveexec_b64 s[14:15], vcc
; %bb.137:                              ;   in Loop: Header=BB0_14 Depth=1
	v_cmp_eq_u32_e32 vcc, 0, v1
	s_orn2_b64 s[12:13], vcc, exec
; %bb.138:                              ;   in Loop: Header=BB0_14 Depth=1
	s_or_b64 exec, exec, s[14:15]
	s_and_b64 exec, exec, s[12:13]
	s_cbranch_execz .LBB0_12
; %bb.139:                              ;   in Loop: Header=BB0_14 Depth=1
	v_add_u32_e32 v1, s78, v82
	v_cmp_gt_i32_e32 vcc, s20, v1
	s_and_b64 s[8:9], vcc, s[8:9]
	s_and_b64 exec, exec, s[8:9]
	s_cbranch_execz .LBB0_12
; %bb.140:                              ;   in Loop: Header=BB0_14 Depth=1
	ds_read2st64_b32 v[4:5], v84 offset1:9
	v_add_u32_e32 v11, 0, v83
	v_mad_u64_u32 v[2:3], s[8:9], v1, s21, v[26:27]
	v_add_u32_e32 v1, 0x80, v11
	ds_read2st64_b32 v[6:7], v1 offset0:9 offset1:18
	ds_read2st64_b32 v[8:9], v84 offset0:18 offset1:27
	ds_read2_b32 v[32:33], v11 offset0:32 offset1:33
	ds_read_b32 v34, v11 offset:7040
	s_waitcnt lgkmcnt(4)
	v_cvt_f32_f16_sdwa v37, v4 dst_sel:DWORD dst_unused:UNUSED_PAD src0_sel:WORD_1
	v_cvt_f32_f16_e32 v36, v4
	v_cvt_f32_f16_sdwa v105, v5 dst_sel:DWORD dst_unused:UNUSED_PAD src0_sel:WORD_1
	v_cvt_f32_f16_e32 v104, v5
	s_waitcnt lgkmcnt(2)
	v_cvt_f32_f16_sdwa v5, v8 dst_sel:DWORD dst_unused:UNUSED_PAD src0_sel:WORD_1
	v_cvt_f32_f16_e32 v4, v8
	v_cvt_f32_f16_sdwa v107, v9 dst_sel:DWORD dst_unused:UNUSED_PAD src0_sel:WORD_1
	v_cvt_f32_f16_e32 v106, v9
	s_waitcnt lgkmcnt(1)
	v_pk_fma_f32 v[36:37], v[32:33], v[36:37], 0 op_sel_hi:[0,1,0]
	v_pk_fma_f32 v[8:9], v[6:7], v[104:105], v[36:37] op_sel_hi:[0,1,1]
	v_mov_b32_e32 v6, v7
	v_pk_fma_f32 v[4:5], v[6:7], v[4:5], v[8:9] op_sel_hi:[0,1,1]
	s_waitcnt lgkmcnt(0)
	v_pk_fma_f32 v[4:5], v[34:35], v[106:107], v[4:5] op_sel_hi:[0,1,1]
	v_div_scale_f32 v6, s[8:9], v33, v33, v5
	v_lshl_or_b32 v2, v2, 5, v10
	v_rcp_f32_e32 v7, v6
	v_ashrrev_i32_e32 v3, 31, v2
	v_lshlrev_b64 v[2:3], 3, v[2:3]
	v_mov_b32_e32 v1, s6
	v_add_co_u32_e32 v2, vcc, s7, v2
	v_addc_co_u32_e32 v3, vcc, v1, v3, vcc
	v_fma_f32 v1, -v6, v7, 1.0
	v_fmac_f32_e32 v7, v1, v7
	v_div_scale_f32 v1, vcc, v5, v33, v5
	v_mul_f32_e32 v8, v1, v7
	v_fma_f32 v9, -v6, v8, v1
	v_fmac_f32_e32 v8, v9, v7
	v_fma_f32 v1, -v6, v8, v1
	v_div_scale_f32 v6, s[6:7], v33, v33, v4
	v_rcp_f32_e32 v9, v6
	v_div_fmas_f32 v1, v1, v7, v8
	v_div_fixup_f32 v5, v1, v33, v5
	v_fma_f32 v1, -v6, v9, 1.0
	v_fmac_f32_e32 v9, v1, v9
	v_div_scale_f32 v1, vcc, v4, v33, v4
	v_mul_f32_e32 v7, v1, v9
	v_fma_f32 v8, -v6, v7, v1
	v_fmac_f32_e32 v7, v8, v9
	v_fma_f32 v1, -v6, v7, v1
	v_div_fmas_f32 v1, v1, v9, v7
	v_div_fixup_f32 v4, v1, v33, v4
	global_store_dwordx2 v[2:3], v[4:5], off
	s_branch .LBB0_12
.LBB0_141:
	v_readlane_b32 s34, v147, 14
	v_readlane_b32 s29, v147, 9
	;; [unrolled: 1-line block ×5, first 2 shown]
	s_andn2_b64 vcc, exec, s[8:9]
	s_cbranch_vccnz .LBB0_10
.LBB0_142:
	v_readlane_b32 s6, v147, 3
	s_abs_i32 s0, s6
	v_cvt_f32_u32_e32 v1, s0
	s_sub_i32 s3, 0, s0
	s_abs_i32 s2, s58
	s_xor_b32 s1, s58, s6
	v_rcp_iflag_f32_e32 v1, v1
	s_ashr_i32 s1, s1, 31
	v_readlane_b32 s8, v147, 2
	v_readlane_b32 s9, v147, 1
	v_mul_f32_e32 v1, 0x4f7ffffe, v1
	v_cvt_u32_f32_e32 v1, v1
	v_mov_b32_e32 v8, s63
	v_readfirstlane_b32 s4, v1
	s_mul_i32 s3, s3, s4
	s_mul_hi_u32 s3, s4, s3
	s_add_i32 s4, s4, s3
	s_mul_hi_u32 s3, s2, s4
	s_mul_i32 s4, s3, s0
	s_sub_i32 s2, s2, s4
	s_add_i32 s5, s3, 1
	s_sub_i32 s4, s2, s0
	s_cmp_ge_u32 s2, s0
	s_cselect_b32 s3, s5, s3
	s_cselect_b32 s2, s4, s2
	s_add_i32 s4, s3, 1
	s_cmp_ge_u32 s2, s0
	s_cselect_b32 s0, s4, s3
	s_abs_i32 s2, s8
	v_cvt_f32_u32_e32 v1, s2
	s_xor_b32 s0, s0, s1
	s_sub_i32 s4, s0, s1
	s_sub_i32 s3, 0, s2
	v_rcp_iflag_f32_e32 v1, v1
	s_mul_i32 s0, s4, s6
	s_sub_i32 s0, s58, s0
	s_abs_i32 s5, s0
	v_mul_f32_e32 v1, 0x4f7ffffe, v1
	v_cvt_u32_f32_e32 v1, v1
	s_xor_b32 s1, s0, s8
	s_ashr_i32 s1, s1, 31
	v_readfirstlane_b32 s6, v1
	s_mul_i32 s3, s3, s6
	s_mul_hi_u32 s3, s6, s3
	s_add_i32 s6, s6, s3
	s_mul_hi_u32 s3, s5, s6
	s_mul_i32 s6, s3, s2
	s_sub_i32 s5, s5, s6
	s_add_i32 s7, s3, 1
	s_sub_i32 s6, s5, s2
	s_cmp_ge_u32 s5, s2
	s_cselect_b32 s3, s7, s3
	s_cselect_b32 s5, s6, s5
	s_add_i32 s6, s3, 1
	s_cmp_ge_u32 s5, s2
	s_cselect_b32 s2, s6, s3
	s_abs_i32 s3, s9
	v_cvt_f32_u32_e32 v1, s3
	s_xor_b32 s2, s2, s1
	s_sub_i32 s6, 0, s3
	s_sub_i32 s5, s2, s1
	v_rcp_iflag_f32_e32 v1, v1
	s_mul_i32 s1, s5, s8
	s_sub_i32 s1, s0, s1
	s_abs_i32 s2, s1
	v_mul_f32_e32 v1, 0x4f7ffffe, v1
	v_cvt_u32_f32_e32 v1, v1
	s_xor_b32 s0, s1, s9
	s_ashr_i32 s0, s0, 31
	v_readfirstlane_b32 s7, v1
	s_mul_i32 s6, s6, s7
	s_mul_hi_u32 s6, s7, s6
	s_add_i32 s7, s7, s6
	s_mul_hi_u32 s6, s2, s7
	s_mul_i32 s7, s6, s3
	s_sub_i32 s2, s2, s7
	s_add_i32 s8, s6, 1
	s_sub_i32 s7, s2, s3
	s_cmp_ge_u32 s2, s3
	s_cselect_b32 s6, s8, s6
	s_cselect_b32 s2, s7, s2
	s_add_i32 s7, s6, 1
	s_cmp_ge_u32 s2, s3
	s_cselect_b32 s2, s7, s6
	s_xor_b32 s2, s2, s0
	s_sub_i32 s0, s2, s0
	s_mul_i32 s2, s0, s9
	s_sub_i32 s1, s1, s2
	s_ashr_i32 s2, s1, 31
	v_readlane_b32 s3, v147, 8
	s_abs_i32 s1, s1
	s_xor_b32 s2, s2, s3
	s_mul_hi_u32 s3, s1, s56
	s_mul_i32 s6, s3, s83
	s_sub_i32 s1, s1, s6
	s_add_i32 s6, s3, 1
	s_sub_i32 s7, s1, s83
	s_cmp_ge_u32 s1, s83
	s_cselect_b32 s3, s6, s3
	s_cselect_b32 s1, s7, s1
	s_add_i32 s6, s3, 1
	s_cmp_ge_u32 s1, s83
	s_cselect_b32 s1, s6, s3
	s_abs_i32 s6, s14
	v_cvt_f32_u32_e32 v1, s6
	s_xor_b32 s1, s1, s2
	s_sub_i32 s3, 0, s6
	s_sub_i32 s1, s1, s2
	v_rcp_iflag_f32_e32 v1, v1
	s_cmp_eq_u64 s[46:47], 0
	v_mul_f32_e32 v1, 0x4f7ffffe, v1
	v_cvt_u32_f32_e32 v1, v1
	v_readfirstlane_b32 s11, v1
	s_mul_i32 s2, s3, s11
	s_cbranch_scc1 .LBB0_144
; %bb.143:
	v_readlane_b32 s3, v147, 0
	s_mul_i32 s3, s4, s3
	s_add_i32 s8, s1, s3
	s_ashr_i32 s9, s8, 31
	s_lshl_b64 s[8:9], s[8:9], 2
	s_add_u32 s8, s46, s8
	s_addc_u32 s9, s47, s9
	v_mov_b32_e32 v1, 0
	global_load_dword v1, v1, s[8:9]
	s_waitcnt vmcnt(0)
	v_ashrrev_i32_e32 v2, 31, v1
	v_lshrrev_b32_e32 v2, 26, v2
	v_add_u32_e32 v1, v1, v2
	v_ashrrev_i32_e32 v1, 6, v1
	v_min_i32_e32 v8, s63, v1
.LBB0_144:
	v_readlane_b32 s14, v147, 4
	v_readlane_b32 s15, v147, 5
	s_mul_hi_u32 s12, s11, s2
	s_mul_i32 s2, s5, s33
	s_lshl_b32 s0, s0, 1
	s_mul_i32 s3, s4, s15
	s_add_i32 s2, s0, s2
	s_ashr_i32 s7, s3, 31
	v_and_b32_e32 v25, 0x3ff, v0
	s_add_u32 s3, s36, s3
	s_mul_i32 s2, s2, s14
	v_bfe_u32 v0, v25, 5, 1
	s_addc_u32 s8, s37, s7
	s_ashr_i32 s9, s2, 31
	v_lshrrev_b32_e32 v17, 5, v25
	v_and_b32_e32 v16, 31, v25
	v_or_b32_e32 v1, s0, v0
	s_add_u32 s7, s3, s2
	v_cmp_gt_i32_e32 vcc, s33, v1
	v_mad_u64_u32 v[0:1], s[2:3], s13, v0, v[16:17]
	v_add_u16_e32 v1, v17, v43
	s_addc_u32 s9, s8, s9
	s_lshl_b32 s8, s1, 3
	v_lshrrev_b16_e32 v1, 1, v1
	v_add_u32_e32 v1, s8, v1
	s_xor_b64 s[0:1], vcc, -1
	v_cmp_le_i32_e32 vcc, s20, v1
	v_add_u32_e32 v24, v17, v43
	s_or_b64 s[2:3], vcc, s[0:1]
	s_and_saveexec_b64 s[14:15], s[2:3]
	s_xor_b64 s[2:3], exec, s[14:15]
	s_cbranch_execz .LBB0_146
; %bb.145:
	v_mad_u32_u24 v1, v24, 36, v16
	v_lshl_add_u32 v1, v1, 2, 0
	v_mov_b32_e32 v2, 0
	ds_write_b32 v1, v2
                                        ; implicit-def: $vgpr1
.LBB0_146:
	s_or_saveexec_b64 s[2:3], s[2:3]
	s_abs_i32 s10, s4
	s_add_i32 s11, s11, s12
	s_xor_b64 exec, exec, s[2:3]
	s_cbranch_execz .LBB0_148
; %bb.147:
	v_mad_u64_u32 v[2:3], s[12:13], v1, s59, v[0:1]
	v_ashrrev_i32_e32 v3, 31, v2
	v_lshlrev_b64 v[2:3], 3, v[2:3]
	v_mov_b32_e32 v1, s9
	v_add_co_u32_e32 v2, vcc, s7, v2
	v_addc_co_u32_e32 v3, vcc, v1, v3, vcc
	global_load_dwordx2 v[2:3], v[2:3], off
	s_waitcnt vmcnt(0)
	v_cvt_f16_f32_e32 v1, v2
	v_cvt_f16_f32_e32 v2, v3
	v_mad_u32_u24 v3, v24, 36, v16
	v_pack_b32_f16 v1, v1, v2
	v_pk_mul_f16 v1, v41, v1
	v_lshl_add_u32 v2, v3, 2, 0
	ds_write_b32 v2, v1
.LBB0_148:
	s_or_b64 exec, exec, s[2:3]
	v_add_u32_e32 v1, 8, v24
	v_lshrrev_b32_e32 v2, 1, v1
	v_add_u32_e32 v2, s8, v2
	v_cmp_le_i32_e32 vcc, s20, v2
	s_mul_hi_u32 s2, s10, s11
	s_or_b64 s[0:1], vcc, s[0:1]
	s_and_saveexec_b64 s[12:13], s[0:1]
	s_xor_b64 s[0:1], exec, s[12:13]
	s_cbranch_execz .LBB0_150
; %bb.149:
	v_mad_u32_u24 v0, v1, 36, v16
	v_lshl_add_u32 v0, v0, 2, 0
	v_mov_b32_e32 v1, 0
	ds_write_b32 v0, v1
                                        ; implicit-def: $vgpr0_vgpr1
                                        ; implicit-def: $vgpr2
                                        ; implicit-def: $vgpr41
                                        ; implicit-def: $vgpr1
.LBB0_150:
	s_or_saveexec_b64 s[0:1], s[0:1]
	s_ashr_i32 s3, s4, 31
	s_xor_b64 exec, exec, s[0:1]
	s_cbranch_execz .LBB0_152
; %bb.151:
	v_mad_u64_u32 v[2:3], s[12:13], v2, s59, v[0:1]
	v_ashrrev_i32_e32 v3, 31, v2
	v_lshlrev_b64 v[2:3], 3, v[2:3]
	v_mov_b32_e32 v0, s9
	v_add_co_u32_e32 v2, vcc, s7, v2
	v_addc_co_u32_e32 v3, vcc, v0, v3, vcc
	global_load_dwordx2 v[2:3], v[2:3], off
	v_mad_u32_u24 v1, v1, 36, v16
	v_lshl_add_u32 v1, v1, 2, 0
	s_waitcnt vmcnt(0)
	v_cvt_f16_f32_e32 v0, v2
	v_cvt_f16_f32_e32 v2, v3
	v_pack_b32_f16 v0, v0, v2
	v_pk_mul_f16 v0, v41, v0
	ds_write_b32 v1, v0
.LBB0_152:
	s_or_b64 exec, exec, s[0:1]
	s_mul_i32 s0, s4, s25
	s_mul_hi_u32 s1, s4, s24
	s_add_i32 s0, s1, s0
	s_mul_i32 s1, s3, s24
	v_readlane_b32 s12, v147, 6
	s_add_i32 s0, s0, s1
	s_mul_i32 s1, s4, s24
	v_readlane_b32 s13, v147, 7
	s_add_u32 s1, s38, s1
	s_mul_i32 s7, s5, s13
	s_addc_u32 s0, s39, s0
	s_ashr_i32 s9, s7, 31
	s_add_u32 s19, s1, s7
	s_mul_i32 s2, s2, s6
	s_addc_u32 s21, s0, s9
	s_sub_i32 s0, s10, s2
	s_sub_i32 s1, s0, s6
	s_cmp_ge_u32 s0, s6
	s_cselect_b32 s0, s1, s0
	s_sub_i32 s1, s0, s6
	s_cmp_ge_u32 s0, s6
	s_cselect_b32 s0, s1, s0
	s_xor_b32 s0, s0, s3
	s_sub_i32 s0, s0, s3
	s_ashr_i32 s1, s0, 31
	s_mul_i32 s2, s0, s55
	s_mul_hi_u32 s6, s0, s54
	s_add_i32 s2, s6, s2
	s_mul_i32 s1, s1, s54
	s_add_i32 s2, s2, s1
	s_mul_i32 s0, s0, s54
	s_add_u32 s23, s42, s0
	s_mul_i32 s0, s4, s53
	s_mul_hi_u32 s1, s4, s52
	s_addc_u32 s24, s43, s2
	s_add_i32 s0, s1, s0
	s_mul_i32 s3, s3, s52
	s_add_i32 s0, s0, s3
	s_mul_i32 s4, s4, s52
	s_add_u32 s1, s40, s4
	s_mul_i32 s5, s5, s27
	s_addc_u32 s0, s41, s0
	s_ashr_i32 s2, s5, 31
	s_add_u32 s6, s1, s5
	v_lshrrev_b32_e32 v63, 3, v25
	s_addc_u32 s7, s0, s2
	v_and_b32_e32 v66, 0xff0, v29
	s_movk_i32 s0, 0x90
	v_and_b32_e32 v26, 15, v25
	v_and_b32_e32 v28, 0x7e, v63
	v_mad_u32_u24 v0, v66, s0, 0
	v_mul_u32_u24_e32 v31, 0x90, v26
	v_lshlrev_b32_e32 v32, 2, v28
	v_add3_u32 v0, v0, v31, v32
	v_add_u32_e32 v58, -1, v8
	v_add_u32_e32 v8, s8, v24
	s_waitcnt lgkmcnt(0)
	s_barrier
	ds_read2_b64 v[4:7], v0 offset1:4
	ds_read2_b64 v[0:3], v0 offset0:8 offset1:12
	v_mul_hi_u32 v9, s30, v8
	v_add_u32_e32 v9, v8, v9
	v_lshrrev_b32_e32 v9, s31, v9
	v_cmp_lt_i32_e32 vcc, s78, v58
	v_mul_lo_u32 v9, v9, s20
	v_sub_u32_e32 v61, v8, v9
	s_waitcnt lgkmcnt(0)
	s_barrier
	s_cbranch_vccnz .LBB0_155
; %bb.153:
	v_lshlrev_b32_e32 v8, 1, v25
	v_lshlrev_b32_e32 v9, 2, v25
	v_and_b32_e32 v12, 62, v8
	v_lshl_add_u32 v8, v27, 3, v63
	v_and_b32_e32 v14, 28, v9
	v_mov_b32_e32 v9, 0x1200
	v_lshlrev_b32_e32 v30, 4, v27
	v_lshrrev_b32_e32 v34, 2, v25
	v_mad_u32_u24 v40, v8, s0, v9
	v_and_b32_e32 v9, 48, v30
	v_and_b32_e32 v35, 0xfc, v34
	v_mul_u32_u24_e32 v52, 0x90, v9
	v_add_u16_e32 v9, v9, v35
	v_and_or_b32 v10, v25, 14, v66
	v_lshrrev_b16_e32 v42, 1, v9
	v_mbcnt_lo_u32_b32 v9, -1, 0
	v_mul_u32_u24_e32 v38, 0x90, v8
	v_mul_lo_u32 v20, s22, v8
	v_lshrrev_b32_e32 v10, 1, v10
	v_mbcnt_hi_u32_b32 v54, -1, v9
	v_mul_lo_u32 v8, s18, v8
	v_mul_u32_u24_e32 v33, 0x48, v35
	v_mov_b32_e32 v13, 0
	v_lshl_add_u32 v22, s22, 5, v20
	v_mul_u32_u24_e32 v53, 0x90, v10
	v_and_b32_e32 v9, 64, v54
	v_lshl_add_u32 v10, s18, 5, v8
	v_or_b32_e32 v33, v33, v26
	v_or_b32_e32 v34, 3, v34
	s_mov_b32 s2, 0
	v_mad_i64_i32 v[18:19], s[4:5], v61, s28, 0
	s_ashr_i32 s15, s22, 31
	v_mov_b32_e32 v15, v13
	v_ashrrev_i32_e32 v21, 31, v20
	v_ashrrev_i32_e32 v23, 31, v22
	v_or_b32_e32 v41, 1, v42
	v_add_u32_e32 v55, 64, v9
	v_xor_b32_e32 v56, 32, v54
	v_xor_b32_e32 v57, 16, v54
	s_ashr_i32 s13, s18, 31
	v_ashrrev_i32_e32 v9, 31, v8
	v_ashrrev_i32_e32 v11, 31, v10
	v_mul_u32_u24_e32 v35, 0x90, v35
	v_add_u32_e32 v36, 0x90, v33
	v_mul_u32_u24_e32 v37, 0x90, v34
	s_mov_b64 s[0:1], 0
	s_mov_b32 s3, 0xfeffffff
	s_branch .LBB0_156
.LBB0_154:
                                        ; implicit-def: $sgpr62_sgpr63
	s_load_dwordx2 s[30:31], s[4:5], 0x5c
	s_branch .LBB0_7
.LBB0_155:
	s_mov_b64 s[0:1], -1
                                        ; implicit-def: $sgpr2
                                        ; implicit-def: $sgpr3
                                        ; implicit-def: $vgpr12
                                        ; implicit-def: $vgpr18_vgpr19
                                        ; implicit-def: $vgpr38
                                        ; implicit-def: $vgpr14
                                        ; implicit-def: $vgpr20_vgpr21
                                        ; implicit-def: $vgpr40
                                        ; implicit-def: $vgpr22_vgpr23
                                        ; implicit-def: $vgpr30
                                        ; implicit-def: $vgpr52
                                        ; implicit-def: $vgpr53
                                        ; implicit-def: $vgpr42
                                        ; implicit-def: $vgpr41
                                        ; implicit-def: $vgpr54
                                        ; implicit-def: $vgpr55
                                        ; implicit-def: $vgpr56
                                        ; implicit-def: $vgpr57
                                        ; implicit-def: $vgpr8_vgpr9
                                        ; implicit-def: $vgpr10_vgpr11
                                        ; implicit-def: $vgpr33
                                        ; implicit-def: $vgpr35
                                        ; implicit-def: $vgpr36
                                        ; implicit-def: $vgpr37
                                        ; implicit-def: $sgpr14_sgpr15
                                        ; implicit-def: $sgpr12_sgpr13
.LBB0_156:
	v_mul_u32_u24_e32 v48, 0x90, v24
	s_andn2_b64 vcc, exec, s[0:1]
	v_mov_b32_e32 v43, s2
	v_mov_b32_e32 v59, s2
	;; [unrolled: 1-line block ×3, first 2 shown]
	v_lshlrev_b32_e32 v34, 1, v26
	v_mov_b32_e32 v44, s2
	v_mov_b32_e32 v45, s2
	v_mov_b32_e32 v46, s2
	v_mov_b32_e32 v47, s2
	v_mov_b32_e32 v49, s2
	v_mov_b32_e32 v50, s2
	v_mov_b32_e32 v51, s2
	s_cbranch_vccnz .LBB0_159
; %bb.157:
	v_lshlrev_b32_e32 v8, 1, v25
	v_mad_i64_i32 v[18:19], s[0:1], v61, s28, 0
	v_and_b32_e32 v12, 62, v8
	v_lshlrev_b64 v[8:9], 1, v[18:19]
	v_mov_b32_e32 v11, s24
	v_add_co_u32_e32 v8, vcc, s23, v8
	v_lshlrev_b32_e32 v10, 1, v12
	v_addc_co_u32_e32 v9, vcc, v11, v9, vcc
	v_add_co_u32_e32 v61, vcc, v8, v10
	v_addc_co_u32_e32 v62, vcc, 0, v9, vcc
	v_lshlrev_b32_e32 v9, 2, v25
	v_lshl_add_u32 v8, v27, 3, v63
	v_and_b32_e32 v14, 28, v9
	v_mul_u32_u24_e32 v38, 0x90, v8
	v_lshlrev_b32_e32 v9, 2, v14
	s_movk_i32 s0, 0x90
	v_add3_u32 v63, 0, v38, v9
	v_mov_b32_e32 v9, 0x1200
	v_lshlrev_b32_e32 v30, 4, v27
	v_lshrrev_b32_e32 v37, 2, v25
	v_mad_u32_u24 v40, v8, s0, v9
	v_and_b32_e32 v9, 48, v30
	v_and_b32_e32 v35, 0xfc, v37
	v_add3_u32 v60, 0, v48, v10
	v_mul_u32_u24_e32 v52, 0x90, v9
	v_mad_u32_u24 v24, v9, s0, 0
	v_and_or_b32 v10, v25, 14, v66
	v_add_u16_e32 v9, v9, v35
	v_lshrrev_b32_e32 v10, 1, v10
	v_lshrrev_b16_e32 v42, 1, v9
	v_mul_u32_u24_e32 v53, 0x90, v10
	v_lshlrev_b32_e32 v9, 2, v42
	v_add3_u32 v43, 0, v53, v9
	v_mbcnt_lo_u32_b32 v9, -1, 0
	v_mbcnt_hi_u32_b32 v54, -1, v9
	v_and_b32_e32 v9, 64, v54
	v_add_u32_e32 v55, 64, v9
	v_xor_b32_e32 v56, 32, v54
	v_cmp_lt_i32_e32 vcc, v56, v55
	v_xor_b32_e32 v57, 16, v54
	v_mul_lo_u32 v20, s22, v8
	v_cndmask_b32_e32 v9, v54, v56, vcc
	v_cmp_lt_i32_e32 vcc, v57, v55
	v_mul_lo_u32 v8, s18, v8
	v_mul_u32_u24_e32 v33, 0x48, v35
	v_mul_u32_u24_e32 v35, 0x90, v35
	v_or_b32_e32 v37, 3, v37
	v_mov_b32_e32 v13, 0
	v_lshl_add_u32 v22, s22, 5, v20
	v_lshlrev_b32_e32 v66, 2, v9
	v_cndmask_b32_e32 v9, v54, v57, vcc
	v_lshl_add_u32 v10, s18, 5, v8
	v_or_b32_e32 v33, v33, v26
	v_mul_u32_u24_e32 v37, 0x90, v37
	v_add3_u32 v69, v24, v35, v34
	s_ashr_i32 s15, s22, 31
	v_mov_b32_e32 v15, v13
	v_ashrrev_i32_e32 v21, 31, v20
	v_add_u32_e32 v64, 0x1200, v63
	v_ashrrev_i32_e32 v23, 31, v22
	v_add3_u32 v65, v24, v31, v32
	v_or_b32_e32 v41, 1, v42
	v_lshlrev_b32_e32 v67, 2, v9
	s_ashr_i32 s13, s18, 31
	v_ashrrev_i32_e32 v9, 31, v8
	v_ashrrev_i32_e32 v11, 31, v10
	v_add_u32_e32 v36, 0x90, v33
	v_lshl_add_u32 v68, v33, 1, v24
	v_add3_u32 v70, v24, v37, v34
	v_add_u32_e32 v71, 32, v69
	v_add_u32_e32 v72, 64, v69
	;; [unrolled: 1-line block ×3, first 2 shown]
	s_lshl_b32 s16, s78, 6
	v_mov_b32_e32 v24, 0xfeffffff
	v_lshlrev_b32_e32 v74, 2, v14
	v_add_u32_e32 v75, 0x2400, v43
	s_mov_b32 s12, 0x3fb8aa3b
	s_mov_b32 s14, 0xc2ce8ed0
	;; [unrolled: 1-line block ×5, first 2 shown]
	v_mov_b32_e32 v76, 0x7f800000
	v_mov_b32_e32 v59, v13
	;; [unrolled: 1-line block ×10, first 2 shown]
.LBB0_158:                              ; =>This Inner Loop Header: Depth=1
	s_ashr_i32 s17, s16, 31
	s_mul_hi_i32 s1, s16, s22
	s_mul_i32 s0, s16, s22
	s_lshl_b64 s[4:5], s[16:17], 1
	s_lshl_b64 s[0:1], s[0:1], 2
	v_mov_b32_e32 v77, v24
	v_mov_b32_e32 v24, s5
	s_add_u32 s0, s19, s0
	v_add_co_u32_e32 v82, vcc, s4, v61
	v_lshlrev_b64 v[78:79], 2, v[20:21]
	v_lshlrev_b64 v[80:81], 2, v[22:23]
	v_addc_co_u32_e32 v83, vcc, v62, v24, vcc
	s_addc_u32 s1, s21, s1
	v_mov_b32_e32 v98, v59
	global_load_dword v24, v[82:83], off
	v_mov_b32_e32 v59, s1
	v_mov_b32_e32 v82, s1
	v_add_co_u32_e32 v80, vcc, s0, v80
	v_add_co_u32_e64 v78, s[0:1], s0, v78
	v_addc_co_u32_e64 v59, s[0:1], v59, v79, s[0:1]
	v_addc_co_u32_e32 v79, vcc, v82, v81, vcc
	v_add_co_u32_e64 v92, s[0:1], v78, v74
	v_add_co_u32_e32 v90, vcc, v80, v74
	v_addc_co_u32_e64 v93, s[0:1], 0, v59, s[0:1]
	v_addc_co_u32_e32 v91, vcc, 0, v79, vcc
	global_load_dwordx4 v[78:81], v[92:93], off
	global_load_dwordx4 v[82:85], v[90:91], off
	s_mul_hi_i32 s3, s16, s18
	s_mul_i32 s2, s16, s18
	s_lshl_b64 s[2:3], s[2:3], 2
	s_add_u32 s2, s6, s2
	v_lshlrev_b64 v[86:87], 2, v[8:9]
	v_lshlrev_b64 v[88:89], 2, v[10:11]
	s_addc_u32 s3, s7, s3
	s_add_i32 s78, s78, 1
	v_mov_b32_e32 v59, s3
	v_add_co_u32_e32 v86, vcc, s2, v86
	v_mov_b32_e32 v94, s3
	v_add_co_u32_e64 v88, s[0:1], s2, v88
	v_cmp_lt_i32_e64 s[2:3], s78, v58
	v_addc_co_u32_e32 v59, vcc, v59, v87, vcc
	v_addc_co_u32_e64 v87, vcc, v94, v89, s[0:1]
	s_and_b64 vcc, exec, s[2:3]
	v_add_co_u32_e64 v96, s[2:3], v86, v74
	v_add_co_u32_e64 v94, s[0:1], v88, v74
	v_addc_co_u32_e64 v97, s[2:3], 0, v59, s[2:3]
	v_addc_co_u32_e64 v95, s[0:1], 0, v87, s[0:1]
	s_add_i32 s16, s16, 64
	s_waitcnt vmcnt(2)
	ds_write_b32 v60, v24 offset:9216
	s_waitcnt vmcnt(1)
	ds_write_b128 v63, v[78:81]
	s_waitcnt vmcnt(0)
	ds_write_b128 v64, v[82:85]
	s_waitcnt lgkmcnt(0)
	s_barrier
	ds_read2_b64 v[78:81], v65 offset1:4
	s_waitcnt lgkmcnt(0)
	v_mfma_f32_16x16x16f16 v[82:85], v[78:79], v[4:5], 0
	v_mfma_f32_16x16x16f16 v[78:81], v[80:81], v[6:7], v[82:85]
	s_nop 7
	s_nop 1
	ds_read2_b64 v[82:85], v65 offset0:8 offset1:12
	s_waitcnt lgkmcnt(0)
	s_barrier
	v_mfma_f32_16x16x16f16 v[78:81], v[82:83], v[0:1], v[78:81]
	ds_read2_b32 v[82:83], v75 offset1:1
	global_load_dwordx4 v[86:89], v[96:97], off
	global_load_dwordx4 v[90:93], v[94:95], off
	s_waitcnt vmcnt(1)
	ds_write_b128 v63, v[86:89]
	s_waitcnt vmcnt(0)
	ds_write_b128 v64, v[90:93]
	v_mfma_f32_16x16x16f16 v[78:81], v[84:85], v[2:3], v[78:81]
	s_waitcnt lgkmcnt(2)
	v_cvt_f32_f16_e32 v94, v82
	v_cvt_f32_f16_sdwa v95, v82 dst_sel:DWORD dst_unused:UNUSED_PAD src0_sel:WORD_1
	v_cvt_f32_f16_e32 v82, v83
	v_cvt_f32_f16_sdwa v83, v83 dst_sel:DWORD dst_unused:UNUSED_PAD src0_sel:WORD_1
	s_waitcnt lgkmcnt(0)
	s_barrier
	s_nop 3
	v_pk_add_f32 v[78:79], v[78:79], v[94:95]
	v_pk_add_f32 v[80:81], v[80:81], v[82:83]
	v_add_f32_e32 v24, 0x40051340, v78
	v_add_f32_e32 v59, 0x40051340, v79
	;; [unrolled: 1-line block ×4, first 2 shown]
	v_max3_f32 v24, v77, v24, v59
	v_max3_f32 v24, v24, v82, v83
	ds_bpermute_b32 v59, v66, v24
	s_waitcnt lgkmcnt(0)
	v_max_f32_e32 v59, v59, v59
	v_max_f32_e32 v24, v24, v59
	ds_bpermute_b32 v59, v67, v24
	s_waitcnt lgkmcnt(0)
	v_max_f32_e32 v59, v59, v59
	v_max_f32_e32 v24, v24, v59
	v_pk_add_f32 v[78:79], v[78:79], v[24:25] op_sel_hi:[1,0] neg_lo:[0,1] neg_hi:[0,1]
	v_pk_add_f32 v[80:81], v[80:81], v[24:25] op_sel_hi:[1,0] neg_lo:[0,1] neg_hi:[0,1]
	v_sub_f32_e32 v59, v77, v24
	v_mul_f32_e32 v77, 0x3fb8aa3b, v79
	v_mul_f32_e32 v82, 0x3fb8aa3b, v78
	;; [unrolled: 1-line block ×5, first 2 shown]
	v_fma_f32 v94, v79, s12, -v77
	v_rndne_f32_e32 v95, v77
	v_fma_f32 v96, v78, s12, -v82
	v_rndne_f32_e32 v97, v82
	;; [unrolled: 2-line block ×5, first 2 shown]
	v_fmac_f32_e32 v94, 0x32a5705f, v79
	v_sub_f32_e32 v77, v77, v95
	v_fmac_f32_e32 v96, 0x32a5705f, v78
	v_sub_f32_e32 v82, v82, v97
	;; [unrolled: 2-line block ×5, first 2 shown]
	v_add_f32_e32 v77, v77, v94
	v_add_f32_e32 v82, v82, v96
	;; [unrolled: 1-line block ×5, first 2 shown]
	v_cvt_i32_f32_e32 v95, v95
	v_cvt_i32_f32_e32 v97, v97
	;; [unrolled: 1-line block ×5, first 2 shown]
	v_exp_f32_e32 v77, v77
	v_exp_f32_e32 v82, v82
	;; [unrolled: 1-line block ×5, first 2 shown]
	v_ldexp_f32 v77, v77, v95
	v_ldexp_f32 v82, v82, v97
	v_cmp_ngt_f32_e64 s[0:1], s14, v78
	v_ldexp_f32 v83, v83, v100
	v_cmp_ngt_f32_e64 s[2:3], s14, v81
	;; [unrolled: 2-line block ×4, first 2 shown]
	v_cmp_ngt_f32_e64 s[10:11], s14, v79
	v_cndmask_b32_e64 v77, 0, v77, s[10:11]
	v_cndmask_b32_e64 v82, 0, v82, s[0:1]
	v_cmp_nlt_f32_e64 s[0:1], s20, v78
	v_cndmask_b32_e64 v78, 0, v83, s[2:3]
	v_cmp_nlt_f32_e64 s[2:3], s20, v81
	;; [unrolled: 2-line block ×4, first 2 shown]
	v_cmp_nlt_f32_e64 s[10:11], s20, v79
	v_cndmask_b32_e64 v77, v76, v77, s[10:11]
	v_cndmask_b32_e64 v79, v76, v82, s[0:1]
	v_cndmask_b32_e64 v80, v76, v80, s[8:9]
	v_cmp_le_f32_e64 s[0:1], s25, v59
	v_cndmask_b32_e64 v81, v76, v81, s[4:5]
	v_add_f32_e32 v59, v79, v77
	v_cndmask_b32_e64 v80, 0, v80, s[0:1]
	v_cndmask_b32_e64 v78, v76, v78, s[2:3]
	v_cvt_f16_f32_e32 v79, v79
	v_cvt_f16_f32_e32 v77, v77
	;; [unrolled: 1-line block ×3, first 2 shown]
	v_add_f32_e32 v59, v81, v59
	v_cvt_f16_f32_e32 v81, v80
	v_cvt_f16_f32_e32 v82, v78
	v_add_f32_e32 v59, v78, v59
	v_fmac_f32_e32 v59, v98, v80
	v_pack_b32_f16 v98, v79, v77
	v_pk_mul_f16 v50, v81, v50 op_sel_hi:[0,1]
	v_pk_mul_f16 v49, v81, v49 op_sel_hi:[0,1]
	;; [unrolled: 1-line block ×4, first 2 shown]
	v_pack_b32_f16 v99, v83, v82
	v_pk_mul_f16 v51, v81, v51 op_sel_hi:[0,1]
	v_pk_mul_f16 v83, v81, v46 op_sel_hi:[0,1]
	;; [unrolled: 1-line block ×4, first 2 shown]
	v_cvt_f32_f16_e32 v46, v50
	v_cvt_f32_f16_sdwa v47, v50 dst_sel:DWORD dst_unused:UNUSED_PAD src0_sel:WORD_1
	v_cvt_f32_f16_e32 v78, v49
	v_cvt_f32_f16_sdwa v79, v49 dst_sel:DWORD dst_unused:UNUSED_PAD src0_sel:WORD_1
	v_cvt_f32_f16_e32 v80, v77
	v_cvt_f32_f16_sdwa v81, v77 dst_sel:DWORD dst_unused:UNUSED_PAD src0_sel:WORD_1
	v_cvt_f32_f16_e32 v96, v43
	v_cvt_f32_f16_sdwa v97, v43 dst_sel:DWORD dst_unused:UNUSED_PAD src0_sel:WORD_1
	ds_read_u16 v43, v69 offset:288
	ds_read_u16 v49, v70
	ds_read_u16 v77, v70 offset:32
	ds_read_u16 v50, v68
	ds_read_u16 v86, v68 offset:32
	ds_read_u16 v87, v68 offset:64
	;; [unrolled: 1-line block ×12, first 2 shown]
	v_cvt_f32_f16_e32 v44, v51
	v_cvt_f32_f16_sdwa v45, v51 dst_sel:DWORD dst_unused:UNUSED_PAD src0_sel:WORD_1
	s_waitcnt lgkmcnt(14)
	v_perm_b32 v51, v49, v43, s26
	s_waitcnt lgkmcnt(8)
	v_perm_b32 v50, v89, v50, s26
	v_cvt_f32_f16_e32 v82, v83
	v_cvt_f32_f16_sdwa v83, v83 dst_sel:DWORD dst_unused:UNUSED_PAD src0_sel:WORD_1
	v_mfma_f32_16x16x16f16 v[44:47], v[50:51], v[98:99], v[44:47]
	s_waitcnt lgkmcnt(6)
	v_perm_b32 v51, v77, v91, s26
	s_waitcnt lgkmcnt(1)
	v_perm_b32 v50, v102, v86, s26
	v_cvt_f32_f16_e32 v84, v85
	v_cvt_f32_f16_sdwa v85, v85 dst_sel:DWORD dst_unused:UNUSED_PAD src0_sel:WORD_1
	v_cvt_f32_f16_e32 v94, v95
	v_cvt_f32_f16_sdwa v95, v95 dst_sel:DWORD dst_unused:UNUSED_PAD src0_sel:WORD_1
	s_waitcnt lgkmcnt(0)
	v_mfma_f32_16x16x16f16 v[78:81], v[50:51], v[98:99], v[78:81]
	v_perm_b32 v51, v88, v93, s26
	v_perm_b32 v50, v92, v87, s26
	v_cvt_f16_f32_e32 v43, v44
	v_cvt_f16_f32_e32 v44, v45
	;; [unrolled: 1-line block ×4, first 2 shown]
	s_barrier
	v_mfma_f32_16x16x16f16 v[82:85], v[50:51], v[98:99], v[82:85]
	v_perm_b32 v51, v103, v101, s26
	v_perm_b32 v50, v100, v90, s26
	s_nop 0
	v_cvt_f16_f32_e32 v47, v78
	v_cvt_f16_f32_e32 v49, v79
	;; [unrolled: 1-line block ×4, first 2 shown]
	v_mfma_f32_16x16x16f16 v[86:89], v[50:51], v[98:99], v[94:97]
	s_nop 2
	v_cvt_f16_f32_e32 v79, v82
	v_cvt_f16_f32_e32 v80, v83
	;; [unrolled: 1-line block ×4, first 2 shown]
	v_pack_b32_f16 v51, v43, v44
	v_pack_b32_f16 v50, v45, v46
	;; [unrolled: 1-line block ×3, first 2 shown]
	s_nop 0
	v_cvt_f16_f32_e32 v83, v86
	v_cvt_f16_f32_e32 v84, v87
	;; [unrolled: 1-line block ×4, first 2 shown]
	v_pack_b32_f16 v47, v77, v78
	v_pack_b32_f16 v46, v79, v80
	;; [unrolled: 1-line block ×5, first 2 shown]
	s_cbranch_vccnz .LBB0_158
.LBB0_159:
	s_lshl_b32 s0, s78, 6
	s_ashr_i32 s1, s0, 31
	s_lshl_b64 s[2:3], s[0:1], 1
	s_add_u32 s2, s23, s2
	s_addc_u32 s3, s24, s3
	v_lshlrev_b64 v[18:19], 1, v[18:19]
	v_mov_b32_e32 v58, s3
	v_add_co_u32_e32 v60, vcc, s2, v18
	s_mul_i32 s2, s22, s1
	s_mul_hi_u32 s3, s22, s0
	s_add_i32 s2, s3, s2
	s_mul_i32 s3, s15, s0
	v_addc_co_u32_e32 v58, vcc, v58, v19, vcc
	v_lshlrev_b64 v[18:19], 1, v[12:13]
	s_add_i32 s3, s2, s3
	s_mul_i32 s2, s22, s0
	v_add_co_u32_e32 v18, vcc, v60, v18
	s_lshl_b64 s[2:3], s[2:3], 2
	v_addc_co_u32_e32 v19, vcc, v58, v19, vcc
	s_add_u32 s2, s19, s2
	global_load_dword v13, v[18:19], off
	s_addc_u32 s3, s21, s3
	v_lshlrev_b64 v[18:19], 2, v[20:21]
	v_mov_b32_e32 v20, s3
	v_add_co_u32_e32 v21, vcc, s2, v18
	v_addc_co_u32_e32 v20, vcc, v20, v19, vcc
	v_lshlrev_b64 v[18:19], 2, v[14:15]
	v_add_co_u32_e32 v64, vcc, v21, v18
	v_addc_co_u32_e32 v65, vcc, v20, v19, vcc
	v_lshlrev_b64 v[20:21], 2, v[22:23]
	v_mov_b32_e32 v15, s3
	v_add_co_u32_e32 v20, vcc, s2, v20
	v_addc_co_u32_e32 v15, vcc, v15, v21, vcc
	v_add_co_u32_e32 v66, vcc, v20, v18
	v_addc_co_u32_e32 v67, vcc, v15, v19, vcc
	global_load_dwordx4 v[20:23], v[64:65], off
	global_load_dwordx4 v[60:63], v[66:67], off
	v_cmp_lt_i32_e32 vcc, v56, v55
	v_lshlrev_b32_e32 v12, 1, v12
	v_add_u32_e32 v58, 0, v52
	v_cndmask_b32_e32 v52, v54, v56, vcc
	v_cmp_lt_i32_e32 vcc, v57, v55
	v_lshlrev_b32_e32 v14, 2, v14
	v_add_u32_e32 v15, 0, v53
	v_cndmask_b32_e32 v53, v54, v57, vcc
	v_lshlrev_b64 v[56:57], 2, v[8:9]
	v_add3_u32 v8, 0, v48, v12
	v_add3_u32 v31, v58, v31, v32
	v_lshlrev_b64 v[64:65], 2, v[10:11]
	v_add3_u32 v38, 0, v38, v14
	v_add3_u32 v40, 0, v40, v14
	v_lshl_add_u32 v32, v42, 2, v15
	s_mul_hi_u32 s5, s18, s0
	s_mul_i32 s1, s18, s1
	s_mul_i32 s8, s13, s0
	s_add_i32 s1, s5, s1
	s_mul_i32 s0, s18, s0
	s_add_i32 s1, s1, s8
	s_lshl_b64 s[0:1], s[0:1], 2
	s_add_u32 s0, s6, s0
	s_addc_u32 s1, s7, s1
	s_mov_b32 s3, 0x3fb8aa3b
	s_mov_b32 s4, 0xc2ce8ed0
	;; [unrolled: 1-line block ×3, first 2 shown]
	v_mov_b32_e32 v66, 0x7f800000
	s_waitcnt vmcnt(2)
	ds_write_b32 v8, v13 offset:9216
	s_waitcnt vmcnt(1)
	ds_write_b128 v38, v[20:23]
	s_waitcnt vmcnt(0)
	ds_write_b128 v40, v[60:63]
	s_waitcnt lgkmcnt(0)
	s_barrier
	ds_read2_b64 v[8:11], v31 offset1:4
	v_lshl_add_u32 v20, v41, 2, v15
	s_waitcnt lgkmcnt(0)
	v_mfma_f32_16x16x16f16 v[12:15], v[8:9], v[4:5], 0
	v_lshlrev_b32_e32 v22, 2, v52
	v_lshlrev_b32_e32 v21, 2, v53
	ds_read2_b64 v[52:55], v31 offset0:8 offset1:12
	s_waitcnt lgkmcnt(0)
	s_barrier
	v_mov_b32_e32 v8, s1
	v_mfma_f32_16x16x16f16 v[4:7], v[10:11], v[6:7], v[12:15]
	ds_read_b32 v11, v32 offset:9216
	ds_read_b32 v10, v20 offset:9216
	v_mov_b32_e32 v9, s1
	s_nop 3
	v_add_co_u32_e32 v12, vcc, s0, v56
	v_mfma_f32_16x16x16f16 v[4:7], v[52:53], v[0:1], v[4:7]
	v_addc_co_u32_e32 v13, vcc, v8, v57, vcc
	v_add_co_u32_e32 v14, vcc, s0, v64
	v_addc_co_u32_e32 v15, vcc, v9, v65, vcc
	s_waitcnt lgkmcnt(0)
	v_cvt_f32_f16_e32 v8, v10
	v_mfma_f32_16x16x16f16 v[0:3], v[54:55], v[2:3], v[4:7]
	v_cvt_f32_f16_sdwa v9, v10 dst_sel:DWORD dst_unused:UNUSED_PAD src0_sel:WORD_1
	v_cvt_f32_f16_e32 v10, v11
	v_cvt_f32_f16_sdwa v11, v11 dst_sel:DWORD dst_unused:UNUSED_PAD src0_sel:WORD_1
	v_add_co_u32_e32 v12, vcc, v12, v18
	v_addc_co_u32_e32 v13, vcc, v13, v19, vcc
	s_nop 5
	v_pk_add_f32 v[10:11], v[0:1], v[10:11]
	v_pk_add_f32 v[8:9], v[2:3], v[8:9]
	v_add_f32_e32 v2, 0x40051340, v10
	v_add_f32_e32 v3, 0x40051340, v11
	;; [unrolled: 1-line block ×4, first 2 shown]
	v_max3_f32 v2, v24, v2, v3
	v_max3_f32 v0, v2, v0, v1
	ds_bpermute_b32 v1, v22, v0
	v_add_co_u32_e32 v14, vcc, v14, v18
	v_addc_co_u32_e32 v15, vcc, v15, v19, vcc
	s_waitcnt lgkmcnt(0)
	v_max_f32_e32 v1, v1, v1
	v_max_f32_e32 v20, v0, v1
	global_load_dwordx4 v[0:3], v[12:13], off
	global_load_dwordx4 v[4:7], v[14:15], off
	ds_bpermute_b32 v23, v21, v20
	s_mov_b32 s0, 0xc1a00000
	s_waitcnt vmcnt(1)
	ds_write_b128 v38, v[0:3]
	s_waitcnt vmcnt(0)
	ds_write_b128 v40, v[4:7]
	s_waitcnt lgkmcnt(2)
	v_max_f32_e32 v12, v23, v23
	v_max_f32_e32 v18, v20, v12
	v_pk_add_f32 v[10:11], v[10:11], v[18:19] op_sel_hi:[1,0] neg_lo:[0,1] neg_hi:[0,1]
	v_mul_f32_e32 v12, 0x3fb8aa3b, v11
	v_pk_add_f32 v[8:9], v[8:9], v[18:19] op_sel_hi:[1,0] neg_lo:[0,1] neg_hi:[0,1]
	v_fma_f32 v15, v11, s3, -v12
	v_rndne_f32_e32 v19, v12
	v_fmac_f32_e32 v15, 0x32a5705f, v11
	v_sub_f32_e32 v12, v12, v19
	v_add_f32_e32 v12, v12, v15
	v_cvt_i32_f32_e32 v19, v19
	v_exp_f32_e32 v12, v12
	v_mul_f32_e32 v13, 0x3fb8aa3b, v10
	v_fma_f32 v20, v10, s3, -v13
	v_rndne_f32_e32 v23, v13
	v_mul_f32_e32 v14, 0x3fb8aa3b, v9
	v_fmac_f32_e32 v20, 0x32a5705f, v10
	v_sub_f32_e32 v13, v13, v23
	v_ldexp_f32 v12, v12, v19
	v_cmp_ngt_f32_e32 vcc, s4, v11
	v_fma_f32 v31, v9, s3, -v14
	v_add_f32_e32 v13, v13, v20
	v_rndne_f32_e32 v15, v14
	v_cndmask_b32_e32 v12, 0, v12, vcc
	v_cmp_nlt_f32_e32 vcc, s2, v11
	v_cvt_i32_f32_e32 v23, v23
	v_exp_f32_e32 v13, v13
	v_fmac_f32_e32 v31, 0x32a5705f, v9
	v_cndmask_b32_e32 v11, v66, v12, vcc
	v_sub_f32_e32 v12, v14, v15
	v_add_f32_e32 v12, v12, v31
	v_exp_f32_e32 v12, v12
	v_cvt_i32_f32_e32 v14, v15
	v_ldexp_f32 v13, v13, v23
	v_cmp_ngt_f32_e32 vcc, s4, v10
	v_cndmask_b32_e32 v13, 0, v13, vcc
	v_cmp_nlt_f32_e32 vcc, s2, v10
	v_cndmask_b32_e32 v10, v66, v13, vcc
	v_ldexp_f32 v12, v12, v14
	v_cmp_ngt_f32_e32 vcc, s4, v9
	v_cndmask_b32_e32 v12, 0, v12, vcc
	v_cmp_nlt_f32_e32 vcc, s2, v9
	v_mul_f32_e32 v9, 0x3fb8aa3b, v8
	v_fma_f32 v13, v8, s3, -v9
	v_rndne_f32_e32 v14, v9
	v_fmac_f32_e32 v13, 0x32a5705f, v8
	v_sub_f32_e32 v9, v9, v14
	v_add_f32_e32 v9, v9, v13
	v_cvt_i32_f32_e32 v13, v14
	v_sub_f32_e32 v14, v24, v18
	v_mul_f32_e32 v15, 0x3fb8aa3b, v14
	v_fma_f32 v19, v14, s3, -v15
	v_rndne_f32_e32 v20, v15
	v_fmac_f32_e32 v19, 0x32a5705f, v14
	v_sub_f32_e32 v15, v15, v20
	v_exp_f32_e32 v9, v9
	v_add_f32_e32 v15, v15, v19
	v_exp_f32_e32 v15, v15
	v_cvt_i32_f32_e32 v19, v20
	v_cndmask_b32_e32 v12, v66, v12, vcc
	v_ldexp_f32 v9, v9, v13
	v_cmp_ngt_f32_e32 vcc, s4, v8
	v_cndmask_b32_e32 v9, 0, v9, vcc
	v_ldexp_f32 v13, v15, v19
	v_cmp_ngt_f32_e32 vcc, s4, v14
	v_cndmask_b32_e32 v13, 0, v13, vcc
	v_cmp_nlt_f32_e32 vcc, s2, v14
	v_cndmask_b32_e32 v13, v66, v13, vcc
	v_cmp_le_f32_e32 vcc, s0, v14
	v_cndmask_b32_e32 v14, 0, v13, vcc
	v_cvt_f16_f32_e32 v15, v14
	v_cmp_nlt_f32_e32 vcc, s2, v8
	v_cndmask_b32_e32 v8, v66, v9, vcc
	v_add_f32_e32 v9, v10, v11
	v_add_f32_e32 v13, v8, v9
	v_pk_mul_f16 v9, v15, v51 op_sel_hi:[0,1]
	v_lshl_add_u32 v5, v36, 1, v58
	s_waitcnt lgkmcnt(0)
	s_barrier
	v_lshl_add_u32 v3, v33, 1, v58
	v_add3_u32 v4, v58, v35, v34
	v_add3_u32 v6, v58, v37, v34
	v_cvt_f32_f16_e32 v0, v9
	v_cvt_f32_f16_sdwa v1, v9 dst_sel:DWORD dst_unused:UNUSED_PAD src0_sel:WORD_1
	s_mov_b32 s0, 0x5040100
	ds_read_u16 v7, v5
	ds_read_u16 v9, v5 offset:32
	ds_read_u16 v24, v5 offset:64
	ds_read_u16 v31, v6
	ds_read_u16 v34, v6 offset:32
	ds_read_u16 v35, v6 offset:64
	;; [unrolled: 1-line block ×4, first 2 shown]
	s_waitcnt lgkmcnt(4)
	v_perm_b32 v5, v31, v7, s0
	ds_read_u16 v6, v3
	ds_read_u16 v7, v3 offset:32
	ds_read_u16 v31, v3 offset:64
	;; [unrolled: 1-line block ×7, first 2 shown]
	v_pk_mul_f16 v19, v15, v50 op_sel_hi:[0,1]
	v_cvt_f16_f32_e32 v11, v11
	v_cvt_f16_f32_e32 v10, v10
	;; [unrolled: 1-line block ×4, first 2 shown]
	s_waitcnt lgkmcnt(4)
	v_perm_b32 v4, v32, v6, s0
	v_cvt_f32_f16_e32 v2, v19
	v_cvt_f32_f16_sdwa v3, v19 dst_sel:DWORD dst_unused:UNUSED_PAD src0_sel:WORD_1
	v_pk_mul_f16 v20, v15, v49 op_sel_hi:[0,1]
	v_pk_mul_f16 v19, v15, v47 op_sel_hi:[0,1]
	v_pack_b32_f16 v32, v10, v11
	v_pack_b32_f16 v33, v8, v23
	v_perm_b32 v9, v34, v9, s0
	s_waitcnt lgkmcnt(3)
	v_perm_b32 v8, v38, v7, s0
	v_mfma_f32_16x16x16f16 v[0:3], v[4:5], v[32:33], v[0:3]
	v_cvt_f32_f16_e32 v4, v20
	v_cvt_f32_f16_sdwa v5, v20 dst_sel:DWORD dst_unused:UNUSED_PAD src0_sel:WORD_1
	v_cvt_f32_f16_e32 v6, v19
	v_cvt_f32_f16_sdwa v7, v19 dst_sel:DWORD dst_unused:UNUSED_PAD src0_sel:WORD_1
	v_add_f32_e32 v19, v12, v13
	v_pk_mul_f16 v10, v15, v46 op_sel_hi:[0,1]
	v_pk_mul_f16 v11, v15, v45 op_sel_hi:[0,1]
	v_perm_b32 v13, v35, v24, s0
	s_waitcnt lgkmcnt(2)
	v_perm_b32 v12, v40, v31, s0
	v_mfma_f32_16x16x16f16 v[4:7], v[8:9], v[32:33], v[4:7]
	v_cvt_f32_f16_e32 v8, v10
	v_cvt_f32_f16_sdwa v9, v10 dst_sel:DWORD dst_unused:UNUSED_PAD src0_sel:WORD_1
	v_cvt_f32_f16_e32 v10, v11
	v_cvt_f32_f16_sdwa v11, v11 dst_sel:DWORD dst_unused:UNUSED_PAD src0_sel:WORD_1
	v_fmac_f32_e32 v19, v59, v14
	v_pk_mul_f16 v14, v15, v44 op_sel_hi:[0,1]
	v_pk_mul_f16 v15, v15, v43 op_sel_hi:[0,1]
	v_perm_b32 v35, v36, v37, s0
	s_waitcnt lgkmcnt(0)
	v_perm_b32 v34, v41, v42, s0
	v_mfma_f32_16x16x16f16 v[8:11], v[12:13], v[32:33], v[8:11]
	v_cvt_f32_f16_e32 v12, v14
	v_cvt_f32_f16_sdwa v13, v14 dst_sel:DWORD dst_unused:UNUSED_PAD src0_sel:WORD_1
	v_cvt_f32_f16_e32 v14, v15
	v_cvt_f32_f16_sdwa v15, v15 dst_sel:DWORD dst_unused:UNUSED_PAD src0_sel:WORD_1
	ds_bpermute_b32 v20, v22, v19
	v_cmp_gt_u32_e64 s[0:1], 16, v25
	s_waitcnt lgkmcnt(0)
	v_mfma_f32_16x16x16f16 v[12:15], v[34:35], v[32:33], v[12:15]
	s_barrier
	v_add_f32_e32 v19, v19, v20
	ds_bpermute_b32 v20, v21, v19
	s_waitcnt lgkmcnt(0)
	s_and_saveexec_b64 s[2:3], s[0:1]
	s_cbranch_execz .LBB0_161
; %bb.160:
	v_add_f32_e32 v19, v19, v20
	v_or_b32_e32 v20, v30, v25
	s_movk_i32 s4, 0x90
	v_mad_i32_i24 v20, v20, s4, 0
	ds_write2_b32 v20, v18, v19 offset0:32 offset1:33
.LBB0_161:
	s_or_b64 exec, exec, s[2:3]
	v_cmp_eq_u32_e32 vcc, 0, v39
	v_cmp_ne_u32_e64 s[2:3], 0, v39
	s_waitcnt lgkmcnt(0)
	s_barrier
	s_and_saveexec_b64 s[4:5], s[2:3]
	s_xor_b64 s[2:3], exec, s[4:5]
	s_cbranch_execz .LBB0_163
; %bb.162:
	s_barrier
	s_waitcnt lgkmcnt(0)
                                        ; implicit-def: $vgpr25
                                        ; implicit-def: $vgpr22
                                        ; implicit-def: $vgpr21
                                        ; implicit-def: $vgpr29
.LBB0_163:
	s_andn2_saveexec_b64 s[4:5], s[2:3]
	s_cbranch_execz .LBB0_167
; %bb.164:
	v_add_u32_e32 v18, v30, v25
	s_movk_i32 s2, 0x90
	v_mad_i32_i24 v19, v18, s2, 0
	ds_read_b64 v[32:33], v19 offset:128
	s_mov_b32 s2, 0x3fb8aa3b
	s_mov_b32 s6, 0x42b17218
	;; [unrolled: 1-line block ×3, first 2 shown]
	s_waitcnt lgkmcnt(0)
	ds_bpermute_b32 v18, v22, v32
	v_max_f32_e32 v20, v32, v32
	s_barrier
	s_waitcnt lgkmcnt(0)
	v_max_f32_e32 v18, v18, v18
	v_max_f32_e32 v18, v20, v18
	ds_bpermute_b32 v20, v21, v18
	s_waitcnt lgkmcnt(0)
	v_max_f32_e32 v20, v20, v20
	v_max_f32_e32 v18, v18, v20
	v_sub_f32_e32 v20, v32, v18
	v_mul_f32_e32 v23, 0x3fb8aa3b, v20
	v_fma_f32 v24, v20, s2, -v23
	v_rndne_f32_e32 v31, v23
	v_fmac_f32_e32 v24, 0x32a5705f, v20
	v_sub_f32_e32 v23, v23, v31
	v_add_f32_e32 v23, v23, v24
	v_cvt_i32_f32_e32 v31, v31
	v_exp_f32_e32 v23, v23
	s_mov_b32 s2, 0xc2ce8ed0
	v_cmp_ngt_f32_e64 s[2:3], s2, v20
	v_mov_b32_e32 v24, 0x7f800000
	v_ldexp_f32 v23, v23, v31
	v_cndmask_b32_e64 v23, 0, v23, s[2:3]
	v_cmp_nlt_f32_e64 s[2:3], s6, v20
	v_cndmask_b32_e64 v20, v24, v23, s[2:3]
	v_mul_f32_e32 v23, v33, v20
	ds_bpermute_b32 v22, v22, v23
	s_waitcnt lgkmcnt(0)
	v_fmac_f32_e32 v22, v33, v20
	ds_bpermute_b32 v21, v21, v22
	s_waitcnt lgkmcnt(0)
	v_add_f32_e32 v21, v22, v21
	ds_write_b64 v19, v[20:21] offset:128
	s_and_saveexec_b64 s[2:3], s[0:1]
	s_cbranch_execz .LBB0_166
; %bb.165:
	s_add_i32 s0, s29, s34
	s_lshl_b32 s8, s0, 4
	s_lshl_b64 s[0:1], s[8:9], 3
	s_add_u32 s0, s50, s0
	v_or_b32_e32 v19, v29, v25
	s_addc_u32 s1, s51, s1
	v_lshlrev_b32_e32 v20, 3, v19
	v_mov_b32_e32 v19, v21
	global_store_dwordx2 v20, v[18:19], s[0:1]
.LBB0_166:
	s_or_b64 exec, exec, s[2:3]
.LBB0_167:
	s_or_b64 exec, exec, s[4:5]
	v_cvt_f16_f32_e32 v0, v0
	v_cvt_f16_f32_e32 v1, v1
	;; [unrolled: 1-line block ×8, first 2 shown]
	v_pack_b32_f16 v2, v2, v3
	v_pack_b32_f16 v0, v0, v1
	;; [unrolled: 1-line block ×4, first 2 shown]
	v_cvt_f16_f32_e32 v4, v8
	v_cvt_f16_f32_e32 v6, v10
	;; [unrolled: 1-line block ×8, first 2 shown]
	v_pack_b32_f16 v6, v6, v7
	v_pack_b32_f16 v7, v8, v11
	v_or_b32_e32 v8, v30, v26
	v_mad_i32_i24 v8, v8, 36, v28
	s_mov_b32 s3, 0
	v_lshl_add_u32 v8, v8, 2, 0
	v_pack_b32_f16 v4, v4, v5
	v_pack_b32_f16 v5, v9, v10
	ds_write2_b32 v8, v0, v2 offset1:1
	ds_write2_b32 v8, v3, v1 offset0:8 offset1:9
	ds_write2_b32 v8, v4, v6 offset0:16 offset1:17
	;; [unrolled: 1-line block ×3, first 2 shown]
	s_waitcnt lgkmcnt(0)
	s_barrier
	s_and_saveexec_b64 s[0:1], vcc
	s_cbranch_execz .LBB0_169
; %bb.168:
	s_lshl_b32 s2, s29, 5
	s_lshl_b64 s[4:5], s[2:3], 3
	s_add_u32 s4, s50, s4
	s_addc_u32 s5, s51, s5
	s_lshl_b32 s2, s34, 9
	v_lshrrev_b32_e32 v0, 1, v27
	s_lshl_b64 s[2:3], s[2:3], 3
	v_add_u32_e32 v12, v17, v0
	s_add_u32 s2, s4, s2
	v_lshlrev_b32_e32 v0, 2, v12
	v_and_b32_e32 v1, 15, v12
	s_movk_i32 s4, 0xfc0
	v_and_or_b32 v0, v0, s4, v1
	s_movk_i32 s4, 0x90
	v_mad_u32_u24 v2, v0, s4, 0
	v_lshlrev_b32_e32 v13, 2, v16
	v_add_u32_e32 v4, 0x80, v2
	v_add_u32_e32 v6, v2, v13
	ds_read2st64_b32 v[0:1], v4 offset1:9
	ds_read2st64_b32 v[2:3], v6 offset1:9
	ds_read2st64_b32 v[4:5], v4 offset0:18 offset1:27
	ds_read2st64_b32 v[6:7], v6 offset0:18 offset1:27
	s_addc_u32 s3, s5, s3
	s_movk_i32 s5, 0x1fc0
	s_waitcnt lgkmcnt(2)
	v_cvt_f32_f16_e32 v8, v2
	v_cvt_f32_f16_sdwa v9, v2 dst_sel:DWORD dst_unused:UNUSED_PAD src0_sel:WORD_1
	v_cvt_f32_f16_e32 v2, v3
	v_cvt_f32_f16_sdwa v3, v3 dst_sel:DWORD dst_unused:UNUSED_PAD src0_sel:WORD_1
	s_waitcnt lgkmcnt(0)
	v_cvt_f32_f16_e32 v10, v6
	v_cvt_f32_f16_sdwa v11, v6 dst_sel:DWORD dst_unused:UNUSED_PAD src0_sel:WORD_1
	v_pk_fma_f32 v[8:9], v[0:1], v[8:9], 0 op_sel_hi:[0,1,0]
	v_mov_b32_e32 v0, v1
	v_pk_fma_f32 v[0:1], v[0:1], v[2:3], v[8:9] op_sel_hi:[0,1,1]
	v_pk_fma_f32 v[0:1], v[4:5], v[10:11], v[0:1] op_sel_hi:[0,1,1]
	v_add_u32_e32 v10, 2, v12
	v_cvt_f32_f16_e32 v2, v7
	v_cvt_f32_f16_sdwa v3, v7 dst_sel:DWORD dst_unused:UNUSED_PAD src0_sel:WORD_1
	v_mov_b32_e32 v4, v5
	v_lshlrev_b32_e32 v5, 2, v10
	v_and_b32_e32 v6, 15, v10
	v_and_or_b32 v5, v5, s5, v6
	v_mad_u32_u24 v5, v5, s4, 0
	v_lshlrev_b32_e32 v14, 3, v16
	v_add_u32_e32 v8, v5, v13
	v_lshl_or_b32 v15, v12, 8, v14
	ds_read2st64_b32 v[6:7], v8 offset1:9
	v_pk_fma_f32 v[0:1], v[4:5], v[2:3], v[0:1] op_sel_hi:[0,1,1]
	global_store_dwordx2 v15, v[0:1], s[2:3]
	v_add_u32_e32 v4, 0x80, v5
	ds_read2st64_b32 v[0:1], v4 offset1:9
	ds_read2st64_b32 v[4:5], v4 offset0:18 offset1:27
	ds_read2st64_b32 v[8:9], v8 offset0:18 offset1:27
	s_waitcnt lgkmcnt(3)
	v_cvt_f32_f16_e32 v2, v6
	v_cvt_f32_f16_sdwa v3, v6 dst_sel:DWORD dst_unused:UNUSED_PAD src0_sel:WORD_1
	v_cvt_f32_f16_e32 v6, v7
	v_cvt_f32_f16_sdwa v7, v7 dst_sel:DWORD dst_unused:UNUSED_PAD src0_sel:WORD_1
	v_lshl_or_b32 v15, v10, 8, v14
	s_waitcnt lgkmcnt(0)
	v_cvt_f32_f16_e32 v10, v8
	v_cvt_f32_f16_sdwa v11, v8 dst_sel:DWORD dst_unused:UNUSED_PAD src0_sel:WORD_1
	v_cvt_f32_f16_e32 v8, v9
	v_cvt_f32_f16_sdwa v9, v9 dst_sel:DWORD dst_unused:UNUSED_PAD src0_sel:WORD_1
	v_pk_fma_f32 v[2:3], v[0:1], v[2:3], 0 op_sel_hi:[0,1,0]
	v_mov_b32_e32 v0, v1
	v_pk_fma_f32 v[0:1], v[0:1], v[6:7], v[2:3] op_sel_hi:[0,1,1]
	v_pk_fma_f32 v[0:1], v[4:5], v[10:11], v[0:1] op_sel_hi:[0,1,1]
	v_mov_b32_e32 v2, v5
	v_pk_fma_f32 v[0:1], v[2:3], v[8:9], v[0:1] op_sel_hi:[0,1,1]
	v_add_u32_e32 v8, 4, v12
	global_store_dwordx2 v15, v[0:1], s[2:3]
	v_lshlrev_b32_e32 v0, 2, v8
	v_and_b32_e32 v1, 15, v8
	v_and_or_b32 v0, v0, s5, v1
	v_mad_u32_u24 v0, v0, s4, 0
	v_add_u32_e32 v4, 0x80, v0
	v_add_u32_e32 v6, v0, v13
	ds_read2st64_b32 v[0:1], v6 offset1:9
	ds_read2st64_b32 v[2:3], v4 offset1:9
	ds_read2st64_b32 v[4:5], v4 offset0:18 offset1:27
	ds_read2st64_b32 v[6:7], v6 offset0:18 offset1:27
	v_lshl_or_b32 v15, v8, 8, v14
	s_waitcnt lgkmcnt(3)
	v_cvt_f32_f16_e32 v8, v0
	v_cvt_f32_f16_sdwa v9, v0 dst_sel:DWORD dst_unused:UNUSED_PAD src0_sel:WORD_1
	v_cvt_f32_f16_e32 v0, v1
	v_cvt_f32_f16_sdwa v1, v1 dst_sel:DWORD dst_unused:UNUSED_PAD src0_sel:WORD_1
	s_waitcnt lgkmcnt(0)
	v_cvt_f32_f16_e32 v10, v6
	v_cvt_f32_f16_sdwa v11, v6 dst_sel:DWORD dst_unused:UNUSED_PAD src0_sel:WORD_1
	v_pk_fma_f32 v[8:9], v[2:3], v[8:9], 0 op_sel_hi:[0,1,0]
	v_mov_b32_e32 v2, v3
	v_pk_fma_f32 v[0:1], v[2:3], v[0:1], v[8:9] op_sel_hi:[0,1,1]
	v_pk_fma_f32 v[0:1], v[4:5], v[10:11], v[0:1] op_sel_hi:[0,1,1]
	v_add_u32_e32 v10, 6, v12
	v_cvt_f32_f16_e32 v2, v7
	v_cvt_f32_f16_sdwa v3, v7 dst_sel:DWORD dst_unused:UNUSED_PAD src0_sel:WORD_1
	v_mov_b32_e32 v4, v5
	v_lshlrev_b32_e32 v5, 2, v10
	v_and_b32_e32 v6, 15, v10
	v_and_or_b32 v5, v5, s5, v6
	v_mad_u32_u24 v5, v5, s4, 0
	v_add_u32_e32 v8, v5, v13
	ds_read2st64_b32 v[6:7], v8 offset1:9
	v_pk_fma_f32 v[0:1], v[4:5], v[2:3], v[0:1] op_sel_hi:[0,1,1]
	global_store_dwordx2 v15, v[0:1], s[2:3]
	v_add_u32_e32 v4, 0x80, v5
	ds_read2st64_b32 v[0:1], v4 offset1:9
	ds_read2st64_b32 v[4:5], v4 offset0:18 offset1:27
	ds_read2st64_b32 v[8:9], v8 offset0:18 offset1:27
	s_waitcnt lgkmcnt(3)
	v_cvt_f32_f16_e32 v2, v6
	v_cvt_f32_f16_sdwa v3, v6 dst_sel:DWORD dst_unused:UNUSED_PAD src0_sel:WORD_1
	v_cvt_f32_f16_e32 v6, v7
	v_cvt_f32_f16_sdwa v7, v7 dst_sel:DWORD dst_unused:UNUSED_PAD src0_sel:WORD_1
	v_lshl_or_b32 v15, v10, 8, v14
	s_waitcnt lgkmcnt(0)
	v_cvt_f32_f16_e32 v10, v8
	v_cvt_f32_f16_sdwa v11, v8 dst_sel:DWORD dst_unused:UNUSED_PAD src0_sel:WORD_1
	v_cvt_f32_f16_e32 v8, v9
	v_cvt_f32_f16_sdwa v9, v9 dst_sel:DWORD dst_unused:UNUSED_PAD src0_sel:WORD_1
	v_pk_fma_f32 v[2:3], v[0:1], v[2:3], 0 op_sel_hi:[0,1,0]
	v_mov_b32_e32 v0, v1
	v_pk_fma_f32 v[0:1], v[0:1], v[6:7], v[2:3] op_sel_hi:[0,1,1]
	v_pk_fma_f32 v[0:1], v[4:5], v[10:11], v[0:1] op_sel_hi:[0,1,1]
	v_mov_b32_e32 v2, v5
	v_pk_fma_f32 v[0:1], v[2:3], v[8:9], v[0:1] op_sel_hi:[0,1,1]
	v_add_u32_e32 v8, 8, v12
	global_store_dwordx2 v15, v[0:1], s[2:3]
	v_lshlrev_b32_e32 v0, 2, v8
	v_and_b32_e32 v1, 15, v8
	v_and_or_b32 v0, v0, s5, v1
	v_mad_u32_u24 v0, v0, s4, 0
	v_add_u32_e32 v4, 0x80, v0
	v_add_u32_e32 v6, v0, v13
	ds_read2st64_b32 v[0:1], v6 offset1:9
	ds_read2st64_b32 v[2:3], v4 offset1:9
	ds_read2st64_b32 v[4:5], v4 offset0:18 offset1:27
	ds_read2st64_b32 v[6:7], v6 offset0:18 offset1:27
	v_lshl_or_b32 v15, v8, 8, v14
	s_waitcnt lgkmcnt(3)
	v_cvt_f32_f16_e32 v8, v0
	v_cvt_f32_f16_sdwa v9, v0 dst_sel:DWORD dst_unused:UNUSED_PAD src0_sel:WORD_1
	v_cvt_f32_f16_e32 v0, v1
	v_cvt_f32_f16_sdwa v1, v1 dst_sel:DWORD dst_unused:UNUSED_PAD src0_sel:WORD_1
	s_waitcnt lgkmcnt(0)
	v_cvt_f32_f16_e32 v10, v6
	v_cvt_f32_f16_sdwa v11, v6 dst_sel:DWORD dst_unused:UNUSED_PAD src0_sel:WORD_1
	v_pk_fma_f32 v[8:9], v[2:3], v[8:9], 0 op_sel_hi:[0,1,0]
	v_mov_b32_e32 v2, v3
	v_pk_fma_f32 v[0:1], v[2:3], v[0:1], v[8:9] op_sel_hi:[0,1,1]
	v_pk_fma_f32 v[0:1], v[4:5], v[10:11], v[0:1] op_sel_hi:[0,1,1]
	v_add_u32_e32 v10, 10, v12
	v_cvt_f32_f16_e32 v2, v7
	v_cvt_f32_f16_sdwa v3, v7 dst_sel:DWORD dst_unused:UNUSED_PAD src0_sel:WORD_1
	v_mov_b32_e32 v4, v5
	v_lshlrev_b32_e32 v5, 2, v10
	v_and_b32_e32 v6, 15, v10
	v_and_or_b32 v5, v5, s5, v6
	v_mad_u32_u24 v5, v5, s4, 0
	v_add_u32_e32 v8, v5, v13
	;; [unrolled: 58-line block ×3, first 2 shown]
	ds_read2st64_b32 v[6:7], v8 offset1:9
	v_pk_fma_f32 v[0:1], v[4:5], v[2:3], v[0:1] op_sel_hi:[0,1,1]
	global_store_dwordx2 v15, v[0:1], s[2:3]
	v_add_u32_e32 v4, 0x80, v5
	ds_read2st64_b32 v[0:1], v4 offset1:9
	ds_read2st64_b32 v[4:5], v4 offset0:18 offset1:27
	ds_read2st64_b32 v[8:9], v8 offset0:18 offset1:27
	s_waitcnt lgkmcnt(3)
	v_cvt_f32_f16_e32 v2, v6
	v_cvt_f32_f16_sdwa v3, v6 dst_sel:DWORD dst_unused:UNUSED_PAD src0_sel:WORD_1
	v_cvt_f32_f16_e32 v6, v7
	v_cvt_f32_f16_sdwa v7, v7 dst_sel:DWORD dst_unused:UNUSED_PAD src0_sel:WORD_1
	v_lshl_or_b32 v12, v10, 8, v14
	s_waitcnt lgkmcnt(0)
	v_cvt_f32_f16_e32 v10, v8
	v_cvt_f32_f16_sdwa v11, v8 dst_sel:DWORD dst_unused:UNUSED_PAD src0_sel:WORD_1
	v_cvt_f32_f16_e32 v8, v9
	v_cvt_f32_f16_sdwa v9, v9 dst_sel:DWORD dst_unused:UNUSED_PAD src0_sel:WORD_1
	v_pk_fma_f32 v[2:3], v[0:1], v[2:3], 0 op_sel_hi:[0,1,0]
	v_mov_b32_e32 v0, v1
	v_pk_fma_f32 v[0:1], v[0:1], v[6:7], v[2:3] op_sel_hi:[0,1,1]
	v_pk_fma_f32 v[0:1], v[4:5], v[10:11], v[0:1] op_sel_hi:[0,1,1]
	v_mov_b32_e32 v2, v5
	v_pk_fma_f32 v[0:1], v[2:3], v[8:9], v[0:1] op_sel_hi:[0,1,1]
	global_store_dwordx2 v12, v[0:1], s[2:3]
.LBB0_169:
	s_or_b64 exec, exec, s[0:1]
	s_barrier
	s_endpgm
	.section	.rodata,"a",@progbits
	.p2align	6, 0x0
	.amdhsa_kernel _ZL18flash_attn_ext_f16ILi64ELi64ELi8ELi2ELb0ELb0EEvPKcS1_S1_S1_S1_PKiPfP15HIP_vector_typeIfLj2EEffffjfiS5_IjLj3EEiiiiiiiiiiiliiliiiiil
		.amdhsa_group_segment_fixed_size 0
		.amdhsa_private_segment_fixed_size 0
		.amdhsa_kernarg_size 464
		.amdhsa_user_sgpr_count 6
		.amdhsa_user_sgpr_private_segment_buffer 1
		.amdhsa_user_sgpr_dispatch_ptr 0
		.amdhsa_user_sgpr_queue_ptr 0
		.amdhsa_user_sgpr_kernarg_segment_ptr 1
		.amdhsa_user_sgpr_dispatch_id 0
		.amdhsa_user_sgpr_flat_scratch_init 0
		.amdhsa_user_sgpr_kernarg_preload_length 0
		.amdhsa_user_sgpr_kernarg_preload_offset 0
		.amdhsa_user_sgpr_private_segment_size 0
		.amdhsa_uses_dynamic_stack 0
		.amdhsa_system_sgpr_private_segment_wavefront_offset 0
		.amdhsa_system_sgpr_workgroup_id_x 1
		.amdhsa_system_sgpr_workgroup_id_y 0
		.amdhsa_system_sgpr_workgroup_id_z 0
		.amdhsa_system_sgpr_workgroup_info 0
		.amdhsa_system_vgpr_workitem_id 1
		.amdhsa_next_free_vgpr 148
		.amdhsa_next_free_sgpr 96
		.amdhsa_accum_offset 148
		.amdhsa_reserve_vcc 1
		.amdhsa_reserve_flat_scratch 0
		.amdhsa_float_round_mode_32 0
		.amdhsa_float_round_mode_16_64 0
		.amdhsa_float_denorm_mode_32 3
		.amdhsa_float_denorm_mode_16_64 3
		.amdhsa_dx10_clamp 1
		.amdhsa_ieee_mode 1
		.amdhsa_fp16_overflow 0
		.amdhsa_tg_split 0
		.amdhsa_exception_fp_ieee_invalid_op 0
		.amdhsa_exception_fp_denorm_src 0
		.amdhsa_exception_fp_ieee_div_zero 0
		.amdhsa_exception_fp_ieee_overflow 0
		.amdhsa_exception_fp_ieee_underflow 0
		.amdhsa_exception_fp_ieee_inexact 0
		.amdhsa_exception_int_div_zero 0
	.end_amdhsa_kernel
	.section	.text._ZL18flash_attn_ext_f16ILi64ELi64ELi8ELi2ELb0ELb0EEvPKcS1_S1_S1_S1_PKiPfP15HIP_vector_typeIfLj2EEffffjfiS5_IjLj3EEiiiiiiiiiiiliiliiiiil,"axG",@progbits,_ZL18flash_attn_ext_f16ILi64ELi64ELi8ELi2ELb0ELb0EEvPKcS1_S1_S1_S1_PKiPfP15HIP_vector_typeIfLj2EEffffjfiS5_IjLj3EEiiiiiiiiiiiliiliiiiil,comdat
.Lfunc_end0:
	.size	_ZL18flash_attn_ext_f16ILi64ELi64ELi8ELi2ELb0ELb0EEvPKcS1_S1_S1_S1_PKiPfP15HIP_vector_typeIfLj2EEffffjfiS5_IjLj3EEiiiiiiiiiiiliiliiiiil, .Lfunc_end0-_ZL18flash_attn_ext_f16ILi64ELi64ELi8ELi2ELb0ELb0EEvPKcS1_S1_S1_S1_PKiPfP15HIP_vector_typeIfLj2EEffffjfiS5_IjLj3EEiiiiiiiiiiiliiliiiiil
                                        ; -- End function
	.section	.AMDGPU.csdata,"",@progbits
; Kernel info:
; codeLenInByte = 25856
; NumSgprs: 100
; NumVgprs: 148
; NumAgprs: 0
; TotalNumVgprs: 148
; ScratchSize: 0
; MemoryBound: 0
; FloatMode: 240
; IeeeMode: 1
; LDSByteSize: 0 bytes/workgroup (compile time only)
; SGPRBlocks: 12
; VGPRBlocks: 18
; NumSGPRsForWavesPerEU: 100
; NumVGPRsForWavesPerEU: 148
; AccumOffset: 148
; Occupancy: 3
; WaveLimiterHint : 0
; COMPUTE_PGM_RSRC2:SCRATCH_EN: 0
; COMPUTE_PGM_RSRC2:USER_SGPR: 6
; COMPUTE_PGM_RSRC2:TRAP_HANDLER: 0
; COMPUTE_PGM_RSRC2:TGID_X_EN: 1
; COMPUTE_PGM_RSRC2:TGID_Y_EN: 0
; COMPUTE_PGM_RSRC2:TGID_Z_EN: 0
; COMPUTE_PGM_RSRC2:TIDIG_COMP_CNT: 1
; COMPUTE_PGM_RSRC3_GFX90A:ACCUM_OFFSET: 36
; COMPUTE_PGM_RSRC3_GFX90A:TG_SPLIT: 0
	.text
	.p2align	2                               ; -- Begin function __ockl_printf_append_string_n
	.type	__ockl_printf_append_string_n,@function
__ockl_printf_append_string_n:          ; @__ockl_printf_append_string_n
; %bb.0:
	s_waitcnt vmcnt(0) expcnt(0) lgkmcnt(0)
	v_mov_b32_e32 v7, v3
	v_mov_b32_e32 v6, v2
	;; [unrolled: 1-line block ×3, first 2 shown]
	s_mov_b64 s[6:7], 0
	v_cmp_ne_u64_e32 vcc, 0, v[6:7]
	v_mbcnt_lo_u32_b32 v2, -1, 0
	s_and_saveexec_b64 s[4:5], vcc
	s_xor_b64 s[10:11], exec, s[4:5]
	s_cbranch_execz .LBB1_86
; %bb.1:
	s_load_dwordx2 s[12:13], s[8:9], 0x50
	v_and_b32_e32 v28, 2, v3
	s_mov_b32 s22, 0
	v_mov_b32_e32 v31, 0
	v_and_b32_e32 v0, -3, v3
	v_mbcnt_hi_u32_b32 v32, -1, v2
	s_movk_i32 s23, 0xff1f
	v_mov_b32_e32 v10, 2
	v_mov_b32_e32 v11, 1
	s_branch .LBB1_3
.LBB1_2:                                ;   in Loop: Header=BB1_3 Depth=1
	s_or_b64 exec, exec, s[16:17]
	v_sub_co_u32_e32 v4, vcc, v4, v34
	v_subb_co_u32_e32 v5, vcc, v5, v35, vcc
	v_cmp_eq_u64_e32 vcc, 0, v[4:5]
	s_or_b64 s[6:7], vcc, s[6:7]
	v_add_co_u32_e32 v6, vcc, v6, v34
	v_addc_co_u32_e32 v7, vcc, v7, v35, vcc
	s_andn2_b64 exec, exec, s[6:7]
	s_cbranch_execz .LBB1_85
.LBB1_3:                                ; =>This Loop Header: Depth=1
                                        ;     Child Loop BB1_6 Depth 2
                                        ;     Child Loop BB1_14 Depth 2
	;; [unrolled: 1-line block ×11, first 2 shown]
	v_cmp_gt_u64_e32 vcc, 56, v[4:5]
	v_cndmask_b32_e32 v35, 0, v5, vcc
	v_cndmask_b32_e32 v34, 56, v4, vcc
	v_cmp_gt_u64_e32 vcc, 8, v[4:5]
                                        ; implicit-def: $vgpr2_vgpr3
                                        ; implicit-def: $sgpr14
	s_and_saveexec_b64 s[4:5], vcc
	s_xor_b64 s[4:5], exec, s[4:5]
	s_cbranch_execz .LBB1_9
; %bb.4:                                ;   in Loop: Header=BB1_3 Depth=1
	s_mov_b64 s[16:17], 0
	v_cmp_ne_u64_e32 vcc, 0, v[4:5]
	s_waitcnt vmcnt(0)
	v_pk_mov_b32 v[2:3], 0, 0
	s_and_saveexec_b64 s[14:15], vcc
	s_cbranch_execz .LBB1_8
; %bb.5:                                ;   in Loop: Header=BB1_3 Depth=1
	v_lshlrev_b64 v[8:9], 3, v[34:35]
	v_pk_mov_b32 v[2:3], 0, 0
	v_pk_mov_b32 v[12:13], v[6:7], v[6:7] op_sel:[0,1]
	s_mov_b64 s[18:19], 0
.LBB1_6:                                ;   Parent Loop BB1_3 Depth=1
                                        ; =>  This Inner Loop Header: Depth=2
	flat_load_ubyte v9, v[12:13]
	v_mov_b32_e32 v15, s22
	v_add_co_u32_e32 v12, vcc, 1, v12
	v_addc_co_u32_e32 v13, vcc, 0, v13, vcc
	s_waitcnt vmcnt(0) lgkmcnt(0)
	v_and_b32_e32 v14, 0xffff, v9
	v_lshlrev_b64 v[14:15], s18, v[14:15]
	s_add_u32 s18, s18, 8
	s_addc_u32 s19, s19, 0
	v_cmp_eq_u32_e32 vcc, s18, v8
	v_or_b32_e32 v3, v15, v3
	s_or_b64 s[16:17], vcc, s[16:17]
	v_or_b32_e32 v2, v14, v2
	s_andn2_b64 exec, exec, s[16:17]
	s_cbranch_execnz .LBB1_6
; %bb.7:                                ;   in Loop: Header=BB1_3 Depth=1
	s_or_b64 exec, exec, s[16:17]
.LBB1_8:                                ;   in Loop: Header=BB1_3 Depth=1
	s_or_b64 exec, exec, s[14:15]
	s_mov_b32 s14, 0
.LBB1_9:                                ;   in Loop: Header=BB1_3 Depth=1
	s_or_saveexec_b64 s[4:5], s[4:5]
	v_mov_b32_e32 v14, s14
	v_pk_mov_b32 v[8:9], v[6:7], v[6:7] op_sel:[0,1]
	s_xor_b64 exec, exec, s[4:5]
	s_cbranch_execz .LBB1_11
; %bb.10:                               ;   in Loop: Header=BB1_3 Depth=1
	s_waitcnt vmcnt(0)
	flat_load_dwordx2 v[2:3], v[6:7]
	v_add_u32_e32 v14, -8, v34
	s_waitcnt vmcnt(0) lgkmcnt(0)
	v_and_b32_e32 v8, 0xff, v3
	v_and_b32_e32 v9, 0xff00, v3
	;; [unrolled: 1-line block ×4, first 2 shown]
	v_or_b32_e32 v8, v8, v9
	v_or3_b32 v3, v8, v12, v3
	v_add_co_u32_e32 v8, vcc, 8, v6
	v_or3_b32 v2, v2, 0, 0
	v_addc_co_u32_e32 v9, vcc, 0, v7, vcc
.LBB1_11:                               ;   in Loop: Header=BB1_3 Depth=1
	s_or_b64 exec, exec, s[4:5]
	v_cmp_gt_u32_e32 vcc, 8, v14
                                        ; implicit-def: $vgpr12_vgpr13
                                        ; implicit-def: $sgpr14
	s_and_saveexec_b64 s[4:5], vcc
	s_xor_b64 s[4:5], exec, s[4:5]
	s_cbranch_execz .LBB1_17
; %bb.12:                               ;   in Loop: Header=BB1_3 Depth=1
	v_cmp_ne_u32_e32 vcc, 0, v14
	v_pk_mov_b32 v[12:13], 0, 0
	s_and_saveexec_b64 s[14:15], vcc
	s_cbranch_execz .LBB1_16
; %bb.13:                               ;   in Loop: Header=BB1_3 Depth=1
	s_mov_b64 s[16:17], 0
	v_pk_mov_b32 v[12:13], 0, 0
	s_mov_b64 s[18:19], 0
	s_mov_b64 s[20:21], 0
.LBB1_14:                               ;   Parent Loop BB1_3 Depth=1
                                        ; =>  This Inner Loop Header: Depth=2
	v_mov_b32_e32 v15, s21
	v_add_co_u32_e32 v16, vcc, s20, v8
	v_addc_co_u32_e32 v17, vcc, v9, v15, vcc
	flat_load_ubyte v15, v[16:17]
	s_add_u32 s20, s20, 1
	v_mov_b32_e32 v17, s22
	s_addc_u32 s21, s21, 0
	v_cmp_eq_u32_e32 vcc, s20, v14
	s_waitcnt vmcnt(0) lgkmcnt(0)
	v_and_b32_e32 v16, 0xffff, v15
	v_lshlrev_b64 v[16:17], s18, v[16:17]
	s_add_u32 s18, s18, 8
	s_addc_u32 s19, s19, 0
	v_or_b32_e32 v13, v17, v13
	s_or_b64 s[16:17], vcc, s[16:17]
	v_or_b32_e32 v12, v16, v12
	s_andn2_b64 exec, exec, s[16:17]
	s_cbranch_execnz .LBB1_14
; %bb.15:                               ;   in Loop: Header=BB1_3 Depth=1
	s_or_b64 exec, exec, s[16:17]
.LBB1_16:                               ;   in Loop: Header=BB1_3 Depth=1
	s_or_b64 exec, exec, s[14:15]
	s_mov_b32 s14, 0
                                        ; implicit-def: $vgpr14
.LBB1_17:                               ;   in Loop: Header=BB1_3 Depth=1
	s_or_saveexec_b64 s[4:5], s[4:5]
	v_mov_b32_e32 v16, s14
	s_xor_b64 exec, exec, s[4:5]
	s_cbranch_execz .LBB1_19
; %bb.18:                               ;   in Loop: Header=BB1_3 Depth=1
	flat_load_dwordx2 v[12:13], v[8:9]
	v_add_u32_e32 v16, -8, v14
	v_add_co_u32_e32 v8, vcc, 8, v8
	v_addc_co_u32_e32 v9, vcc, 0, v9, vcc
	s_waitcnt vmcnt(0) lgkmcnt(0)
	v_and_b32_e32 v14, 0xff, v13
	v_and_b32_e32 v15, 0xff00, v13
	;; [unrolled: 1-line block ×4, first 2 shown]
	v_or_b32_e32 v14, v14, v15
	v_or3_b32 v12, v12, 0, 0
	v_or3_b32 v13, v14, v17, v13
.LBB1_19:                               ;   in Loop: Header=BB1_3 Depth=1
	s_or_b64 exec, exec, s[4:5]
	v_cmp_gt_u32_e32 vcc, 8, v16
                                        ; implicit-def: $sgpr14
	s_and_saveexec_b64 s[4:5], vcc
	s_xor_b64 s[4:5], exec, s[4:5]
	s_cbranch_execz .LBB1_25
; %bb.20:                               ;   in Loop: Header=BB1_3 Depth=1
	v_cmp_ne_u32_e32 vcc, 0, v16
	v_pk_mov_b32 v[14:15], 0, 0
	s_and_saveexec_b64 s[14:15], vcc
	s_cbranch_execz .LBB1_24
; %bb.21:                               ;   in Loop: Header=BB1_3 Depth=1
	s_mov_b64 s[16:17], 0
	v_pk_mov_b32 v[14:15], 0, 0
	s_mov_b64 s[18:19], 0
	s_mov_b64 s[20:21], 0
.LBB1_22:                               ;   Parent Loop BB1_3 Depth=1
                                        ; =>  This Inner Loop Header: Depth=2
	v_mov_b32_e32 v17, s21
	v_add_co_u32_e32 v18, vcc, s20, v8
	v_addc_co_u32_e32 v19, vcc, v9, v17, vcc
	flat_load_ubyte v17, v[18:19]
	s_add_u32 s20, s20, 1
	v_mov_b32_e32 v19, s22
	s_addc_u32 s21, s21, 0
	v_cmp_eq_u32_e32 vcc, s20, v16
	s_waitcnt vmcnt(0) lgkmcnt(0)
	v_and_b32_e32 v18, 0xffff, v17
	v_lshlrev_b64 v[18:19], s18, v[18:19]
	s_add_u32 s18, s18, 8
	s_addc_u32 s19, s19, 0
	v_or_b32_e32 v15, v19, v15
	s_or_b64 s[16:17], vcc, s[16:17]
	v_or_b32_e32 v14, v18, v14
	s_andn2_b64 exec, exec, s[16:17]
	s_cbranch_execnz .LBB1_22
; %bb.23:                               ;   in Loop: Header=BB1_3 Depth=1
	s_or_b64 exec, exec, s[16:17]
.LBB1_24:                               ;   in Loop: Header=BB1_3 Depth=1
	s_or_b64 exec, exec, s[14:15]
	s_mov_b32 s14, 0
                                        ; implicit-def: $vgpr16
.LBB1_25:                               ;   in Loop: Header=BB1_3 Depth=1
	s_or_saveexec_b64 s[4:5], s[4:5]
	v_mov_b32_e32 v18, s14
	s_xor_b64 exec, exec, s[4:5]
	s_cbranch_execz .LBB1_27
; %bb.26:                               ;   in Loop: Header=BB1_3 Depth=1
	flat_load_dwordx2 v[14:15], v[8:9]
	v_add_u32_e32 v18, -8, v16
	v_add_co_u32_e32 v8, vcc, 8, v8
	v_addc_co_u32_e32 v9, vcc, 0, v9, vcc
	s_waitcnt vmcnt(0) lgkmcnt(0)
	v_and_b32_e32 v16, 0xff, v15
	v_and_b32_e32 v17, 0xff00, v15
	;; [unrolled: 1-line block ×4, first 2 shown]
	v_or_b32_e32 v16, v16, v17
	v_or3_b32 v14, v14, 0, 0
	v_or3_b32 v15, v16, v19, v15
.LBB1_27:                               ;   in Loop: Header=BB1_3 Depth=1
	s_or_b64 exec, exec, s[4:5]
	v_cmp_gt_u32_e32 vcc, 8, v18
                                        ; implicit-def: $vgpr16_vgpr17
                                        ; implicit-def: $sgpr14
	s_and_saveexec_b64 s[4:5], vcc
	s_xor_b64 s[4:5], exec, s[4:5]
	s_cbranch_execz .LBB1_33
; %bb.28:                               ;   in Loop: Header=BB1_3 Depth=1
	v_cmp_ne_u32_e32 vcc, 0, v18
	v_pk_mov_b32 v[16:17], 0, 0
	s_and_saveexec_b64 s[14:15], vcc
	s_cbranch_execz .LBB1_32
; %bb.29:                               ;   in Loop: Header=BB1_3 Depth=1
	s_mov_b64 s[16:17], 0
	v_pk_mov_b32 v[16:17], 0, 0
	s_mov_b64 s[18:19], 0
	s_mov_b64 s[20:21], 0
.LBB1_30:                               ;   Parent Loop BB1_3 Depth=1
                                        ; =>  This Inner Loop Header: Depth=2
	v_mov_b32_e32 v19, s21
	v_add_co_u32_e32 v20, vcc, s20, v8
	v_addc_co_u32_e32 v21, vcc, v9, v19, vcc
	flat_load_ubyte v19, v[20:21]
	s_add_u32 s20, s20, 1
	v_mov_b32_e32 v21, s22
	s_addc_u32 s21, s21, 0
	v_cmp_eq_u32_e32 vcc, s20, v18
	s_waitcnt vmcnt(0) lgkmcnt(0)
	v_and_b32_e32 v20, 0xffff, v19
	v_lshlrev_b64 v[20:21], s18, v[20:21]
	s_add_u32 s18, s18, 8
	s_addc_u32 s19, s19, 0
	v_or_b32_e32 v17, v21, v17
	s_or_b64 s[16:17], vcc, s[16:17]
	v_or_b32_e32 v16, v20, v16
	s_andn2_b64 exec, exec, s[16:17]
	s_cbranch_execnz .LBB1_30
; %bb.31:                               ;   in Loop: Header=BB1_3 Depth=1
	s_or_b64 exec, exec, s[16:17]
.LBB1_32:                               ;   in Loop: Header=BB1_3 Depth=1
	s_or_b64 exec, exec, s[14:15]
	s_mov_b32 s14, 0
                                        ; implicit-def: $vgpr18
.LBB1_33:                               ;   in Loop: Header=BB1_3 Depth=1
	s_or_saveexec_b64 s[4:5], s[4:5]
	v_mov_b32_e32 v20, s14
	s_xor_b64 exec, exec, s[4:5]
	s_cbranch_execz .LBB1_35
; %bb.34:                               ;   in Loop: Header=BB1_3 Depth=1
	flat_load_dwordx2 v[16:17], v[8:9]
	v_add_u32_e32 v20, -8, v18
	v_add_co_u32_e32 v8, vcc, 8, v8
	v_addc_co_u32_e32 v9, vcc, 0, v9, vcc
	s_waitcnt vmcnt(0) lgkmcnt(0)
	v_and_b32_e32 v18, 0xff, v17
	v_and_b32_e32 v19, 0xff00, v17
	;; [unrolled: 1-line block ×4, first 2 shown]
	v_or_b32_e32 v18, v18, v19
	v_or3_b32 v16, v16, 0, 0
	v_or3_b32 v17, v18, v21, v17
.LBB1_35:                               ;   in Loop: Header=BB1_3 Depth=1
	s_or_b64 exec, exec, s[4:5]
	v_cmp_gt_u32_e32 vcc, 8, v20
                                        ; implicit-def: $sgpr14
	s_and_saveexec_b64 s[4:5], vcc
	s_xor_b64 s[4:5], exec, s[4:5]
	s_cbranch_execz .LBB1_41
; %bb.36:                               ;   in Loop: Header=BB1_3 Depth=1
	v_cmp_ne_u32_e32 vcc, 0, v20
	v_pk_mov_b32 v[18:19], 0, 0
	s_and_saveexec_b64 s[14:15], vcc
	s_cbranch_execz .LBB1_40
; %bb.37:                               ;   in Loop: Header=BB1_3 Depth=1
	s_mov_b64 s[16:17], 0
	v_pk_mov_b32 v[18:19], 0, 0
	s_mov_b64 s[18:19], 0
	s_mov_b64 s[20:21], 0
.LBB1_38:                               ;   Parent Loop BB1_3 Depth=1
                                        ; =>  This Inner Loop Header: Depth=2
	v_mov_b32_e32 v21, s21
	v_add_co_u32_e32 v22, vcc, s20, v8
	v_addc_co_u32_e32 v23, vcc, v9, v21, vcc
	flat_load_ubyte v21, v[22:23]
	s_add_u32 s20, s20, 1
	v_mov_b32_e32 v23, s22
	s_addc_u32 s21, s21, 0
	v_cmp_eq_u32_e32 vcc, s20, v20
	s_waitcnt vmcnt(0) lgkmcnt(0)
	v_and_b32_e32 v22, 0xffff, v21
	v_lshlrev_b64 v[22:23], s18, v[22:23]
	s_add_u32 s18, s18, 8
	s_addc_u32 s19, s19, 0
	v_or_b32_e32 v19, v23, v19
	s_or_b64 s[16:17], vcc, s[16:17]
	v_or_b32_e32 v18, v22, v18
	s_andn2_b64 exec, exec, s[16:17]
	s_cbranch_execnz .LBB1_38
; %bb.39:                               ;   in Loop: Header=BB1_3 Depth=1
	s_or_b64 exec, exec, s[16:17]
.LBB1_40:                               ;   in Loop: Header=BB1_3 Depth=1
	s_or_b64 exec, exec, s[14:15]
	s_mov_b32 s14, 0
                                        ; implicit-def: $vgpr20
.LBB1_41:                               ;   in Loop: Header=BB1_3 Depth=1
	s_or_saveexec_b64 s[4:5], s[4:5]
	v_mov_b32_e32 v22, s14
	s_xor_b64 exec, exec, s[4:5]
	s_cbranch_execz .LBB1_43
; %bb.42:                               ;   in Loop: Header=BB1_3 Depth=1
	flat_load_dwordx2 v[18:19], v[8:9]
	v_add_u32_e32 v22, -8, v20
	v_add_co_u32_e32 v8, vcc, 8, v8
	v_addc_co_u32_e32 v9, vcc, 0, v9, vcc
	s_waitcnt vmcnt(0) lgkmcnt(0)
	v_and_b32_e32 v20, 0xff, v19
	v_and_b32_e32 v21, 0xff00, v19
	;; [unrolled: 1-line block ×4, first 2 shown]
	v_or_b32_e32 v20, v20, v21
	v_or3_b32 v18, v18, 0, 0
	v_or3_b32 v19, v20, v23, v19
.LBB1_43:                               ;   in Loop: Header=BB1_3 Depth=1
	s_or_b64 exec, exec, s[4:5]
	v_cmp_gt_u32_e32 vcc, 8, v22
                                        ; implicit-def: $vgpr20_vgpr21
                                        ; implicit-def: $sgpr14
	s_and_saveexec_b64 s[4:5], vcc
	s_xor_b64 s[4:5], exec, s[4:5]
	s_cbranch_execz .LBB1_49
; %bb.44:                               ;   in Loop: Header=BB1_3 Depth=1
	v_cmp_ne_u32_e32 vcc, 0, v22
	v_pk_mov_b32 v[20:21], 0, 0
	s_and_saveexec_b64 s[14:15], vcc
	s_cbranch_execz .LBB1_48
; %bb.45:                               ;   in Loop: Header=BB1_3 Depth=1
	s_mov_b64 s[16:17], 0
	v_pk_mov_b32 v[20:21], 0, 0
	s_mov_b64 s[18:19], 0
	s_mov_b64 s[20:21], 0
.LBB1_46:                               ;   Parent Loop BB1_3 Depth=1
                                        ; =>  This Inner Loop Header: Depth=2
	v_mov_b32_e32 v23, s21
	v_add_co_u32_e32 v24, vcc, s20, v8
	v_addc_co_u32_e32 v25, vcc, v9, v23, vcc
	flat_load_ubyte v23, v[24:25]
	s_add_u32 s20, s20, 1
	v_mov_b32_e32 v25, s22
	s_addc_u32 s21, s21, 0
	v_cmp_eq_u32_e32 vcc, s20, v22
	s_waitcnt vmcnt(0) lgkmcnt(0)
	v_and_b32_e32 v24, 0xffff, v23
	v_lshlrev_b64 v[24:25], s18, v[24:25]
	s_add_u32 s18, s18, 8
	s_addc_u32 s19, s19, 0
	v_or_b32_e32 v21, v25, v21
	s_or_b64 s[16:17], vcc, s[16:17]
	v_or_b32_e32 v20, v24, v20
	s_andn2_b64 exec, exec, s[16:17]
	s_cbranch_execnz .LBB1_46
; %bb.47:                               ;   in Loop: Header=BB1_3 Depth=1
	s_or_b64 exec, exec, s[16:17]
.LBB1_48:                               ;   in Loop: Header=BB1_3 Depth=1
	s_or_b64 exec, exec, s[14:15]
	s_mov_b32 s14, 0
                                        ; implicit-def: $vgpr22
.LBB1_49:                               ;   in Loop: Header=BB1_3 Depth=1
	s_or_saveexec_b64 s[4:5], s[4:5]
	v_mov_b32_e32 v24, s14
	s_xor_b64 exec, exec, s[4:5]
	s_cbranch_execz .LBB1_51
; %bb.50:                               ;   in Loop: Header=BB1_3 Depth=1
	flat_load_dwordx2 v[20:21], v[8:9]
	v_add_u32_e32 v24, -8, v22
	v_add_co_u32_e32 v8, vcc, 8, v8
	v_addc_co_u32_e32 v9, vcc, 0, v9, vcc
	s_waitcnt vmcnt(0) lgkmcnt(0)
	v_and_b32_e32 v22, 0xff, v21
	v_and_b32_e32 v23, 0xff00, v21
	;; [unrolled: 1-line block ×4, first 2 shown]
	v_or_b32_e32 v22, v22, v23
	v_or3_b32 v20, v20, 0, 0
	v_or3_b32 v21, v22, v25, v21
.LBB1_51:                               ;   in Loop: Header=BB1_3 Depth=1
	s_or_b64 exec, exec, s[4:5]
	v_cmp_gt_u32_e32 vcc, 8, v24
	s_and_saveexec_b64 s[4:5], vcc
	s_xor_b64 s[4:5], exec, s[4:5]
	s_cbranch_execz .LBB1_57
; %bb.52:                               ;   in Loop: Header=BB1_3 Depth=1
	v_cmp_ne_u32_e32 vcc, 0, v24
	v_pk_mov_b32 v[22:23], 0, 0
	s_and_saveexec_b64 s[14:15], vcc
	s_cbranch_execz .LBB1_56
; %bb.53:                               ;   in Loop: Header=BB1_3 Depth=1
	s_mov_b64 s[16:17], 0
	v_pk_mov_b32 v[22:23], 0, 0
	s_mov_b64 s[18:19], 0
.LBB1_54:                               ;   Parent Loop BB1_3 Depth=1
                                        ; =>  This Inner Loop Header: Depth=2
	flat_load_ubyte v25, v[8:9]
	v_mov_b32_e32 v27, s22
	v_add_co_u32_e32 v8, vcc, 1, v8
	v_add_u32_e32 v24, -1, v24
	v_addc_co_u32_e32 v9, vcc, 0, v9, vcc
	v_cmp_eq_u32_e32 vcc, 0, v24
	s_waitcnt vmcnt(0) lgkmcnt(0)
	v_and_b32_e32 v26, 0xffff, v25
	v_lshlrev_b64 v[26:27], s18, v[26:27]
	s_add_u32 s18, s18, 8
	s_addc_u32 s19, s19, 0
	v_or_b32_e32 v23, v27, v23
	s_or_b64 s[16:17], vcc, s[16:17]
	v_or_b32_e32 v22, v26, v22
	s_andn2_b64 exec, exec, s[16:17]
	s_cbranch_execnz .LBB1_54
; %bb.55:                               ;   in Loop: Header=BB1_3 Depth=1
	s_or_b64 exec, exec, s[16:17]
.LBB1_56:                               ;   in Loop: Header=BB1_3 Depth=1
	s_or_b64 exec, exec, s[14:15]
                                        ; implicit-def: $vgpr8_vgpr9
.LBB1_57:                               ;   in Loop: Header=BB1_3 Depth=1
	s_andn2_saveexec_b64 s[4:5], s[4:5]
	s_cbranch_execz .LBB1_59
; %bb.58:                               ;   in Loop: Header=BB1_3 Depth=1
	flat_load_dwordx2 v[8:9], v[8:9]
	s_waitcnt vmcnt(0) lgkmcnt(0)
	v_and_b32_e32 v22, 0xff, v9
	v_and_b32_e32 v23, 0xff00, v9
	;; [unrolled: 1-line block ×4, first 2 shown]
	v_or_b32_e32 v22, v22, v23
	v_or3_b32 v23, v22, v24, v9
	v_or3_b32 v22, v8, 0, 0
.LBB1_59:                               ;   in Loop: Header=BB1_3 Depth=1
	s_or_b64 exec, exec, s[4:5]
	v_readfirstlane_b32 s4, v32
	v_cmp_eq_u32_e64 s[4:5], s4, v32
	v_pk_mov_b32 v[8:9], 0, 0
	s_and_saveexec_b64 s[14:15], s[4:5]
	s_cbranch_execz .LBB1_65
; %bb.60:                               ;   in Loop: Header=BB1_3 Depth=1
	s_waitcnt lgkmcnt(0)
	global_load_dwordx2 v[26:27], v31, s[12:13] offset:24 glc
	s_waitcnt vmcnt(0)
	buffer_invl2
	buffer_wbinvl1_vol
	global_load_dwordx2 v[8:9], v31, s[12:13] offset:40
	global_load_dwordx2 v[24:25], v31, s[12:13]
	s_waitcnt vmcnt(1)
	v_and_b32_e32 v8, v8, v26
	v_and_b32_e32 v9, v9, v27
	v_mul_lo_u32 v9, v9, 24
	v_mul_hi_u32 v29, v8, 24
	v_mul_lo_u32 v8, v8, 24
	v_add_u32_e32 v9, v29, v9
	s_waitcnt vmcnt(0)
	v_add_co_u32_e32 v8, vcc, v24, v8
	v_addc_co_u32_e32 v9, vcc, v25, v9, vcc
	global_load_dwordx2 v[24:25], v[8:9], off glc
	s_waitcnt vmcnt(0)
	global_atomic_cmpswap_x2 v[8:9], v31, v[24:27], s[12:13] offset:24 glc
	s_waitcnt vmcnt(0)
	buffer_invl2
	buffer_wbinvl1_vol
	v_cmp_ne_u64_e32 vcc, v[8:9], v[26:27]
	s_and_saveexec_b64 s[16:17], vcc
	s_cbranch_execz .LBB1_64
; %bb.61:                               ;   in Loop: Header=BB1_3 Depth=1
	s_mov_b64 s[18:19], 0
.LBB1_62:                               ;   Parent Loop BB1_3 Depth=1
                                        ; =>  This Inner Loop Header: Depth=2
	s_sleep 1
	global_load_dwordx2 v[24:25], v31, s[12:13] offset:40
	global_load_dwordx2 v[36:37], v31, s[12:13]
	v_pk_mov_b32 v[26:27], v[8:9], v[8:9] op_sel:[0,1]
	s_waitcnt vmcnt(1)
	v_and_b32_e32 v8, v24, v26
	s_waitcnt vmcnt(0)
	v_mad_u64_u32 v[8:9], s[20:21], v8, 24, v[36:37]
	v_and_b32_e32 v25, v25, v27
	v_mov_b32_e32 v24, v9
	v_mad_u64_u32 v[24:25], s[20:21], v25, 24, v[24:25]
	v_mov_b32_e32 v9, v24
	global_load_dwordx2 v[24:25], v[8:9], off glc
	s_waitcnt vmcnt(0)
	global_atomic_cmpswap_x2 v[8:9], v31, v[24:27], s[12:13] offset:24 glc
	s_waitcnt vmcnt(0)
	buffer_invl2
	buffer_wbinvl1_vol
	v_cmp_eq_u64_e32 vcc, v[8:9], v[26:27]
	s_or_b64 s[18:19], vcc, s[18:19]
	s_andn2_b64 exec, exec, s[18:19]
	s_cbranch_execnz .LBB1_62
; %bb.63:                               ;   in Loop: Header=BB1_3 Depth=1
	s_or_b64 exec, exec, s[18:19]
.LBB1_64:                               ;   in Loop: Header=BB1_3 Depth=1
	s_or_b64 exec, exec, s[16:17]
.LBB1_65:                               ;   in Loop: Header=BB1_3 Depth=1
	s_or_b64 exec, exec, s[14:15]
	s_waitcnt lgkmcnt(0)
	global_load_dwordx2 v[36:37], v31, s[12:13] offset:40
	global_load_dwordx4 v[24:27], v31, s[12:13]
	v_readfirstlane_b32 s14, v8
	v_readfirstlane_b32 s15, v9
	s_mov_b64 s[16:17], exec
	s_waitcnt vmcnt(1)
	v_readfirstlane_b32 s18, v36
	v_readfirstlane_b32 s19, v37
	s_and_b64 s[18:19], s[14:15], s[18:19]
	s_mul_i32 s20, s19, 24
	s_mul_hi_u32 s21, s18, 24
	s_mul_i32 s24, s18, 24
	s_add_i32 s20, s21, s20
	v_mov_b32_e32 v8, s20
	s_waitcnt vmcnt(0)
	v_add_co_u32_e32 v36, vcc, s24, v24
	v_addc_co_u32_e32 v37, vcc, v25, v8, vcc
	s_and_saveexec_b64 s[20:21], s[4:5]
	s_cbranch_execz .LBB1_67
; %bb.66:                               ;   in Loop: Header=BB1_3 Depth=1
	v_pk_mov_b32 v[8:9], s[16:17], s[16:17] op_sel:[0,1]
	global_store_dwordx4 v[36:37], v[8:11], off offset:8
.LBB1_67:                               ;   in Loop: Header=BB1_3 Depth=1
	s_or_b64 exec, exec, s[20:21]
	s_lshl_b64 s[16:17], s[18:19], 12
	v_mov_b32_e32 v9, s17
	v_add_co_u32_e32 v8, vcc, s16, v26
	v_addc_co_u32_e32 v9, vcc, v27, v9, vcc
	v_or_b32_e32 v26, 0, v1
	v_cmp_lt_u64_e32 vcc, 56, v[4:5]
	v_or_b32_e32 v27, v0, v28
	v_cndmask_b32_e32 v1, v26, v1, vcc
	v_lshl_add_u32 v26, v34, 2, 28
	v_cndmask_b32_e32 v0, v27, v0, vcc
	v_and_b32_e32 v26, 0x1e0, v26
	v_and_or_b32 v0, v0, s23, v26
	v_lshlrev_b32_e32 v26, 6, v32
	v_readfirstlane_b32 s16, v8
	v_readfirstlane_b32 s17, v9
	s_nop 4
	global_store_dwordx4 v26, v[0:3], s[16:17]
	global_store_dwordx4 v26, v[12:15], s[16:17] offset:16
	global_store_dwordx4 v26, v[16:19], s[16:17] offset:32
	;; [unrolled: 1-line block ×3, first 2 shown]
	s_and_saveexec_b64 s[16:17], s[4:5]
	s_cbranch_execz .LBB1_75
; %bb.68:                               ;   in Loop: Header=BB1_3 Depth=1
	global_load_dwordx2 v[16:17], v31, s[12:13] offset:32 glc
	global_load_dwordx2 v[0:1], v31, s[12:13] offset:40
	v_mov_b32_e32 v14, s14
	v_mov_b32_e32 v15, s15
	s_waitcnt vmcnt(0)
	v_readfirstlane_b32 s18, v0
	v_readfirstlane_b32 s19, v1
	s_and_b64 s[18:19], s[18:19], s[14:15]
	s_mul_i32 s19, s19, 24
	s_mul_hi_u32 s20, s18, 24
	s_mul_i32 s18, s18, 24
	s_add_i32 s19, s20, s19
	v_mov_b32_e32 v0, s19
	v_add_co_u32_e32 v12, vcc, s18, v24
	v_addc_co_u32_e32 v13, vcc, v25, v0, vcc
	global_store_dwordx2 v[12:13], v[16:17], off
	buffer_wbl2
	s_waitcnt vmcnt(0)
	global_atomic_cmpswap_x2 v[2:3], v31, v[14:17], s[12:13] offset:32 glc
	s_waitcnt vmcnt(0)
	v_cmp_ne_u64_e32 vcc, v[2:3], v[16:17]
	s_and_saveexec_b64 s[18:19], vcc
	s_cbranch_execz .LBB1_71
; %bb.69:                               ;   in Loop: Header=BB1_3 Depth=1
	s_mov_b64 s[20:21], 0
.LBB1_70:                               ;   Parent Loop BB1_3 Depth=1
                                        ; =>  This Inner Loop Header: Depth=2
	s_sleep 1
	global_store_dwordx2 v[12:13], v[2:3], off
	v_mov_b32_e32 v0, s14
	v_mov_b32_e32 v1, s15
	buffer_wbl2
	s_waitcnt vmcnt(0)
	global_atomic_cmpswap_x2 v[0:1], v31, v[0:3], s[12:13] offset:32 glc
	s_waitcnt vmcnt(0)
	v_cmp_eq_u64_e32 vcc, v[0:1], v[2:3]
	s_or_b64 s[20:21], vcc, s[20:21]
	v_pk_mov_b32 v[2:3], v[0:1], v[0:1] op_sel:[0,1]
	s_andn2_b64 exec, exec, s[20:21]
	s_cbranch_execnz .LBB1_70
.LBB1_71:                               ;   in Loop: Header=BB1_3 Depth=1
	s_or_b64 exec, exec, s[18:19]
	global_load_dwordx2 v[0:1], v31, s[12:13] offset:16
	s_mov_b64 s[20:21], exec
	v_mbcnt_lo_u32_b32 v2, s20, 0
	v_mbcnt_hi_u32_b32 v2, s21, v2
	v_cmp_eq_u32_e32 vcc, 0, v2
	s_and_saveexec_b64 s[18:19], vcc
	s_cbranch_execz .LBB1_73
; %bb.72:                               ;   in Loop: Header=BB1_3 Depth=1
	s_bcnt1_i32_b64 s20, s[20:21]
	v_mov_b32_e32 v30, s20
	buffer_wbl2
	s_waitcnt vmcnt(0)
	global_atomic_add_x2 v[0:1], v[30:31], off offset:8
.LBB1_73:                               ;   in Loop: Header=BB1_3 Depth=1
	s_or_b64 exec, exec, s[18:19]
	s_waitcnt vmcnt(0)
	global_load_dwordx2 v[2:3], v[0:1], off offset:16
	s_waitcnt vmcnt(0)
	v_cmp_eq_u64_e32 vcc, 0, v[2:3]
	s_cbranch_vccnz .LBB1_75
; %bb.74:                               ;   in Loop: Header=BB1_3 Depth=1
	global_load_dword v30, v[0:1], off offset:24
	s_waitcnt vmcnt(0)
	v_and_b32_e32 v0, 0xffffff, v30
	v_readfirstlane_b32 m0, v0
	buffer_wbl2
	global_store_dwordx2 v[2:3], v[30:31], off
	s_sendmsg sendmsg(MSG_INTERRUPT)
.LBB1_75:                               ;   in Loop: Header=BB1_3 Depth=1
	s_or_b64 exec, exec, s[16:17]
	v_add_co_u32_e32 v0, vcc, v8, v26
	v_addc_co_u32_e32 v1, vcc, 0, v9, vcc
	s_branch .LBB1_79
.LBB1_76:                               ;   in Loop: Header=BB1_79 Depth=2
	s_or_b64 exec, exec, s[16:17]
	v_readfirstlane_b32 s16, v2
	s_cmp_eq_u32 s16, 0
	s_cbranch_scc1 .LBB1_78
; %bb.77:                               ;   in Loop: Header=BB1_79 Depth=2
	s_sleep 1
	s_cbranch_execnz .LBB1_79
	s_branch .LBB1_81
.LBB1_78:                               ;   in Loop: Header=BB1_3 Depth=1
	s_branch .LBB1_81
.LBB1_79:                               ;   Parent Loop BB1_3 Depth=1
                                        ; =>  This Inner Loop Header: Depth=2
	v_mov_b32_e32 v2, 1
	s_and_saveexec_b64 s[16:17], s[4:5]
	s_cbranch_execz .LBB1_76
; %bb.80:                               ;   in Loop: Header=BB1_79 Depth=2
	global_load_dword v2, v[36:37], off offset:20 glc
	s_waitcnt vmcnt(0)
	buffer_invl2
	buffer_wbinvl1_vol
	v_and_b32_e32 v2, 1, v2
	s_branch .LBB1_76
.LBB1_81:                               ;   in Loop: Header=BB1_3 Depth=1
	global_load_dwordx4 v[0:3], v[0:1], off
	s_and_saveexec_b64 s[16:17], s[4:5]
	s_cbranch_execz .LBB1_2
; %bb.82:                               ;   in Loop: Header=BB1_3 Depth=1
	global_load_dwordx2 v[2:3], v31, s[12:13] offset:40
	global_load_dwordx2 v[8:9], v31, s[12:13] offset:24 glc
	global_load_dwordx2 v[16:17], v31, s[12:13]
	v_mov_b32_e32 v13, s15
	s_waitcnt vmcnt(2)
	v_add_co_u32_e32 v15, vcc, 1, v2
	v_addc_co_u32_e32 v18, vcc, 0, v3, vcc
	v_add_co_u32_e32 v12, vcc, s14, v15
	v_addc_co_u32_e32 v13, vcc, v18, v13, vcc
	v_cmp_eq_u64_e32 vcc, 0, v[12:13]
	v_cndmask_b32_e32 v13, v13, v18, vcc
	v_cndmask_b32_e32 v12, v12, v15, vcc
	v_and_b32_e32 v3, v13, v3
	v_and_b32_e32 v2, v12, v2
	v_mul_lo_u32 v3, v3, 24
	v_mul_hi_u32 v15, v2, 24
	v_mul_lo_u32 v2, v2, 24
	v_add_u32_e32 v3, v15, v3
	s_waitcnt vmcnt(0)
	v_add_co_u32_e32 v2, vcc, v16, v2
	v_addc_co_u32_e32 v3, vcc, v17, v3, vcc
	v_mov_b32_e32 v14, v8
	global_store_dwordx2 v[2:3], v[8:9], off
	v_mov_b32_e32 v15, v9
	buffer_wbl2
	s_waitcnt vmcnt(0)
	global_atomic_cmpswap_x2 v[14:15], v31, v[12:15], s[12:13] offset:24 glc
	s_waitcnt vmcnt(0)
	v_cmp_ne_u64_e32 vcc, v[14:15], v[8:9]
	s_and_b64 exec, exec, vcc
	s_cbranch_execz .LBB1_2
; %bb.83:                               ;   in Loop: Header=BB1_3 Depth=1
	s_mov_b64 s[4:5], 0
.LBB1_84:                               ;   Parent Loop BB1_3 Depth=1
                                        ; =>  This Inner Loop Header: Depth=2
	s_sleep 1
	global_store_dwordx2 v[2:3], v[14:15], off
	buffer_wbl2
	s_waitcnt vmcnt(0)
	global_atomic_cmpswap_x2 v[8:9], v31, v[12:15], s[12:13] offset:24 glc
	s_waitcnt vmcnt(0)
	v_cmp_eq_u64_e32 vcc, v[8:9], v[14:15]
	s_or_b64 s[4:5], vcc, s[4:5]
	v_pk_mov_b32 v[14:15], v[8:9], v[8:9] op_sel:[0,1]
	s_andn2_b64 exec, exec, s[4:5]
	s_cbranch_execnz .LBB1_84
	s_branch .LBB1_2
.LBB1_85:
	s_or_b64 exec, exec, s[6:7]
                                        ; implicit-def: $vgpr3
                                        ; implicit-def: $vgpr2
.LBB1_86:
	s_andn2_saveexec_b64 s[6:7], s[10:11]
	s_cbranch_execz .LBB1_109
; %bb.87:
	s_load_dwordx2 s[8:9], s[8:9], 0x50
	s_waitcnt vmcnt(0)
	v_mbcnt_hi_u32_b32 v10, -1, v2
	v_readfirstlane_b32 s4, v10
	v_cmp_eq_u32_e64 s[4:5], s4, v10
	v_pk_mov_b32 v[8:9], 0, 0
	s_and_saveexec_b64 s[10:11], s[4:5]
	s_cbranch_execz .LBB1_93
; %bb.88:
	v_mov_b32_e32 v0, 0
	s_waitcnt lgkmcnt(0)
	global_load_dwordx2 v[6:7], v0, s[8:9] offset:24 glc
	s_waitcnt vmcnt(0)
	buffer_invl2
	buffer_wbinvl1_vol
	global_load_dwordx2 v[4:5], v0, s[8:9] offset:40
	global_load_dwordx2 v[8:9], v0, s[8:9]
	s_waitcnt vmcnt(1)
	v_and_b32_e32 v2, v4, v6
	v_and_b32_e32 v4, v5, v7
	v_mul_lo_u32 v4, v4, 24
	v_mul_hi_u32 v5, v2, 24
	v_mul_lo_u32 v2, v2, 24
	v_add_u32_e32 v5, v5, v4
	s_waitcnt vmcnt(0)
	v_add_co_u32_e32 v4, vcc, v8, v2
	v_addc_co_u32_e32 v5, vcc, v9, v5, vcc
	global_load_dwordx2 v[4:5], v[4:5], off glc
	s_waitcnt vmcnt(0)
	global_atomic_cmpswap_x2 v[8:9], v0, v[4:7], s[8:9] offset:24 glc
	s_waitcnt vmcnt(0)
	buffer_invl2
	buffer_wbinvl1_vol
	v_cmp_ne_u64_e32 vcc, v[8:9], v[6:7]
	s_and_saveexec_b64 s[12:13], vcc
	s_cbranch_execz .LBB1_92
; %bb.89:
	s_mov_b64 s[14:15], 0
.LBB1_90:                               ; =>This Inner Loop Header: Depth=1
	s_sleep 1
	global_load_dwordx2 v[4:5], v0, s[8:9] offset:40
	global_load_dwordx2 v[12:13], v0, s[8:9]
	v_pk_mov_b32 v[6:7], v[8:9], v[8:9] op_sel:[0,1]
	s_waitcnt vmcnt(1)
	v_and_b32_e32 v2, v4, v6
	v_and_b32_e32 v8, v5, v7
	s_waitcnt vmcnt(0)
	v_mad_u64_u32 v[4:5], s[16:17], v2, 24, v[12:13]
	v_mov_b32_e32 v2, v5
	v_mad_u64_u32 v[8:9], s[16:17], v8, 24, v[2:3]
	v_mov_b32_e32 v5, v8
	global_load_dwordx2 v[4:5], v[4:5], off glc
	s_waitcnt vmcnt(0)
	global_atomic_cmpswap_x2 v[8:9], v0, v[4:7], s[8:9] offset:24 glc
	s_waitcnt vmcnt(0)
	buffer_invl2
	buffer_wbinvl1_vol
	v_cmp_eq_u64_e32 vcc, v[8:9], v[6:7]
	s_or_b64 s[14:15], vcc, s[14:15]
	s_andn2_b64 exec, exec, s[14:15]
	s_cbranch_execnz .LBB1_90
; %bb.91:
	s_or_b64 exec, exec, s[14:15]
.LBB1_92:
	s_or_b64 exec, exec, s[12:13]
.LBB1_93:
	s_or_b64 exec, exec, s[10:11]
	v_mov_b32_e32 v2, 0
	s_waitcnt lgkmcnt(0)
	global_load_dwordx2 v[12:13], v2, s[8:9] offset:40
	global_load_dwordx4 v[4:7], v2, s[8:9]
	v_readfirstlane_b32 s10, v8
	v_readfirstlane_b32 s11, v9
	s_mov_b64 s[12:13], exec
	s_waitcnt vmcnt(1)
	v_readfirstlane_b32 s14, v12
	v_readfirstlane_b32 s15, v13
	s_and_b64 s[14:15], s[10:11], s[14:15]
	s_mul_i32 s16, s15, 24
	s_mul_hi_u32 s17, s14, 24
	s_mul_i32 s18, s14, 24
	s_add_i32 s16, s17, s16
	v_mov_b32_e32 v0, s16
	s_waitcnt vmcnt(0)
	v_add_co_u32_e32 v8, vcc, s18, v4
	v_addc_co_u32_e32 v9, vcc, v5, v0, vcc
	s_and_saveexec_b64 s[16:17], s[4:5]
	s_cbranch_execz .LBB1_95
; %bb.94:
	v_pk_mov_b32 v[12:13], s[12:13], s[12:13] op_sel:[0,1]
	v_mov_b32_e32 v14, 2
	v_mov_b32_e32 v15, 1
	global_store_dwordx4 v[8:9], v[12:15], off offset:8
.LBB1_95:
	s_or_b64 exec, exec, s[16:17]
	s_lshl_b64 s[12:13], s[14:15], 12
	v_mov_b32_e32 v0, s13
	v_add_co_u32_e32 v12, vcc, s12, v6
	s_movk_i32 s12, 0xff1f
	v_addc_co_u32_e32 v11, vcc, v7, v0, vcc
	v_and_or_b32 v0, v3, s12, 32
	s_mov_b32 s12, 0
	v_lshlrev_b32_e32 v10, 6, v10
	v_mov_b32_e32 v3, v2
	v_readfirstlane_b32 s16, v12
	v_readfirstlane_b32 s17, v11
	s_mov_b32 s13, s12
	v_add_co_u32_e32 v6, vcc, v12, v10
	s_mov_b32 s14, s12
	s_mov_b32 s15, s12
	s_nop 0
	global_store_dwordx4 v10, v[0:3], s[16:17]
	v_addc_co_u32_e32 v7, vcc, 0, v11, vcc
	v_pk_mov_b32 v[0:1], s[12:13], s[12:13] op_sel:[0,1]
	v_pk_mov_b32 v[2:3], s[14:15], s[14:15] op_sel:[0,1]
	global_store_dwordx4 v10, v[0:3], s[16:17] offset:16
	global_store_dwordx4 v10, v[0:3], s[16:17] offset:32
	;; [unrolled: 1-line block ×3, first 2 shown]
	s_and_saveexec_b64 s[12:13], s[4:5]
	s_cbranch_execz .LBB1_103
; %bb.96:
	v_mov_b32_e32 v10, 0
	global_load_dwordx2 v[14:15], v10, s[8:9] offset:32 glc
	global_load_dwordx2 v[0:1], v10, s[8:9] offset:40
	v_mov_b32_e32 v12, s10
	v_mov_b32_e32 v13, s11
	s_waitcnt vmcnt(0)
	v_and_b32_e32 v0, s10, v0
	v_and_b32_e32 v1, s11, v1
	v_mul_lo_u32 v1, v1, 24
	v_mul_hi_u32 v2, v0, 24
	v_mul_lo_u32 v0, v0, 24
	v_add_u32_e32 v1, v2, v1
	v_add_co_u32_e32 v4, vcc, v4, v0
	v_addc_co_u32_e32 v5, vcc, v5, v1, vcc
	global_store_dwordx2 v[4:5], v[14:15], off
	buffer_wbl2
	s_waitcnt vmcnt(0)
	global_atomic_cmpswap_x2 v[2:3], v10, v[12:15], s[8:9] offset:32 glc
	s_waitcnt vmcnt(0)
	v_cmp_ne_u64_e32 vcc, v[2:3], v[14:15]
	s_and_saveexec_b64 s[14:15], vcc
	s_cbranch_execz .LBB1_99
; %bb.97:
	s_mov_b64 s[16:17], 0
.LBB1_98:                               ; =>This Inner Loop Header: Depth=1
	s_sleep 1
	global_store_dwordx2 v[4:5], v[2:3], off
	v_mov_b32_e32 v0, s10
	v_mov_b32_e32 v1, s11
	buffer_wbl2
	s_waitcnt vmcnt(0)
	global_atomic_cmpswap_x2 v[0:1], v10, v[0:3], s[8:9] offset:32 glc
	s_waitcnt vmcnt(0)
	v_cmp_eq_u64_e32 vcc, v[0:1], v[2:3]
	s_or_b64 s[16:17], vcc, s[16:17]
	v_pk_mov_b32 v[2:3], v[0:1], v[0:1] op_sel:[0,1]
	s_andn2_b64 exec, exec, s[16:17]
	s_cbranch_execnz .LBB1_98
.LBB1_99:
	s_or_b64 exec, exec, s[14:15]
	v_mov_b32_e32 v3, 0
	global_load_dwordx2 v[0:1], v3, s[8:9] offset:16
	s_mov_b64 s[14:15], exec
	v_mbcnt_lo_u32_b32 v2, s14, 0
	v_mbcnt_hi_u32_b32 v2, s15, v2
	v_cmp_eq_u32_e32 vcc, 0, v2
	s_and_saveexec_b64 s[16:17], vcc
	s_cbranch_execz .LBB1_101
; %bb.100:
	s_bcnt1_i32_b64 s14, s[14:15]
	v_mov_b32_e32 v2, s14
	buffer_wbl2
	s_waitcnt vmcnt(0)
	global_atomic_add_x2 v[0:1], v[2:3], off offset:8
.LBB1_101:
	s_or_b64 exec, exec, s[16:17]
	s_waitcnt vmcnt(0)
	global_load_dwordx2 v[2:3], v[0:1], off offset:16
	s_waitcnt vmcnt(0)
	v_cmp_eq_u64_e32 vcc, 0, v[2:3]
	s_cbranch_vccnz .LBB1_103
; %bb.102:
	global_load_dword v0, v[0:1], off offset:24
	v_mov_b32_e32 v1, 0
	buffer_wbl2
	s_waitcnt vmcnt(0)
	global_store_dwordx2 v[2:3], v[0:1], off
	v_and_b32_e32 v0, 0xffffff, v0
	v_readfirstlane_b32 m0, v0
	s_sendmsg sendmsg(MSG_INTERRUPT)
.LBB1_103:
	s_or_b64 exec, exec, s[12:13]
	s_branch .LBB1_107
.LBB1_104:                              ;   in Loop: Header=BB1_107 Depth=1
	s_or_b64 exec, exec, s[12:13]
	v_readfirstlane_b32 s12, v0
	s_cmp_eq_u32 s12, 0
	s_cbranch_scc1 .LBB1_106
; %bb.105:                              ;   in Loop: Header=BB1_107 Depth=1
	s_sleep 1
	s_cbranch_execnz .LBB1_107
	s_branch .LBB1_110
.LBB1_106:
	s_branch .LBB1_110
.LBB1_107:                              ; =>This Inner Loop Header: Depth=1
	v_mov_b32_e32 v0, 1
	s_and_saveexec_b64 s[12:13], s[4:5]
	s_cbranch_execz .LBB1_104
; %bb.108:                              ;   in Loop: Header=BB1_107 Depth=1
	global_load_dword v0, v[8:9], off offset:20 glc
	s_waitcnt vmcnt(0)
	buffer_invl2
	buffer_wbinvl1_vol
	v_and_b32_e32 v0, 1, v0
	s_branch .LBB1_104
.LBB1_109:
	s_or_b64 exec, exec, s[6:7]
	s_waitcnt vmcnt(0) lgkmcnt(0)
	s_setpc_b64 s[30:31]
.LBB1_110:
	global_load_dwordx2 v[0:1], v[6:7], off
	s_and_saveexec_b64 s[12:13], s[4:5]
	s_cbranch_execz .LBB1_113
; %bb.111:
	v_mov_b32_e32 v8, 0
	global_load_dwordx2 v[6:7], v8, s[8:9] offset:40
	global_load_dwordx2 v[10:11], v8, s[8:9] offset:24 glc
	global_load_dwordx2 v[12:13], v8, s[8:9]
	v_mov_b32_e32 v3, s11
	s_mov_b64 s[4:5], 0
	s_waitcnt vmcnt(2)
	v_add_co_u32_e32 v5, vcc, 1, v6
	v_addc_co_u32_e32 v9, vcc, 0, v7, vcc
	v_add_co_u32_e32 v2, vcc, s10, v5
	v_addc_co_u32_e32 v3, vcc, v9, v3, vcc
	v_cmp_eq_u64_e32 vcc, 0, v[2:3]
	v_cndmask_b32_e32 v3, v3, v9, vcc
	v_cndmask_b32_e32 v2, v2, v5, vcc
	v_and_b32_e32 v5, v3, v7
	v_and_b32_e32 v6, v2, v6
	v_mul_lo_u32 v5, v5, 24
	v_mul_hi_u32 v7, v6, 24
	v_mul_lo_u32 v6, v6, 24
	v_add_u32_e32 v5, v7, v5
	s_waitcnt vmcnt(0)
	v_add_co_u32_e32 v6, vcc, v12, v6
	v_addc_co_u32_e32 v7, vcc, v13, v5, vcc
	v_mov_b32_e32 v4, v10
	global_store_dwordx2 v[6:7], v[10:11], off
	v_mov_b32_e32 v5, v11
	buffer_wbl2
	s_waitcnt vmcnt(0)
	global_atomic_cmpswap_x2 v[4:5], v8, v[2:5], s[8:9] offset:24 glc
	s_waitcnt vmcnt(0)
	v_cmp_ne_u64_e32 vcc, v[4:5], v[10:11]
	s_and_b64 exec, exec, vcc
	s_cbranch_execz .LBB1_113
.LBB1_112:                              ; =>This Inner Loop Header: Depth=1
	s_sleep 1
	global_store_dwordx2 v[6:7], v[4:5], off
	buffer_wbl2
	s_waitcnt vmcnt(0)
	global_atomic_cmpswap_x2 v[10:11], v8, v[2:5], s[8:9] offset:24 glc
	s_waitcnt vmcnt(0)
	v_cmp_eq_u64_e32 vcc, v[10:11], v[4:5]
	s_or_b64 s[4:5], vcc, s[4:5]
	v_pk_mov_b32 v[4:5], v[10:11], v[10:11] op_sel:[0,1]
	s_andn2_b64 exec, exec, s[4:5]
	s_cbranch_execnz .LBB1_112
.LBB1_113:
	s_or_b64 exec, exec, s[12:13]
	s_or_b64 exec, exec, s[6:7]
	s_waitcnt vmcnt(0) lgkmcnt(0)
	s_setpc_b64 s[30:31]
.Lfunc_end1:
	.size	__ockl_printf_append_string_n, .Lfunc_end1-__ockl_printf_append_string_n
                                        ; -- End function
	.section	.AMDGPU.csdata,"",@progbits
; Function info:
; codeLenInByte = 4376
; NumSgprs: 36
; NumVgprs: 38
; NumAgprs: 0
; TotalNumVgprs: 38
; ScratchSize: 0
; MemoryBound: 0
	.text
	.p2align	2                               ; -- Begin function __ockl_printf_append_args
	.type	__ockl_printf_append_args,@function
__ockl_printf_append_args:              ; @__ockl_printf_append_args
; %bb.0:
	s_waitcnt vmcnt(0) expcnt(0) lgkmcnt(0)
	s_load_dwordx2 s[6:7], s[8:9], 0x50
	v_mbcnt_lo_u32_b32 v5, -1, 0
	v_mbcnt_hi_u32_b32 v5, -1, v5
	v_readfirstlane_b32 s4, v5
	v_cmp_eq_u32_e64 s[4:5], s4, v5
	v_pk_mov_b32 v[10:11], 0, 0
	s_and_saveexec_b64 s[8:9], s[4:5]
	s_cbranch_execz .LBB2_6
; %bb.1:
	v_mov_b32_e32 v6, 0
	s_waitcnt lgkmcnt(0)
	global_load_dwordx2 v[12:13], v6, s[6:7] offset:24 glc
	s_waitcnt vmcnt(0)
	buffer_invl2
	buffer_wbinvl1_vol
	global_load_dwordx2 v[8:9], v6, s[6:7] offset:40
	global_load_dwordx2 v[10:11], v6, s[6:7]
	s_waitcnt vmcnt(1)
	v_and_b32_e32 v7, v8, v12
	v_and_b32_e32 v8, v9, v13
	v_mul_lo_u32 v8, v8, 24
	v_mul_hi_u32 v9, v7, 24
	v_mul_lo_u32 v7, v7, 24
	v_add_u32_e32 v9, v9, v8
	s_waitcnt vmcnt(0)
	v_add_co_u32_e32 v8, vcc, v10, v7
	v_addc_co_u32_e32 v9, vcc, v11, v9, vcc
	global_load_dwordx2 v[10:11], v[8:9], off glc
	s_waitcnt vmcnt(0)
	global_atomic_cmpswap_x2 v[10:11], v6, v[10:13], s[6:7] offset:24 glc
	s_waitcnt vmcnt(0)
	buffer_invl2
	buffer_wbinvl1_vol
	v_cmp_ne_u64_e32 vcc, v[10:11], v[12:13]
	s_and_saveexec_b64 s[10:11], vcc
	s_cbranch_execz .LBB2_5
; %bb.2:
	s_mov_b64 s[12:13], 0
.LBB2_3:                                ; =>This Inner Loop Header: Depth=1
	s_sleep 1
	global_load_dwordx2 v[8:9], v6, s[6:7] offset:40
	global_load_dwordx2 v[14:15], v6, s[6:7]
	v_pk_mov_b32 v[12:13], v[10:11], v[10:11] op_sel:[0,1]
	s_waitcnt vmcnt(1)
	v_and_b32_e32 v8, v8, v12
	v_and_b32_e32 v7, v9, v13
	s_waitcnt vmcnt(0)
	v_mad_u64_u32 v[8:9], s[14:15], v8, 24, v[14:15]
	v_mov_b32_e32 v10, v9
	v_mad_u64_u32 v[10:11], s[14:15], v7, 24, v[10:11]
	v_mov_b32_e32 v9, v10
	global_load_dwordx2 v[10:11], v[8:9], off glc
	s_waitcnt vmcnt(0)
	global_atomic_cmpswap_x2 v[10:11], v6, v[10:13], s[6:7] offset:24 glc
	s_waitcnt vmcnt(0)
	buffer_invl2
	buffer_wbinvl1_vol
	v_cmp_eq_u64_e32 vcc, v[10:11], v[12:13]
	s_or_b64 s[12:13], vcc, s[12:13]
	s_andn2_b64 exec, exec, s[12:13]
	s_cbranch_execnz .LBB2_3
; %bb.4:
	s_or_b64 exec, exec, s[12:13]
.LBB2_5:
	s_or_b64 exec, exec, s[10:11]
.LBB2_6:
	s_or_b64 exec, exec, s[8:9]
	v_mov_b32_e32 v14, 0
	s_waitcnt lgkmcnt(0)
	global_load_dwordx2 v[12:13], v14, s[6:7] offset:40
	global_load_dwordx4 v[6:9], v14, s[6:7]
	v_readfirstlane_b32 s8, v10
	v_readfirstlane_b32 s9, v11
	s_mov_b64 s[10:11], exec
	s_waitcnt vmcnt(1)
	v_readfirstlane_b32 s12, v12
	v_readfirstlane_b32 s13, v13
	s_and_b64 s[12:13], s[8:9], s[12:13]
	s_mul_i32 s14, s13, 24
	s_mul_hi_u32 s15, s12, 24
	s_mul_i32 s16, s12, 24
	s_add_i32 s14, s15, s14
	v_mov_b32_e32 v11, s14
	s_waitcnt vmcnt(0)
	v_add_co_u32_e32 v10, vcc, s16, v6
	v_addc_co_u32_e32 v11, vcc, v7, v11, vcc
	s_and_saveexec_b64 s[14:15], s[4:5]
	s_cbranch_execz .LBB2_8
; %bb.7:
	v_pk_mov_b32 v[12:13], s[10:11], s[10:11] op_sel:[0,1]
	v_mov_b32_e32 v14, 2
	v_mov_b32_e32 v15, 1
	global_store_dwordx4 v[10:11], v[12:15], off offset:8
.LBB2_8:
	s_or_b64 exec, exec, s[14:15]
	s_lshl_b64 s[10:11], s[12:13], 12
	v_mov_b32_e32 v12, s11
	v_add_co_u32_e32 v8, vcc, s10, v8
	v_addc_co_u32_e32 v9, vcc, v9, v12, vcc
	v_or_b32_e32 v12, 2, v0
	v_cmp_eq_u32_e32 vcc, 0, v4
	s_mov_b32 s12, 0
	v_cndmask_b32_e32 v0, v12, v0, vcc
	s_movk_i32 s10, 0xff1f
	v_and_or_b32 v0, v0, s10, 32
	v_lshlrev_b32_e32 v4, 6, v5
	v_readfirstlane_b32 s10, v8
	v_readfirstlane_b32 s11, v9
	s_mov_b32 s13, s12
	s_mov_b32 s14, s12
	;; [unrolled: 1-line block ×3, first 2 shown]
	s_nop 1
	global_store_dwordx4 v4, v[0:3], s[10:11]
	s_nop 0
	v_pk_mov_b32 v[0:1], s[12:13], s[12:13] op_sel:[0,1]
	v_pk_mov_b32 v[2:3], s[14:15], s[14:15] op_sel:[0,1]
	global_store_dwordx4 v4, v[0:3], s[10:11] offset:16
	global_store_dwordx4 v4, v[0:3], s[10:11] offset:32
	;; [unrolled: 1-line block ×3, first 2 shown]
	s_and_saveexec_b64 s[10:11], s[4:5]
	s_cbranch_execz .LBB2_16
; %bb.9:
	v_mov_b32_e32 v8, 0
	global_load_dwordx2 v[14:15], v8, s[6:7] offset:32 glc
	global_load_dwordx2 v[0:1], v8, s[6:7] offset:40
	v_mov_b32_e32 v12, s8
	v_mov_b32_e32 v13, s9
	s_waitcnt vmcnt(0)
	v_and_b32_e32 v0, s8, v0
	v_and_b32_e32 v1, s9, v1
	v_mul_lo_u32 v1, v1, 24
	v_mul_hi_u32 v2, v0, 24
	v_mul_lo_u32 v0, v0, 24
	v_add_u32_e32 v1, v2, v1
	v_add_co_u32_e32 v4, vcc, v6, v0
	v_addc_co_u32_e32 v5, vcc, v7, v1, vcc
	global_store_dwordx2 v[4:5], v[14:15], off
	buffer_wbl2
	s_waitcnt vmcnt(0)
	global_atomic_cmpswap_x2 v[2:3], v8, v[12:15], s[6:7] offset:32 glc
	s_waitcnt vmcnt(0)
	v_cmp_ne_u64_e32 vcc, v[2:3], v[14:15]
	s_and_saveexec_b64 s[12:13], vcc
	s_cbranch_execz .LBB2_12
; %bb.10:
	s_mov_b64 s[14:15], 0
.LBB2_11:                               ; =>This Inner Loop Header: Depth=1
	s_sleep 1
	global_store_dwordx2 v[4:5], v[2:3], off
	v_mov_b32_e32 v0, s8
	v_mov_b32_e32 v1, s9
	buffer_wbl2
	s_waitcnt vmcnt(0)
	global_atomic_cmpswap_x2 v[0:1], v8, v[0:3], s[6:7] offset:32 glc
	s_waitcnt vmcnt(0)
	v_cmp_eq_u64_e32 vcc, v[0:1], v[2:3]
	s_or_b64 s[14:15], vcc, s[14:15]
	v_pk_mov_b32 v[2:3], v[0:1], v[0:1] op_sel:[0,1]
	s_andn2_b64 exec, exec, s[14:15]
	s_cbranch_execnz .LBB2_11
.LBB2_12:
	s_or_b64 exec, exec, s[12:13]
	v_mov_b32_e32 v3, 0
	global_load_dwordx2 v[0:1], v3, s[6:7] offset:16
	s_mov_b64 s[12:13], exec
	v_mbcnt_lo_u32_b32 v2, s12, 0
	v_mbcnt_hi_u32_b32 v2, s13, v2
	v_cmp_eq_u32_e32 vcc, 0, v2
	s_and_saveexec_b64 s[14:15], vcc
	s_cbranch_execz .LBB2_14
; %bb.13:
	s_bcnt1_i32_b64 s12, s[12:13]
	v_mov_b32_e32 v2, s12
	buffer_wbl2
	s_waitcnt vmcnt(0)
	global_atomic_add_x2 v[0:1], v[2:3], off offset:8
.LBB2_14:
	s_or_b64 exec, exec, s[14:15]
	s_waitcnt vmcnt(0)
	global_load_dwordx2 v[2:3], v[0:1], off offset:16
	s_waitcnt vmcnt(0)
	v_cmp_eq_u64_e32 vcc, 0, v[2:3]
	s_cbranch_vccnz .LBB2_16
; %bb.15:
	global_load_dword v0, v[0:1], off offset:24
	v_mov_b32_e32 v1, 0
	buffer_wbl2
	s_waitcnt vmcnt(0)
	global_store_dwordx2 v[2:3], v[0:1], off
	v_and_b32_e32 v0, 0xffffff, v0
	v_readfirstlane_b32 m0, v0
	s_sendmsg sendmsg(MSG_INTERRUPT)
.LBB2_16:
	s_or_b64 exec, exec, s[10:11]
	s_branch .LBB2_20
.LBB2_17:                               ;   in Loop: Header=BB2_20 Depth=1
	s_or_b64 exec, exec, s[10:11]
	v_readfirstlane_b32 s10, v0
	s_cmp_eq_u32 s10, 0
	s_cbranch_scc1 .LBB2_19
; %bb.18:                               ;   in Loop: Header=BB2_20 Depth=1
	s_sleep 1
	s_cbranch_execnz .LBB2_20
	s_branch .LBB2_22
.LBB2_19:
	s_branch .LBB2_22
.LBB2_20:                               ; =>This Inner Loop Header: Depth=1
	v_mov_b32_e32 v0, 1
	s_and_saveexec_b64 s[10:11], s[4:5]
	s_cbranch_execz .LBB2_17
; %bb.21:                               ;   in Loop: Header=BB2_20 Depth=1
	global_load_dword v0, v[10:11], off offset:20 glc
	s_waitcnt vmcnt(0)
	buffer_invl2
	buffer_wbinvl1_vol
	v_and_b32_e32 v0, 1, v0
	s_branch .LBB2_17
.LBB2_22:
	s_and_saveexec_b64 s[10:11], s[4:5]
	s_cbranch_execz .LBB2_25
; %bb.23:
	v_mov_b32_e32 v6, 0
	global_load_dwordx2 v[4:5], v6, s[6:7] offset:40
	global_load_dwordx2 v[8:9], v6, s[6:7] offset:24 glc
	global_load_dwordx2 v[10:11], v6, s[6:7]
	v_mov_b32_e32 v1, s9
	s_mov_b64 s[4:5], 0
	s_waitcnt vmcnt(2)
	v_add_co_u32_e32 v3, vcc, 1, v4
	v_addc_co_u32_e32 v7, vcc, 0, v5, vcc
	v_add_co_u32_e32 v0, vcc, s8, v3
	v_addc_co_u32_e32 v1, vcc, v7, v1, vcc
	v_cmp_eq_u64_e32 vcc, 0, v[0:1]
	v_cndmask_b32_e32 v1, v1, v7, vcc
	v_cndmask_b32_e32 v0, v0, v3, vcc
	v_and_b32_e32 v3, v1, v5
	v_and_b32_e32 v4, v0, v4
	v_mul_lo_u32 v3, v3, 24
	v_mul_hi_u32 v5, v4, 24
	v_mul_lo_u32 v4, v4, 24
	v_add_u32_e32 v3, v5, v3
	s_waitcnt vmcnt(0)
	v_add_co_u32_e32 v4, vcc, v10, v4
	v_addc_co_u32_e32 v5, vcc, v11, v3, vcc
	v_mov_b32_e32 v2, v8
	global_store_dwordx2 v[4:5], v[8:9], off
	v_mov_b32_e32 v3, v9
	buffer_wbl2
	s_waitcnt vmcnt(0)
	global_atomic_cmpswap_x2 v[2:3], v6, v[0:3], s[6:7] offset:24 glc
	s_waitcnt vmcnt(0)
	v_cmp_ne_u64_e32 vcc, v[2:3], v[8:9]
	s_and_b64 exec, exec, vcc
	s_cbranch_execz .LBB2_25
.LBB2_24:                               ; =>This Inner Loop Header: Depth=1
	s_sleep 1
	global_store_dwordx2 v[4:5], v[2:3], off
	buffer_wbl2
	s_waitcnt vmcnt(0)
	global_atomic_cmpswap_x2 v[8:9], v6, v[0:3], s[6:7] offset:24 glc
	s_waitcnt vmcnt(0)
	v_cmp_eq_u64_e32 vcc, v[8:9], v[2:3]
	s_or_b64 s[4:5], vcc, s[4:5]
	v_pk_mov_b32 v[2:3], v[8:9], v[8:9] op_sel:[0,1]
	s_andn2_b64 exec, exec, s[4:5]
	s_cbranch_execnz .LBB2_24
.LBB2_25:
	s_or_b64 exec, exec, s[10:11]
	s_waitcnt vmcnt(0) lgkmcnt(0)
	s_setpc_b64 s[30:31]
.Lfunc_end2:
	.size	__ockl_printf_append_args, .Lfunc_end2-__ockl_printf_append_args
                                        ; -- End function
	.section	.AMDGPU.csdata,"",@progbits
; Function info:
; codeLenInByte = 1284
; NumSgprs: 36
; NumVgprs: 16
; NumAgprs: 0
; TotalNumVgprs: 16
; ScratchSize: 0
; MemoryBound: 0
	.text
	.p2align	2                               ; -- Begin function _ZL14no_device_codePKciS0_iS0_
	.type	_ZL14no_device_codePKciS0_iS0_,@function
_ZL14no_device_codePKciS0_iS0_:         ; @_ZL14no_device_codePKciS0_iS0_
; %bb.0:
	s_waitcnt vmcnt(0) expcnt(0) lgkmcnt(0)
	s_mov_b32 s25, s33
	s_mov_b32 s33, s32
	s_xor_saveexec_b64 s[4:5], -1
	buffer_store_dword v38, off, s[0:3], s33 ; 4-byte Folded Spill
	s_mov_b64 exec, s[4:5]
	v_writelane_b32 v38, s30, 0
	s_addk_i32 s32, 0x400
	v_writelane_b32 v38, s31, 1
	s_load_dwordx2 s[6:7], s[8:9], 0x50
	v_mbcnt_lo_u32_b32 v0, -1, 0
	v_mbcnt_hi_u32_b32 v35, -1, v0
	v_readfirstlane_b32 s4, v35
	s_mov_b64 s[26:27], s[8:9]
	v_cmp_eq_u32_e64 s[4:5], s4, v35
	v_pk_mov_b32 v[6:7], 0, 0
	s_and_saveexec_b64 s[10:11], s[4:5]
	s_cbranch_execz .LBB3_6
; %bb.1:
	v_mov_b32_e32 v0, 0
	s_waitcnt lgkmcnt(0)
	global_load_dwordx2 v[4:5], v0, s[6:7] offset:24 glc
	s_waitcnt vmcnt(0)
	buffer_invl2
	buffer_wbinvl1_vol
	global_load_dwordx2 v[2:3], v0, s[6:7] offset:40
	global_load_dwordx2 v[6:7], v0, s[6:7]
	s_waitcnt vmcnt(1)
	v_and_b32_e32 v1, v2, v4
	v_and_b32_e32 v2, v3, v5
	v_mul_lo_u32 v2, v2, 24
	v_mul_hi_u32 v3, v1, 24
	v_mul_lo_u32 v1, v1, 24
	v_add_u32_e32 v3, v3, v2
	s_waitcnt vmcnt(0)
	v_add_co_u32_e32 v2, vcc, v6, v1
	v_addc_co_u32_e32 v3, vcc, v7, v3, vcc
	global_load_dwordx2 v[2:3], v[2:3], off glc
	s_waitcnt vmcnt(0)
	global_atomic_cmpswap_x2 v[6:7], v0, v[2:5], s[6:7] offset:24 glc
	s_waitcnt vmcnt(0)
	buffer_invl2
	buffer_wbinvl1_vol
	v_cmp_ne_u64_e32 vcc, v[6:7], v[4:5]
	s_and_saveexec_b64 s[12:13], vcc
	s_cbranch_execz .LBB3_5
; %bb.2:
	s_mov_b64 s[14:15], 0
.LBB3_3:                                ; =>This Inner Loop Header: Depth=1
	s_sleep 1
	global_load_dwordx2 v[2:3], v0, s[6:7] offset:40
	global_load_dwordx2 v[8:9], v0, s[6:7]
	v_pk_mov_b32 v[4:5], v[6:7], v[6:7] op_sel:[0,1]
	s_waitcnt vmcnt(1)
	v_and_b32_e32 v2, v2, v4
	v_and_b32_e32 v1, v3, v5
	s_waitcnt vmcnt(0)
	v_mad_u64_u32 v[2:3], s[16:17], v2, 24, v[8:9]
	v_mov_b32_e32 v6, v3
	v_mad_u64_u32 v[6:7], s[16:17], v1, 24, v[6:7]
	v_mov_b32_e32 v3, v6
	global_load_dwordx2 v[2:3], v[2:3], off glc
	s_waitcnt vmcnt(0)
	global_atomic_cmpswap_x2 v[6:7], v0, v[2:5], s[6:7] offset:24 glc
	s_waitcnt vmcnt(0)
	buffer_invl2
	buffer_wbinvl1_vol
	v_cmp_eq_u64_e32 vcc, v[6:7], v[4:5]
	s_or_b64 s[14:15], vcc, s[14:15]
	s_andn2_b64 exec, exec, s[14:15]
	s_cbranch_execnz .LBB3_3
; %bb.4:
	s_or_b64 exec, exec, s[14:15]
.LBB3_5:
	s_or_b64 exec, exec, s[12:13]
.LBB3_6:
	s_or_b64 exec, exec, s[10:11]
	v_mov_b32_e32 v5, 0
	s_waitcnt lgkmcnt(0)
	global_load_dwordx2 v[8:9], v5, s[6:7] offset:40
	global_load_dwordx4 v[0:3], v5, s[6:7]
	v_readfirstlane_b32 s10, v6
	v_readfirstlane_b32 s11, v7
	s_mov_b64 s[12:13], exec
	s_waitcnt vmcnt(1)
	v_readfirstlane_b32 s14, v8
	v_readfirstlane_b32 s15, v9
	s_and_b64 s[14:15], s[10:11], s[14:15]
	s_mul_i32 s16, s15, 24
	s_mul_hi_u32 s17, s14, 24
	s_mul_i32 s18, s14, 24
	s_add_i32 s16, s17, s16
	v_mov_b32_e32 v4, s16
	s_waitcnt vmcnt(0)
	v_add_co_u32_e32 v8, vcc, s18, v0
	v_addc_co_u32_e32 v9, vcc, v1, v4, vcc
	s_and_saveexec_b64 s[16:17], s[4:5]
	s_cbranch_execz .LBB3_8
; %bb.7:
	v_pk_mov_b32 v[10:11], s[12:13], s[12:13] op_sel:[0,1]
	v_mov_b32_e32 v12, 2
	v_mov_b32_e32 v13, 1
	global_store_dwordx4 v[8:9], v[10:13], off offset:8
.LBB3_8:
	s_or_b64 exec, exec, s[16:17]
	s_lshl_b64 s[12:13], s[14:15], 12
	v_mov_b32_e32 v4, s13
	v_add_co_u32_e32 v2, vcc, s12, v2
	v_addc_co_u32_e32 v3, vcc, v3, v4, vcc
	s_mov_b32 s12, 0
	v_lshlrev_b32_e32 v34, 6, v35
	v_add_co_u32_e32 v10, vcc, v2, v34
	v_mov_b32_e32 v4, 33
	v_mov_b32_e32 v6, v5
	;; [unrolled: 1-line block ×3, first 2 shown]
	v_readfirstlane_b32 s16, v2
	v_readfirstlane_b32 s17, v3
	s_mov_b32 s13, s12
	v_addc_co_u32_e32 v11, vcc, 0, v3, vcc
	s_mov_b32 s14, s12
	s_mov_b32 s15, s12
	s_nop 0
	global_store_dwordx4 v34, v[4:7], s[16:17]
	v_pk_mov_b32 v[2:3], s[12:13], s[12:13] op_sel:[0,1]
	v_pk_mov_b32 v[4:5], s[14:15], s[14:15] op_sel:[0,1]
	global_store_dwordx4 v34, v[2:5], s[16:17] offset:16
	global_store_dwordx4 v34, v[2:5], s[16:17] offset:32
	;; [unrolled: 1-line block ×3, first 2 shown]
	s_and_saveexec_b64 s[12:13], s[4:5]
	s_cbranch_execz .LBB3_16
; %bb.9:
	v_mov_b32_e32 v6, 0
	global_load_dwordx2 v[14:15], v6, s[6:7] offset:32 glc
	global_load_dwordx2 v[2:3], v6, s[6:7] offset:40
	v_mov_b32_e32 v12, s10
	v_mov_b32_e32 v13, s11
	s_waitcnt vmcnt(0)
	v_and_b32_e32 v2, s10, v2
	v_and_b32_e32 v3, s11, v3
	v_mul_lo_u32 v3, v3, 24
	v_mul_hi_u32 v4, v2, 24
	v_mul_lo_u32 v2, v2, 24
	v_add_u32_e32 v3, v4, v3
	v_add_co_u32_e32 v4, vcc, v0, v2
	v_addc_co_u32_e32 v5, vcc, v1, v3, vcc
	global_store_dwordx2 v[4:5], v[14:15], off
	buffer_wbl2
	s_waitcnt vmcnt(0)
	global_atomic_cmpswap_x2 v[2:3], v6, v[12:15], s[6:7] offset:32 glc
	s_waitcnt vmcnt(0)
	v_cmp_ne_u64_e32 vcc, v[2:3], v[14:15]
	s_and_saveexec_b64 s[14:15], vcc
	s_cbranch_execz .LBB3_12
; %bb.10:
	s_mov_b64 s[16:17], 0
.LBB3_11:                               ; =>This Inner Loop Header: Depth=1
	s_sleep 1
	global_store_dwordx2 v[4:5], v[2:3], off
	v_mov_b32_e32 v0, s10
	v_mov_b32_e32 v1, s11
	buffer_wbl2
	s_waitcnt vmcnt(0)
	global_atomic_cmpswap_x2 v[0:1], v6, v[0:3], s[6:7] offset:32 glc
	s_waitcnt vmcnt(0)
	v_cmp_eq_u64_e32 vcc, v[0:1], v[2:3]
	s_or_b64 s[16:17], vcc, s[16:17]
	v_pk_mov_b32 v[2:3], v[0:1], v[0:1] op_sel:[0,1]
	s_andn2_b64 exec, exec, s[16:17]
	s_cbranch_execnz .LBB3_11
.LBB3_12:
	s_or_b64 exec, exec, s[14:15]
	v_mov_b32_e32 v3, 0
	global_load_dwordx2 v[0:1], v3, s[6:7] offset:16
	s_mov_b64 s[14:15], exec
	v_mbcnt_lo_u32_b32 v2, s14, 0
	v_mbcnt_hi_u32_b32 v2, s15, v2
	v_cmp_eq_u32_e32 vcc, 0, v2
	s_and_saveexec_b64 s[16:17], vcc
	s_cbranch_execz .LBB3_14
; %bb.13:
	s_bcnt1_i32_b64 s14, s[14:15]
	v_mov_b32_e32 v2, s14
	buffer_wbl2
	s_waitcnt vmcnt(0)
	global_atomic_add_x2 v[0:1], v[2:3], off offset:8
.LBB3_14:
	s_or_b64 exec, exec, s[16:17]
	s_waitcnt vmcnt(0)
	global_load_dwordx2 v[2:3], v[0:1], off offset:16
	s_waitcnt vmcnt(0)
	v_cmp_eq_u64_e32 vcc, 0, v[2:3]
	s_cbranch_vccnz .LBB3_16
; %bb.15:
	global_load_dword v0, v[0:1], off offset:24
	v_mov_b32_e32 v1, 0
	buffer_wbl2
	s_waitcnt vmcnt(0)
	global_store_dwordx2 v[2:3], v[0:1], off
	v_and_b32_e32 v0, 0xffffff, v0
	v_readfirstlane_b32 m0, v0
	s_sendmsg sendmsg(MSG_INTERRUPT)
.LBB3_16:
	s_or_b64 exec, exec, s[12:13]
	s_branch .LBB3_20
.LBB3_17:                               ;   in Loop: Header=BB3_20 Depth=1
	s_or_b64 exec, exec, s[12:13]
	v_readfirstlane_b32 s12, v0
	s_cmp_eq_u32 s12, 0
	s_cbranch_scc1 .LBB3_19
; %bb.18:                               ;   in Loop: Header=BB3_20 Depth=1
	s_sleep 1
	s_cbranch_execnz .LBB3_20
	s_branch .LBB3_22
.LBB3_19:
	s_branch .LBB3_22
.LBB3_20:                               ; =>This Inner Loop Header: Depth=1
	v_mov_b32_e32 v0, 1
	s_and_saveexec_b64 s[12:13], s[4:5]
	s_cbranch_execz .LBB3_17
; %bb.21:                               ;   in Loop: Header=BB3_20 Depth=1
	global_load_dword v0, v[8:9], off offset:20 glc
	s_waitcnt vmcnt(0)
	buffer_invl2
	buffer_wbinvl1_vol
	v_and_b32_e32 v0, 1, v0
	s_branch .LBB3_17
.LBB3_22:
	global_load_dwordx2 v[4:5], v[10:11], off
	s_and_saveexec_b64 s[12:13], s[4:5]
	s_cbranch_execz .LBB3_25
; %bb.23:
	v_mov_b32_e32 v8, 0
	global_load_dwordx2 v[6:7], v8, s[6:7] offset:40
	global_load_dwordx2 v[10:11], v8, s[6:7] offset:24 glc
	global_load_dwordx2 v[12:13], v8, s[6:7]
	v_mov_b32_e32 v1, s11
	s_mov_b64 s[4:5], 0
	s_waitcnt vmcnt(2)
	v_add_co_u32_e32 v3, vcc, 1, v6
	v_addc_co_u32_e32 v9, vcc, 0, v7, vcc
	v_add_co_u32_e32 v0, vcc, s10, v3
	v_addc_co_u32_e32 v1, vcc, v9, v1, vcc
	v_cmp_eq_u64_e32 vcc, 0, v[0:1]
	v_cndmask_b32_e32 v1, v1, v9, vcc
	v_cndmask_b32_e32 v0, v0, v3, vcc
	v_and_b32_e32 v3, v1, v7
	v_and_b32_e32 v6, v0, v6
	v_mul_lo_u32 v3, v3, 24
	v_mul_hi_u32 v7, v6, 24
	v_mul_lo_u32 v6, v6, 24
	v_add_u32_e32 v3, v7, v3
	s_waitcnt vmcnt(0)
	v_add_co_u32_e32 v6, vcc, v12, v6
	v_addc_co_u32_e32 v7, vcc, v13, v3, vcc
	v_mov_b32_e32 v2, v10
	global_store_dwordx2 v[6:7], v[10:11], off
	v_mov_b32_e32 v3, v11
	buffer_wbl2
	s_waitcnt vmcnt(0)
	global_atomic_cmpswap_x2 v[2:3], v8, v[0:3], s[6:7] offset:24 glc
	s_waitcnt vmcnt(0)
	v_cmp_ne_u64_e32 vcc, v[2:3], v[10:11]
	s_and_b64 exec, exec, vcc
	s_cbranch_execz .LBB3_25
.LBB3_24:                               ; =>This Inner Loop Header: Depth=1
	s_sleep 1
	global_store_dwordx2 v[6:7], v[2:3], off
	buffer_wbl2
	s_waitcnt vmcnt(0)
	global_atomic_cmpswap_x2 v[10:11], v8, v[0:3], s[6:7] offset:24 glc
	s_waitcnt vmcnt(0)
	v_cmp_eq_u64_e32 vcc, v[10:11], v[2:3]
	s_or_b64 s[4:5], vcc, s[4:5]
	v_pk_mov_b32 v[2:3], v[10:11], v[10:11] op_sel:[0,1]
	s_andn2_b64 exec, exec, s[4:5]
	s_cbranch_execnz .LBB3_24
.LBB3_25:
	s_or_b64 exec, exec, s[12:13]
	s_getpc_b64 s[10:11]
	s_add_u32 s10, s10, .str.3@rel32@lo+4
	s_addc_u32 s11, s11, .str.3@rel32@hi+12
	s_cmp_lg_u64 s[10:11], 0
	s_cbranch_scc0 .LBB3_109
; %bb.26:
	s_waitcnt vmcnt(0)
	v_and_b32_e32 v26, 2, v4
	v_mov_b32_e32 v29, 0
	v_and_b32_e32 v0, -3, v4
	v_mov_b32_e32 v1, v5
	s_mov_b64 s[12:13], 0x4d
	v_mov_b32_e32 v8, 2
	v_mov_b32_e32 v9, 1
	s_branch .LBB3_28
.LBB3_27:                               ;   in Loop: Header=BB3_28 Depth=1
	s_or_b64 exec, exec, s[18:19]
	s_sub_u32 s12, s12, s14
	s_subb_u32 s13, s13, s15
	s_add_u32 s10, s10, s14
	s_addc_u32 s11, s11, s15
	s_cmp_lg_u64 s[12:13], 0
	s_cbranch_scc0 .LBB3_110
.LBB3_28:                               ; =>This Loop Header: Depth=1
                                        ;     Child Loop BB3_31 Depth 2
                                        ;     Child Loop BB3_38 Depth 2
	;; [unrolled: 1-line block ×11, first 2 shown]
	v_cmp_lt_u64_e64 s[4:5], s[12:13], 56
	s_and_b64 s[4:5], s[4:5], exec
	v_cmp_gt_u64_e64 s[4:5], s[12:13], 7
	s_cselect_b32 s15, s13, 0
	s_cselect_b32 s14, s12, 56
	s_and_b64 vcc, exec, s[4:5]
	s_cbranch_vccnz .LBB3_33
; %bb.29:                               ;   in Loop: Header=BB3_28 Depth=1
	s_mov_b64 s[4:5], 0
	s_cmp_eq_u64 s[12:13], 0
	s_waitcnt vmcnt(0)
	v_pk_mov_b32 v[2:3], 0, 0
	s_cbranch_scc1 .LBB3_32
; %bb.30:                               ;   in Loop: Header=BB3_28 Depth=1
	s_lshl_b64 s[16:17], s[14:15], 3
	s_mov_b64 s[18:19], 0
	v_pk_mov_b32 v[2:3], 0, 0
	s_mov_b64 s[20:21], s[10:11]
.LBB3_31:                               ;   Parent Loop BB3_28 Depth=1
                                        ; =>  This Inner Loop Header: Depth=2
	global_load_ubyte v6, v29, s[20:21]
	s_waitcnt vmcnt(0)
	v_and_b32_e32 v28, 0xffff, v6
	v_lshlrev_b64 v[6:7], s18, v[28:29]
	s_add_u32 s18, s18, 8
	s_addc_u32 s19, s19, 0
	s_add_u32 s20, s20, 1
	s_addc_u32 s21, s21, 0
	v_or_b32_e32 v2, v6, v2
	s_cmp_lg_u32 s16, s18
	v_or_b32_e32 v3, v7, v3
	s_cbranch_scc1 .LBB3_31
.LBB3_32:                               ;   in Loop: Header=BB3_28 Depth=1
	s_mov_b32 s20, 0
	s_andn2_b64 vcc, exec, s[4:5]
	s_mov_b64 s[4:5], s[10:11]
	s_cbranch_vccz .LBB3_34
	s_branch .LBB3_35
.LBB3_33:                               ;   in Loop: Header=BB3_28 Depth=1
                                        ; implicit-def: $vgpr2_vgpr3
                                        ; implicit-def: $sgpr20
	s_mov_b64 s[4:5], s[10:11]
.LBB3_34:                               ;   in Loop: Header=BB3_28 Depth=1
	global_load_dwordx2 v[2:3], v29, s[10:11]
	s_add_i32 s20, s14, -8
	s_add_u32 s4, s10, 8
	s_addc_u32 s5, s11, 0
.LBB3_35:                               ;   in Loop: Header=BB3_28 Depth=1
	s_cmp_gt_u32 s20, 7
	s_cbranch_scc1 .LBB3_39
; %bb.36:                               ;   in Loop: Header=BB3_28 Depth=1
	s_cmp_eq_u32 s20, 0
	s_cbranch_scc1 .LBB3_40
; %bb.37:                               ;   in Loop: Header=BB3_28 Depth=1
	s_mov_b64 s[16:17], 0
	v_pk_mov_b32 v[10:11], 0, 0
	s_mov_b64 s[18:19], 0
.LBB3_38:                               ;   Parent Loop BB3_28 Depth=1
                                        ; =>  This Inner Loop Header: Depth=2
	s_add_u32 s22, s4, s18
	s_addc_u32 s23, s5, s19
	global_load_ubyte v6, v29, s[22:23]
	s_add_u32 s18, s18, 1
	s_addc_u32 s19, s19, 0
	s_waitcnt vmcnt(0)
	v_and_b32_e32 v28, 0xffff, v6
	v_lshlrev_b64 v[6:7], s16, v[28:29]
	s_add_u32 s16, s16, 8
	s_addc_u32 s17, s17, 0
	v_or_b32_e32 v10, v6, v10
	s_cmp_lg_u32 s20, s18
	v_or_b32_e32 v11, v7, v11
	s_cbranch_scc1 .LBB3_38
	s_branch .LBB3_41
.LBB3_39:                               ;   in Loop: Header=BB3_28 Depth=1
                                        ; implicit-def: $vgpr10_vgpr11
                                        ; implicit-def: $sgpr21
	s_branch .LBB3_42
.LBB3_40:                               ;   in Loop: Header=BB3_28 Depth=1
	v_pk_mov_b32 v[10:11], 0, 0
.LBB3_41:                               ;   in Loop: Header=BB3_28 Depth=1
	s_mov_b32 s21, 0
	s_cbranch_execnz .LBB3_43
.LBB3_42:                               ;   in Loop: Header=BB3_28 Depth=1
	global_load_dwordx2 v[10:11], v29, s[4:5]
	s_add_i32 s21, s20, -8
	s_add_u32 s4, s4, 8
	s_addc_u32 s5, s5, 0
.LBB3_43:                               ;   in Loop: Header=BB3_28 Depth=1
	s_cmp_gt_u32 s21, 7
	s_cbranch_scc1 .LBB3_47
; %bb.44:                               ;   in Loop: Header=BB3_28 Depth=1
	s_cmp_eq_u32 s21, 0
	s_cbranch_scc1 .LBB3_48
; %bb.45:                               ;   in Loop: Header=BB3_28 Depth=1
	s_mov_b64 s[16:17], 0
	v_pk_mov_b32 v[12:13], 0, 0
	s_mov_b64 s[18:19], 0
.LBB3_46:                               ;   Parent Loop BB3_28 Depth=1
                                        ; =>  This Inner Loop Header: Depth=2
	s_add_u32 s22, s4, s18
	s_addc_u32 s23, s5, s19
	global_load_ubyte v6, v29, s[22:23]
	s_add_u32 s18, s18, 1
	s_addc_u32 s19, s19, 0
	s_waitcnt vmcnt(0)
	v_and_b32_e32 v28, 0xffff, v6
	v_lshlrev_b64 v[6:7], s16, v[28:29]
	s_add_u32 s16, s16, 8
	s_addc_u32 s17, s17, 0
	v_or_b32_e32 v12, v6, v12
	s_cmp_lg_u32 s21, s18
	v_or_b32_e32 v13, v7, v13
	s_cbranch_scc1 .LBB3_46
	s_branch .LBB3_49
.LBB3_47:                               ;   in Loop: Header=BB3_28 Depth=1
                                        ; implicit-def: $sgpr20
	s_branch .LBB3_50
.LBB3_48:                               ;   in Loop: Header=BB3_28 Depth=1
	v_pk_mov_b32 v[12:13], 0, 0
.LBB3_49:                               ;   in Loop: Header=BB3_28 Depth=1
	s_mov_b32 s20, 0
	s_cbranch_execnz .LBB3_51
.LBB3_50:                               ;   in Loop: Header=BB3_28 Depth=1
	global_load_dwordx2 v[12:13], v29, s[4:5]
	s_add_i32 s20, s21, -8
	s_add_u32 s4, s4, 8
	s_addc_u32 s5, s5, 0
.LBB3_51:                               ;   in Loop: Header=BB3_28 Depth=1
	s_cmp_gt_u32 s20, 7
	s_cbranch_scc1 .LBB3_55
; %bb.52:                               ;   in Loop: Header=BB3_28 Depth=1
	s_cmp_eq_u32 s20, 0
	s_cbranch_scc1 .LBB3_56
; %bb.53:                               ;   in Loop: Header=BB3_28 Depth=1
	s_mov_b64 s[16:17], 0
	v_pk_mov_b32 v[14:15], 0, 0
	s_mov_b64 s[18:19], 0
.LBB3_54:                               ;   Parent Loop BB3_28 Depth=1
                                        ; =>  This Inner Loop Header: Depth=2
	s_add_u32 s22, s4, s18
	s_addc_u32 s23, s5, s19
	global_load_ubyte v6, v29, s[22:23]
	s_add_u32 s18, s18, 1
	s_addc_u32 s19, s19, 0
	s_waitcnt vmcnt(0)
	v_and_b32_e32 v28, 0xffff, v6
	v_lshlrev_b64 v[6:7], s16, v[28:29]
	s_add_u32 s16, s16, 8
	s_addc_u32 s17, s17, 0
	v_or_b32_e32 v14, v6, v14
	s_cmp_lg_u32 s20, s18
	v_or_b32_e32 v15, v7, v15
	s_cbranch_scc1 .LBB3_54
	s_branch .LBB3_57
.LBB3_55:                               ;   in Loop: Header=BB3_28 Depth=1
                                        ; implicit-def: $vgpr14_vgpr15
                                        ; implicit-def: $sgpr21
	s_branch .LBB3_58
.LBB3_56:                               ;   in Loop: Header=BB3_28 Depth=1
	v_pk_mov_b32 v[14:15], 0, 0
.LBB3_57:                               ;   in Loop: Header=BB3_28 Depth=1
	s_mov_b32 s21, 0
	s_cbranch_execnz .LBB3_59
.LBB3_58:                               ;   in Loop: Header=BB3_28 Depth=1
	global_load_dwordx2 v[14:15], v29, s[4:5]
	s_add_i32 s21, s20, -8
	s_add_u32 s4, s4, 8
	s_addc_u32 s5, s5, 0
.LBB3_59:                               ;   in Loop: Header=BB3_28 Depth=1
	s_cmp_gt_u32 s21, 7
	s_cbranch_scc1 .LBB3_63
; %bb.60:                               ;   in Loop: Header=BB3_28 Depth=1
	s_cmp_eq_u32 s21, 0
	s_cbranch_scc1 .LBB3_64
; %bb.61:                               ;   in Loop: Header=BB3_28 Depth=1
	s_mov_b64 s[16:17], 0
	v_pk_mov_b32 v[16:17], 0, 0
	s_mov_b64 s[18:19], 0
.LBB3_62:                               ;   Parent Loop BB3_28 Depth=1
                                        ; =>  This Inner Loop Header: Depth=2
	s_add_u32 s22, s4, s18
	s_addc_u32 s23, s5, s19
	global_load_ubyte v6, v29, s[22:23]
	s_add_u32 s18, s18, 1
	s_addc_u32 s19, s19, 0
	s_waitcnt vmcnt(0)
	v_and_b32_e32 v28, 0xffff, v6
	v_lshlrev_b64 v[6:7], s16, v[28:29]
	s_add_u32 s16, s16, 8
	s_addc_u32 s17, s17, 0
	v_or_b32_e32 v16, v6, v16
	s_cmp_lg_u32 s21, s18
	v_or_b32_e32 v17, v7, v17
	s_cbranch_scc1 .LBB3_62
	s_branch .LBB3_65
.LBB3_63:                               ;   in Loop: Header=BB3_28 Depth=1
                                        ; implicit-def: $sgpr20
	s_branch .LBB3_66
.LBB3_64:                               ;   in Loop: Header=BB3_28 Depth=1
	v_pk_mov_b32 v[16:17], 0, 0
.LBB3_65:                               ;   in Loop: Header=BB3_28 Depth=1
	s_mov_b32 s20, 0
	s_cbranch_execnz .LBB3_67
.LBB3_66:                               ;   in Loop: Header=BB3_28 Depth=1
	global_load_dwordx2 v[16:17], v29, s[4:5]
	s_add_i32 s20, s21, -8
	s_add_u32 s4, s4, 8
	s_addc_u32 s5, s5, 0
.LBB3_67:                               ;   in Loop: Header=BB3_28 Depth=1
	s_cmp_gt_u32 s20, 7
	s_cbranch_scc1 .LBB3_71
; %bb.68:                               ;   in Loop: Header=BB3_28 Depth=1
	s_cmp_eq_u32 s20, 0
	s_cbranch_scc1 .LBB3_72
; %bb.69:                               ;   in Loop: Header=BB3_28 Depth=1
	s_mov_b64 s[16:17], 0
	v_pk_mov_b32 v[18:19], 0, 0
	s_mov_b64 s[18:19], 0
.LBB3_70:                               ;   Parent Loop BB3_28 Depth=1
                                        ; =>  This Inner Loop Header: Depth=2
	s_add_u32 s22, s4, s18
	s_addc_u32 s23, s5, s19
	global_load_ubyte v6, v29, s[22:23]
	s_add_u32 s18, s18, 1
	s_addc_u32 s19, s19, 0
	s_waitcnt vmcnt(0)
	v_and_b32_e32 v28, 0xffff, v6
	v_lshlrev_b64 v[6:7], s16, v[28:29]
	s_add_u32 s16, s16, 8
	s_addc_u32 s17, s17, 0
	v_or_b32_e32 v18, v6, v18
	s_cmp_lg_u32 s20, s18
	v_or_b32_e32 v19, v7, v19
	s_cbranch_scc1 .LBB3_70
	s_branch .LBB3_73
.LBB3_71:                               ;   in Loop: Header=BB3_28 Depth=1
                                        ; implicit-def: $vgpr18_vgpr19
                                        ; implicit-def: $sgpr21
	s_branch .LBB3_74
.LBB3_72:                               ;   in Loop: Header=BB3_28 Depth=1
	v_pk_mov_b32 v[18:19], 0, 0
.LBB3_73:                               ;   in Loop: Header=BB3_28 Depth=1
	s_mov_b32 s21, 0
	s_cbranch_execnz .LBB3_75
.LBB3_74:                               ;   in Loop: Header=BB3_28 Depth=1
	global_load_dwordx2 v[18:19], v29, s[4:5]
	s_add_i32 s21, s20, -8
	s_add_u32 s4, s4, 8
	s_addc_u32 s5, s5, 0
.LBB3_75:                               ;   in Loop: Header=BB3_28 Depth=1
	s_cmp_gt_u32 s21, 7
	s_cbranch_scc1 .LBB3_79
; %bb.76:                               ;   in Loop: Header=BB3_28 Depth=1
	s_cmp_eq_u32 s21, 0
	s_cbranch_scc1 .LBB3_80
; %bb.77:                               ;   in Loop: Header=BB3_28 Depth=1
	s_mov_b64 s[16:17], 0
	v_pk_mov_b32 v[20:21], 0, 0
	s_mov_b64 s[18:19], s[4:5]
.LBB3_78:                               ;   Parent Loop BB3_28 Depth=1
                                        ; =>  This Inner Loop Header: Depth=2
	global_load_ubyte v6, v29, s[18:19]
	s_add_i32 s21, s21, -1
	s_waitcnt vmcnt(0)
	v_and_b32_e32 v28, 0xffff, v6
	v_lshlrev_b64 v[6:7], s16, v[28:29]
	s_add_u32 s16, s16, 8
	s_addc_u32 s17, s17, 0
	s_add_u32 s18, s18, 1
	s_addc_u32 s19, s19, 0
	v_or_b32_e32 v20, v6, v20
	s_cmp_lg_u32 s21, 0
	v_or_b32_e32 v21, v7, v21
	s_cbranch_scc1 .LBB3_78
	s_branch .LBB3_81
.LBB3_79:                               ;   in Loop: Header=BB3_28 Depth=1
	s_branch .LBB3_82
.LBB3_80:                               ;   in Loop: Header=BB3_28 Depth=1
	v_pk_mov_b32 v[20:21], 0, 0
.LBB3_81:                               ;   in Loop: Header=BB3_28 Depth=1
	s_cbranch_execnz .LBB3_83
.LBB3_82:                               ;   in Loop: Header=BB3_28 Depth=1
	global_load_dwordx2 v[20:21], v29, s[4:5]
.LBB3_83:                               ;   in Loop: Header=BB3_28 Depth=1
	v_readfirstlane_b32 s4, v35
	v_cmp_eq_u32_e64 s[4:5], s4, v35
	v_pk_mov_b32 v[6:7], 0, 0
	s_and_saveexec_b64 s[16:17], s[4:5]
	s_cbranch_execz .LBB3_89
; %bb.84:                               ;   in Loop: Header=BB3_28 Depth=1
	global_load_dwordx2 v[24:25], v29, s[6:7] offset:24 glc
	s_waitcnt vmcnt(0)
	buffer_invl2
	buffer_wbinvl1_vol
	global_load_dwordx2 v[6:7], v29, s[6:7] offset:40
	global_load_dwordx2 v[22:23], v29, s[6:7]
	s_waitcnt vmcnt(1)
	v_and_b32_e32 v6, v6, v24
	v_and_b32_e32 v7, v7, v25
	v_mul_lo_u32 v7, v7, 24
	v_mul_hi_u32 v27, v6, 24
	v_mul_lo_u32 v6, v6, 24
	v_add_u32_e32 v7, v27, v7
	s_waitcnt vmcnt(0)
	v_add_co_u32_e32 v6, vcc, v22, v6
	v_addc_co_u32_e32 v7, vcc, v23, v7, vcc
	global_load_dwordx2 v[22:23], v[6:7], off glc
	s_waitcnt vmcnt(0)
	global_atomic_cmpswap_x2 v[6:7], v29, v[22:25], s[6:7] offset:24 glc
	s_waitcnt vmcnt(0)
	buffer_invl2
	buffer_wbinvl1_vol
	v_cmp_ne_u64_e32 vcc, v[6:7], v[24:25]
	s_and_saveexec_b64 s[18:19], vcc
	s_cbranch_execz .LBB3_88
; %bb.85:                               ;   in Loop: Header=BB3_28 Depth=1
	s_mov_b64 s[20:21], 0
.LBB3_86:                               ;   Parent Loop BB3_28 Depth=1
                                        ; =>  This Inner Loop Header: Depth=2
	s_sleep 1
	global_load_dwordx2 v[22:23], v29, s[6:7] offset:40
	global_load_dwordx2 v[30:31], v29, s[6:7]
	v_pk_mov_b32 v[24:25], v[6:7], v[6:7] op_sel:[0,1]
	s_waitcnt vmcnt(1)
	v_and_b32_e32 v6, v22, v24
	s_waitcnt vmcnt(0)
	v_mad_u64_u32 v[6:7], s[22:23], v6, 24, v[30:31]
	v_and_b32_e32 v23, v23, v25
	v_mov_b32_e32 v22, v7
	v_mad_u64_u32 v[22:23], s[22:23], v23, 24, v[22:23]
	v_mov_b32_e32 v7, v22
	global_load_dwordx2 v[22:23], v[6:7], off glc
	s_waitcnt vmcnt(0)
	global_atomic_cmpswap_x2 v[6:7], v29, v[22:25], s[6:7] offset:24 glc
	s_waitcnt vmcnt(0)
	buffer_invl2
	buffer_wbinvl1_vol
	v_cmp_eq_u64_e32 vcc, v[6:7], v[24:25]
	s_or_b64 s[20:21], vcc, s[20:21]
	s_andn2_b64 exec, exec, s[20:21]
	s_cbranch_execnz .LBB3_86
; %bb.87:                               ;   in Loop: Header=BB3_28 Depth=1
	s_or_b64 exec, exec, s[20:21]
.LBB3_88:                               ;   in Loop: Header=BB3_28 Depth=1
	s_or_b64 exec, exec, s[18:19]
.LBB3_89:                               ;   in Loop: Header=BB3_28 Depth=1
	s_or_b64 exec, exec, s[16:17]
	global_load_dwordx2 v[30:31], v29, s[6:7] offset:40
	global_load_dwordx4 v[22:25], v29, s[6:7]
	v_readfirstlane_b32 s16, v6
	v_readfirstlane_b32 s17, v7
	s_mov_b64 s[18:19], exec
	s_waitcnt vmcnt(1)
	v_readfirstlane_b32 s20, v30
	v_readfirstlane_b32 s21, v31
	s_and_b64 s[20:21], s[16:17], s[20:21]
	s_mul_i32 s22, s21, 24
	s_mul_hi_u32 s23, s20, 24
	s_mul_i32 s24, s20, 24
	s_add_i32 s22, s23, s22
	v_mov_b32_e32 v6, s22
	s_waitcnt vmcnt(0)
	v_add_co_u32_e32 v30, vcc, s24, v22
	v_addc_co_u32_e32 v31, vcc, v23, v6, vcc
	s_and_saveexec_b64 s[22:23], s[4:5]
	s_cbranch_execz .LBB3_91
; %bb.90:                               ;   in Loop: Header=BB3_28 Depth=1
	v_pk_mov_b32 v[6:7], s[18:19], s[18:19] op_sel:[0,1]
	global_store_dwordx4 v[30:31], v[6:9], off offset:8
.LBB3_91:                               ;   in Loop: Header=BB3_28 Depth=1
	s_or_b64 exec, exec, s[22:23]
	s_lshl_b64 s[18:19], s[20:21], 12
	v_mov_b32_e32 v7, s19
	v_add_co_u32_e32 v6, vcc, s18, v24
	v_addc_co_u32_e32 v7, vcc, v25, v7, vcc
	v_or_b32_e32 v25, v0, v26
	v_cmp_gt_u64_e64 vcc, s[12:13], 56
	s_lshl_b32 s18, s14, 2
	v_cndmask_b32_e32 v0, v25, v0, vcc
	s_add_i32 s18, s18, 28
	v_or_b32_e32 v24, 0, v1
	s_and_b32 s18, s18, 0x1e0
	v_and_b32_e32 v0, 0xffffff1f, v0
	v_cndmask_b32_e32 v1, v24, v1, vcc
	v_or_b32_e32 v0, s18, v0
	v_readfirstlane_b32 s18, v6
	v_readfirstlane_b32 s19, v7
	s_nop 4
	global_store_dwordx4 v34, v[0:3], s[18:19]
	global_store_dwordx4 v34, v[10:13], s[18:19] offset:16
	global_store_dwordx4 v34, v[14:17], s[18:19] offset:32
	;; [unrolled: 1-line block ×3, first 2 shown]
	s_and_saveexec_b64 s[18:19], s[4:5]
	s_cbranch_execz .LBB3_99
; %bb.92:                               ;   in Loop: Header=BB3_28 Depth=1
	global_load_dwordx2 v[14:15], v29, s[6:7] offset:32 glc
	global_load_dwordx2 v[0:1], v29, s[6:7] offset:40
	v_mov_b32_e32 v12, s16
	v_mov_b32_e32 v13, s17
	s_waitcnt vmcnt(0)
	v_readfirstlane_b32 s20, v0
	v_readfirstlane_b32 s21, v1
	s_and_b64 s[20:21], s[20:21], s[16:17]
	s_mul_i32 s21, s21, 24
	s_mul_hi_u32 s22, s20, 24
	s_mul_i32 s20, s20, 24
	s_add_i32 s21, s22, s21
	v_mov_b32_e32 v0, s21
	v_add_co_u32_e32 v10, vcc, s20, v22
	v_addc_co_u32_e32 v11, vcc, v23, v0, vcc
	global_store_dwordx2 v[10:11], v[14:15], off
	buffer_wbl2
	s_waitcnt vmcnt(0)
	global_atomic_cmpswap_x2 v[2:3], v29, v[12:15], s[6:7] offset:32 glc
	s_waitcnt vmcnt(0)
	v_cmp_ne_u64_e32 vcc, v[2:3], v[14:15]
	s_and_saveexec_b64 s[20:21], vcc
	s_cbranch_execz .LBB3_95
; %bb.93:                               ;   in Loop: Header=BB3_28 Depth=1
	s_mov_b64 s[22:23], 0
.LBB3_94:                               ;   Parent Loop BB3_28 Depth=1
                                        ; =>  This Inner Loop Header: Depth=2
	s_sleep 1
	global_store_dwordx2 v[10:11], v[2:3], off
	v_mov_b32_e32 v0, s16
	v_mov_b32_e32 v1, s17
	buffer_wbl2
	s_waitcnt vmcnt(0)
	global_atomic_cmpswap_x2 v[0:1], v29, v[0:3], s[6:7] offset:32 glc
	s_waitcnt vmcnt(0)
	v_cmp_eq_u64_e32 vcc, v[0:1], v[2:3]
	s_or_b64 s[22:23], vcc, s[22:23]
	v_pk_mov_b32 v[2:3], v[0:1], v[0:1] op_sel:[0,1]
	s_andn2_b64 exec, exec, s[22:23]
	s_cbranch_execnz .LBB3_94
.LBB3_95:                               ;   in Loop: Header=BB3_28 Depth=1
	s_or_b64 exec, exec, s[20:21]
	global_load_dwordx2 v[0:1], v29, s[6:7] offset:16
	s_mov_b64 s[22:23], exec
	v_mbcnt_lo_u32_b32 v2, s22, 0
	v_mbcnt_hi_u32_b32 v2, s23, v2
	v_cmp_eq_u32_e32 vcc, 0, v2
	s_and_saveexec_b64 s[20:21], vcc
	s_cbranch_execz .LBB3_97
; %bb.96:                               ;   in Loop: Header=BB3_28 Depth=1
	s_bcnt1_i32_b64 s22, s[22:23]
	v_mov_b32_e32 v28, s22
	buffer_wbl2
	s_waitcnt vmcnt(0)
	global_atomic_add_x2 v[0:1], v[28:29], off offset:8
.LBB3_97:                               ;   in Loop: Header=BB3_28 Depth=1
	s_or_b64 exec, exec, s[20:21]
	s_waitcnt vmcnt(0)
	global_load_dwordx2 v[2:3], v[0:1], off offset:16
	s_waitcnt vmcnt(0)
	v_cmp_eq_u64_e32 vcc, 0, v[2:3]
	s_cbranch_vccnz .LBB3_99
; %bb.98:                               ;   in Loop: Header=BB3_28 Depth=1
	global_load_dword v28, v[0:1], off offset:24
	s_waitcnt vmcnt(0)
	v_and_b32_e32 v0, 0xffffff, v28
	v_readfirstlane_b32 m0, v0
	buffer_wbl2
	global_store_dwordx2 v[2:3], v[28:29], off
	s_sendmsg sendmsg(MSG_INTERRUPT)
.LBB3_99:                               ;   in Loop: Header=BB3_28 Depth=1
	s_or_b64 exec, exec, s[18:19]
	v_add_co_u32_e32 v0, vcc, v6, v34
	v_addc_co_u32_e32 v1, vcc, 0, v7, vcc
	s_branch .LBB3_103
.LBB3_100:                              ;   in Loop: Header=BB3_103 Depth=2
	s_or_b64 exec, exec, s[18:19]
	v_readfirstlane_b32 s18, v2
	s_cmp_eq_u32 s18, 0
	s_cbranch_scc1 .LBB3_102
; %bb.101:                              ;   in Loop: Header=BB3_103 Depth=2
	s_sleep 1
	s_cbranch_execnz .LBB3_103
	s_branch .LBB3_105
.LBB3_102:                              ;   in Loop: Header=BB3_28 Depth=1
	s_branch .LBB3_105
.LBB3_103:                              ;   Parent Loop BB3_28 Depth=1
                                        ; =>  This Inner Loop Header: Depth=2
	v_mov_b32_e32 v2, 1
	s_and_saveexec_b64 s[18:19], s[4:5]
	s_cbranch_execz .LBB3_100
; %bb.104:                              ;   in Loop: Header=BB3_103 Depth=2
	global_load_dword v2, v[30:31], off offset:20 glc
	s_waitcnt vmcnt(0)
	buffer_invl2
	buffer_wbinvl1_vol
	v_and_b32_e32 v2, 1, v2
	s_branch .LBB3_100
.LBB3_105:                              ;   in Loop: Header=BB3_28 Depth=1
	global_load_dwordx4 v[0:3], v[0:1], off
	s_and_saveexec_b64 s[18:19], s[4:5]
	s_cbranch_execz .LBB3_27
; %bb.106:                              ;   in Loop: Header=BB3_28 Depth=1
	global_load_dwordx2 v[2:3], v29, s[6:7] offset:40
	global_load_dwordx2 v[6:7], v29, s[6:7] offset:24 glc
	global_load_dwordx2 v[14:15], v29, s[6:7]
	v_mov_b32_e32 v11, s17
	s_waitcnt vmcnt(2)
	v_add_co_u32_e32 v13, vcc, 1, v2
	v_addc_co_u32_e32 v16, vcc, 0, v3, vcc
	v_add_co_u32_e32 v10, vcc, s16, v13
	v_addc_co_u32_e32 v11, vcc, v16, v11, vcc
	v_cmp_eq_u64_e32 vcc, 0, v[10:11]
	v_cndmask_b32_e32 v11, v11, v16, vcc
	v_cndmask_b32_e32 v10, v10, v13, vcc
	v_and_b32_e32 v3, v11, v3
	v_and_b32_e32 v2, v10, v2
	v_mul_lo_u32 v3, v3, 24
	v_mul_hi_u32 v13, v2, 24
	v_mul_lo_u32 v2, v2, 24
	v_add_u32_e32 v3, v13, v3
	s_waitcnt vmcnt(0)
	v_add_co_u32_e32 v2, vcc, v14, v2
	v_addc_co_u32_e32 v3, vcc, v15, v3, vcc
	v_mov_b32_e32 v12, v6
	global_store_dwordx2 v[2:3], v[6:7], off
	v_mov_b32_e32 v13, v7
	buffer_wbl2
	s_waitcnt vmcnt(0)
	global_atomic_cmpswap_x2 v[12:13], v29, v[10:13], s[6:7] offset:24 glc
	s_waitcnt vmcnt(0)
	v_cmp_ne_u64_e32 vcc, v[12:13], v[6:7]
	s_and_b64 exec, exec, vcc
	s_cbranch_execz .LBB3_27
; %bb.107:                              ;   in Loop: Header=BB3_28 Depth=1
	s_mov_b64 s[4:5], 0
.LBB3_108:                              ;   Parent Loop BB3_28 Depth=1
                                        ; =>  This Inner Loop Header: Depth=2
	s_sleep 1
	global_store_dwordx2 v[2:3], v[12:13], off
	buffer_wbl2
	s_waitcnt vmcnt(0)
	global_atomic_cmpswap_x2 v[6:7], v29, v[10:13], s[6:7] offset:24 glc
	s_waitcnt vmcnt(0)
	v_cmp_eq_u64_e32 vcc, v[6:7], v[12:13]
	s_or_b64 s[4:5], vcc, s[4:5]
	v_pk_mov_b32 v[12:13], v[6:7], v[6:7] op_sel:[0,1]
	s_andn2_b64 exec, exec, s[4:5]
	s_cbranch_execnz .LBB3_108
	s_branch .LBB3_27
.LBB3_109:
                                        ; implicit-def: $vgpr0_vgpr1
	s_cbranch_execnz .LBB3_111
	s_branch .LBB3_137
.LBB3_110:
	s_branch .LBB3_137
.LBB3_111:
	v_readfirstlane_b32 s4, v35
	v_cmp_eq_u32_e64 s[4:5], s4, v35
	v_pk_mov_b32 v[8:9], 0, 0
	s_and_saveexec_b64 s[10:11], s[4:5]
	s_cbranch_execz .LBB3_117
; %bb.112:
	s_waitcnt vmcnt(0)
	v_mov_b32_e32 v0, 0
	global_load_dwordx2 v[10:11], v0, s[6:7] offset:24 glc
	s_waitcnt vmcnt(0)
	buffer_invl2
	buffer_wbinvl1_vol
	global_load_dwordx2 v[2:3], v0, s[6:7] offset:40
	global_load_dwordx2 v[6:7], v0, s[6:7]
	s_waitcnt vmcnt(1)
	v_and_b32_e32 v1, v2, v10
	v_and_b32_e32 v2, v3, v11
	v_mul_lo_u32 v2, v2, 24
	v_mul_hi_u32 v3, v1, 24
	v_mul_lo_u32 v1, v1, 24
	v_add_u32_e32 v3, v3, v2
	s_waitcnt vmcnt(0)
	v_add_co_u32_e32 v2, vcc, v6, v1
	v_addc_co_u32_e32 v3, vcc, v7, v3, vcc
	global_load_dwordx2 v[8:9], v[2:3], off glc
	s_waitcnt vmcnt(0)
	global_atomic_cmpswap_x2 v[8:9], v0, v[8:11], s[6:7] offset:24 glc
	s_waitcnt vmcnt(0)
	buffer_invl2
	buffer_wbinvl1_vol
	v_cmp_ne_u64_e32 vcc, v[8:9], v[10:11]
	s_and_saveexec_b64 s[12:13], vcc
	s_cbranch_execz .LBB3_116
; %bb.113:
	s_mov_b64 s[14:15], 0
.LBB3_114:                              ; =>This Inner Loop Header: Depth=1
	s_sleep 1
	global_load_dwordx2 v[2:3], v0, s[6:7] offset:40
	global_load_dwordx2 v[6:7], v0, s[6:7]
	v_pk_mov_b32 v[10:11], v[8:9], v[8:9] op_sel:[0,1]
	s_waitcnt vmcnt(1)
	v_and_b32_e32 v2, v2, v10
	v_and_b32_e32 v1, v3, v11
	s_waitcnt vmcnt(0)
	v_mad_u64_u32 v[2:3], s[16:17], v2, 24, v[6:7]
	v_mov_b32_e32 v6, v3
	v_mad_u64_u32 v[6:7], s[16:17], v1, 24, v[6:7]
	v_mov_b32_e32 v3, v6
	global_load_dwordx2 v[8:9], v[2:3], off glc
	s_waitcnt vmcnt(0)
	global_atomic_cmpswap_x2 v[8:9], v0, v[8:11], s[6:7] offset:24 glc
	s_waitcnt vmcnt(0)
	buffer_invl2
	buffer_wbinvl1_vol
	v_cmp_eq_u64_e32 vcc, v[8:9], v[10:11]
	s_or_b64 s[14:15], vcc, s[14:15]
	s_andn2_b64 exec, exec, s[14:15]
	s_cbranch_execnz .LBB3_114
; %bb.115:
	s_or_b64 exec, exec, s[14:15]
.LBB3_116:
	s_or_b64 exec, exec, s[12:13]
.LBB3_117:
	s_or_b64 exec, exec, s[10:11]
	v_mov_b32_e32 v6, 0
	global_load_dwordx2 v[10:11], v6, s[6:7] offset:40
	global_load_dwordx4 v[0:3], v6, s[6:7]
	v_readfirstlane_b32 s10, v8
	v_readfirstlane_b32 s11, v9
	s_mov_b64 s[12:13], exec
	s_waitcnt vmcnt(1)
	v_readfirstlane_b32 s14, v10
	v_readfirstlane_b32 s15, v11
	s_and_b64 s[14:15], s[10:11], s[14:15]
	s_mul_i32 s16, s15, 24
	s_mul_hi_u32 s17, s14, 24
	s_mul_i32 s18, s14, 24
	s_add_i32 s16, s17, s16
	v_mov_b32_e32 v7, s16
	s_waitcnt vmcnt(0)
	v_add_co_u32_e32 v8, vcc, s18, v0
	v_addc_co_u32_e32 v9, vcc, v1, v7, vcc
	s_and_saveexec_b64 s[16:17], s[4:5]
	s_cbranch_execz .LBB3_119
; %bb.118:
	v_pk_mov_b32 v[10:11], s[12:13], s[12:13] op_sel:[0,1]
	v_mov_b32_e32 v12, 2
	v_mov_b32_e32 v13, 1
	global_store_dwordx4 v[8:9], v[10:13], off offset:8
.LBB3_119:
	s_or_b64 exec, exec, s[16:17]
	s_lshl_b64 s[12:13], s[14:15], 12
	v_mov_b32_e32 v7, s13
	v_add_co_u32_e32 v2, vcc, s12, v2
	s_movk_i32 s12, 0xff1f
	v_addc_co_u32_e32 v3, vcc, v3, v7, vcc
	v_and_or_b32 v4, v4, s12, 32
	s_mov_b32 s12, 0
	v_add_co_u32_e32 v10, vcc, v2, v34
	v_mov_b32_e32 v7, v6
	v_readfirstlane_b32 s16, v2
	v_readfirstlane_b32 s17, v3
	s_mov_b32 s13, s12
	v_addc_co_u32_e32 v11, vcc, 0, v3, vcc
	s_mov_b32 s14, s12
	s_mov_b32 s15, s12
	s_nop 0
	global_store_dwordx4 v34, v[4:7], s[16:17]
	v_pk_mov_b32 v[2:3], s[12:13], s[12:13] op_sel:[0,1]
	v_pk_mov_b32 v[4:5], s[14:15], s[14:15] op_sel:[0,1]
	global_store_dwordx4 v34, v[2:5], s[16:17] offset:16
	global_store_dwordx4 v34, v[2:5], s[16:17] offset:32
	;; [unrolled: 1-line block ×3, first 2 shown]
	s_and_saveexec_b64 s[12:13], s[4:5]
	s_cbranch_execz .LBB3_127
; %bb.120:
	v_mov_b32_e32 v6, 0
	global_load_dwordx2 v[14:15], v6, s[6:7] offset:32 glc
	global_load_dwordx2 v[2:3], v6, s[6:7] offset:40
	v_mov_b32_e32 v12, s10
	v_mov_b32_e32 v13, s11
	s_waitcnt vmcnt(0)
	v_readfirstlane_b32 s14, v2
	v_readfirstlane_b32 s15, v3
	s_and_b64 s[14:15], s[14:15], s[10:11]
	s_mul_i32 s15, s15, 24
	s_mul_hi_u32 s16, s14, 24
	s_mul_i32 s14, s14, 24
	s_add_i32 s15, s16, s15
	v_mov_b32_e32 v2, s15
	v_add_co_u32_e32 v4, vcc, s14, v0
	v_addc_co_u32_e32 v5, vcc, v1, v2, vcc
	global_store_dwordx2 v[4:5], v[14:15], off
	buffer_wbl2
	s_waitcnt vmcnt(0)
	global_atomic_cmpswap_x2 v[2:3], v6, v[12:15], s[6:7] offset:32 glc
	s_waitcnt vmcnt(0)
	v_cmp_ne_u64_e32 vcc, v[2:3], v[14:15]
	s_and_saveexec_b64 s[14:15], vcc
	s_cbranch_execz .LBB3_123
; %bb.121:
	s_mov_b64 s[16:17], 0
.LBB3_122:                              ; =>This Inner Loop Header: Depth=1
	s_sleep 1
	global_store_dwordx2 v[4:5], v[2:3], off
	v_mov_b32_e32 v0, s10
	v_mov_b32_e32 v1, s11
	buffer_wbl2
	s_waitcnt vmcnt(0)
	global_atomic_cmpswap_x2 v[0:1], v6, v[0:3], s[6:7] offset:32 glc
	s_waitcnt vmcnt(0)
	v_cmp_eq_u64_e32 vcc, v[0:1], v[2:3]
	s_or_b64 s[16:17], vcc, s[16:17]
	v_pk_mov_b32 v[2:3], v[0:1], v[0:1] op_sel:[0,1]
	s_andn2_b64 exec, exec, s[16:17]
	s_cbranch_execnz .LBB3_122
.LBB3_123:
	s_or_b64 exec, exec, s[14:15]
	v_mov_b32_e32 v3, 0
	global_load_dwordx2 v[0:1], v3, s[6:7] offset:16
	s_mov_b64 s[14:15], exec
	v_mbcnt_lo_u32_b32 v2, s14, 0
	v_mbcnt_hi_u32_b32 v2, s15, v2
	v_cmp_eq_u32_e32 vcc, 0, v2
	s_and_saveexec_b64 s[16:17], vcc
	s_cbranch_execz .LBB3_125
; %bb.124:
	s_bcnt1_i32_b64 s14, s[14:15]
	v_mov_b32_e32 v2, s14
	buffer_wbl2
	s_waitcnt vmcnt(0)
	global_atomic_add_x2 v[0:1], v[2:3], off offset:8
.LBB3_125:
	s_or_b64 exec, exec, s[16:17]
	s_waitcnt vmcnt(0)
	global_load_dwordx2 v[2:3], v[0:1], off offset:16
	s_waitcnt vmcnt(0)
	v_cmp_eq_u64_e32 vcc, 0, v[2:3]
	s_cbranch_vccnz .LBB3_127
; %bb.126:
	global_load_dword v0, v[0:1], off offset:24
	v_mov_b32_e32 v1, 0
	buffer_wbl2
	s_waitcnt vmcnt(0)
	global_store_dwordx2 v[2:3], v[0:1], off
	v_and_b32_e32 v0, 0xffffff, v0
	v_readfirstlane_b32 m0, v0
	s_sendmsg sendmsg(MSG_INTERRUPT)
.LBB3_127:
	s_or_b64 exec, exec, s[12:13]
	s_branch .LBB3_131
.LBB3_128:                              ;   in Loop: Header=BB3_131 Depth=1
	s_or_b64 exec, exec, s[12:13]
	v_readfirstlane_b32 s12, v0
	s_cmp_eq_u32 s12, 0
	s_cbranch_scc1 .LBB3_130
; %bb.129:                              ;   in Loop: Header=BB3_131 Depth=1
	s_sleep 1
	s_cbranch_execnz .LBB3_131
	s_branch .LBB3_133
.LBB3_130:
	s_branch .LBB3_133
.LBB3_131:                              ; =>This Inner Loop Header: Depth=1
	v_mov_b32_e32 v0, 1
	s_and_saveexec_b64 s[12:13], s[4:5]
	s_cbranch_execz .LBB3_128
; %bb.132:                              ;   in Loop: Header=BB3_131 Depth=1
	global_load_dword v0, v[8:9], off offset:20 glc
	s_waitcnt vmcnt(0)
	buffer_invl2
	buffer_wbinvl1_vol
	v_and_b32_e32 v0, 1, v0
	s_branch .LBB3_128
.LBB3_133:
	global_load_dwordx2 v[0:1], v[10:11], off
	s_and_saveexec_b64 s[12:13], s[4:5]
	s_cbranch_execz .LBB3_136
; %bb.134:
	v_mov_b32_e32 v8, 0
	global_load_dwordx2 v[6:7], v8, s[6:7] offset:40
	global_load_dwordx2 v[10:11], v8, s[6:7] offset:24 glc
	global_load_dwordx2 v[12:13], v8, s[6:7]
	v_mov_b32_e32 v3, s11
	s_mov_b64 s[4:5], 0
	s_waitcnt vmcnt(2)
	v_add_co_u32_e32 v5, vcc, 1, v6
	v_addc_co_u32_e32 v9, vcc, 0, v7, vcc
	v_add_co_u32_e32 v2, vcc, s10, v5
	v_addc_co_u32_e32 v3, vcc, v9, v3, vcc
	v_cmp_eq_u64_e32 vcc, 0, v[2:3]
	v_cndmask_b32_e32 v3, v3, v9, vcc
	v_cndmask_b32_e32 v2, v2, v5, vcc
	v_and_b32_e32 v5, v3, v7
	v_and_b32_e32 v6, v2, v6
	v_mul_lo_u32 v5, v5, 24
	v_mul_hi_u32 v7, v6, 24
	v_mul_lo_u32 v6, v6, 24
	v_add_u32_e32 v5, v7, v5
	s_waitcnt vmcnt(0)
	v_add_co_u32_e32 v6, vcc, v12, v6
	v_addc_co_u32_e32 v7, vcc, v13, v5, vcc
	v_mov_b32_e32 v4, v10
	global_store_dwordx2 v[6:7], v[10:11], off
	v_mov_b32_e32 v5, v11
	buffer_wbl2
	s_waitcnt vmcnt(0)
	global_atomic_cmpswap_x2 v[4:5], v8, v[2:5], s[6:7] offset:24 glc
	s_waitcnt vmcnt(0)
	v_cmp_ne_u64_e32 vcc, v[4:5], v[10:11]
	s_and_b64 exec, exec, vcc
	s_cbranch_execz .LBB3_136
.LBB3_135:                              ; =>This Inner Loop Header: Depth=1
	s_sleep 1
	global_store_dwordx2 v[6:7], v[4:5], off
	buffer_wbl2
	s_waitcnt vmcnt(0)
	global_atomic_cmpswap_x2 v[10:11], v8, v[2:5], s[6:7] offset:24 glc
	s_waitcnt vmcnt(0)
	v_cmp_eq_u64_e32 vcc, v[10:11], v[4:5]
	s_or_b64 s[4:5], vcc, s[4:5]
	v_pk_mov_b32 v[4:5], v[10:11], v[10:11] op_sel:[0,1]
	s_andn2_b64 exec, exec, s[4:5]
	s_cbranch_execnz .LBB3_135
.LBB3_136:
	s_or_b64 exec, exec, s[12:13]
.LBB3_137:
	s_getpc_b64 s[10:11]
	s_add_u32 s10, s10, .str.1@rel32@lo+4
	s_addc_u32 s11, s11, .str.1@rel32@hi+12
	s_cmp_lg_u64 s[10:11], 0
	s_cselect_b64 s[4:5], -1, 0
	s_cmp_eq_u64 s[10:11], 0
	s_mov_b64 s[10:11], 0
	s_cbranch_scc1 .LBB3_141
; %bb.138:
	s_waitcnt vmcnt(0)
	v_mov_b32_e32 v2, 0
	s_getpc_b64 s[10:11]
	s_add_u32 s10, s10, .str.1@rel32@lo+3
	s_addc_u32 s11, s11, .str.1@rel32@hi+11
.LBB3_139:                              ; =>This Inner Loop Header: Depth=1
	global_load_ubyte v3, v2, s[10:11] offset:1
	s_add_u32 s12, s10, 1
	s_addc_u32 s13, s11, 0
	s_mov_b64 s[10:11], s[12:13]
	s_waitcnt vmcnt(0)
	v_cmp_ne_u16_e32 vcc, 0, v3
	s_cbranch_vccnz .LBB3_139
; %bb.140:
	s_getpc_b64 s[10:11]
	s_add_u32 s10, s10, .str.1@rel32@lo+4
	s_addc_u32 s11, s11, .str.1@rel32@hi+12
	s_sub_u32 s10, s12, s10
	s_subb_u32 s11, s13, s11
	s_add_u32 s10, s10, 1
	s_addc_u32 s11, s11, 0
.LBB3_141:
	s_and_b64 vcc, exec, s[4:5]
	s_cbranch_vccz .LBB3_225
; %bb.142:
	s_waitcnt vmcnt(0)
	v_and_b32_e32 v28, 2, v0
	v_mov_b32_e32 v31, 0
	v_and_b32_e32 v2, -3, v0
	v_mov_b32_e32 v3, v1
	v_mov_b32_e32 v6, 2
	;; [unrolled: 1-line block ×3, first 2 shown]
	s_getpc_b64 s[12:13]
	s_add_u32 s12, s12, .str.1@rel32@lo+4
	s_addc_u32 s13, s13, .str.1@rel32@hi+12
	s_branch .LBB3_144
.LBB3_143:                              ;   in Loop: Header=BB3_144 Depth=1
	s_or_b64 exec, exec, s[18:19]
	s_sub_u32 s10, s10, s14
	s_subb_u32 s11, s11, s15
	s_add_u32 s12, s12, s14
	s_addc_u32 s13, s13, s15
	s_cmp_lg_u64 s[10:11], 0
	s_cbranch_scc0 .LBB3_226
.LBB3_144:                              ; =>This Loop Header: Depth=1
                                        ;     Child Loop BB3_147 Depth 2
                                        ;     Child Loop BB3_154 Depth 2
	;; [unrolled: 1-line block ×11, first 2 shown]
	v_cmp_lt_u64_e64 s[4:5], s[10:11], 56
	s_and_b64 s[4:5], s[4:5], exec
	v_cmp_gt_u64_e64 s[4:5], s[10:11], 7
	s_cselect_b32 s15, s11, 0
	s_cselect_b32 s14, s10, 56
	s_and_b64 vcc, exec, s[4:5]
	s_cbranch_vccnz .LBB3_149
; %bb.145:                              ;   in Loop: Header=BB3_144 Depth=1
	s_mov_b64 s[4:5], 0
	s_cmp_eq_u64 s[10:11], 0
	v_pk_mov_b32 v[10:11], 0, 0
	s_cbranch_scc1 .LBB3_148
; %bb.146:                              ;   in Loop: Header=BB3_144 Depth=1
	s_lshl_b64 s[16:17], s[14:15], 3
	s_mov_b64 s[18:19], 0
	v_pk_mov_b32 v[10:11], 0, 0
	s_mov_b64 s[20:21], s[12:13]
.LBB3_147:                              ;   Parent Loop BB3_144 Depth=1
                                        ; =>  This Inner Loop Header: Depth=2
	global_load_ubyte v4, v31, s[20:21]
	s_waitcnt vmcnt(0)
	v_and_b32_e32 v30, 0xffff, v4
	v_lshlrev_b64 v[4:5], s18, v[30:31]
	s_add_u32 s18, s18, 8
	s_addc_u32 s19, s19, 0
	s_add_u32 s20, s20, 1
	s_addc_u32 s21, s21, 0
	v_or_b32_e32 v10, v4, v10
	s_cmp_lg_u32 s16, s18
	v_or_b32_e32 v11, v5, v11
	s_cbranch_scc1 .LBB3_147
.LBB3_148:                              ;   in Loop: Header=BB3_144 Depth=1
	s_mov_b32 s20, 0
	s_andn2_b64 vcc, exec, s[4:5]
	s_mov_b64 s[4:5], s[12:13]
	s_cbranch_vccz .LBB3_150
	s_branch .LBB3_151
.LBB3_149:                              ;   in Loop: Header=BB3_144 Depth=1
                                        ; implicit-def: $vgpr10_vgpr11
                                        ; implicit-def: $sgpr20
	s_mov_b64 s[4:5], s[12:13]
.LBB3_150:                              ;   in Loop: Header=BB3_144 Depth=1
	global_load_dwordx2 v[10:11], v31, s[12:13]
	s_add_i32 s20, s14, -8
	s_add_u32 s4, s12, 8
	s_addc_u32 s5, s13, 0
.LBB3_151:                              ;   in Loop: Header=BB3_144 Depth=1
	s_cmp_gt_u32 s20, 7
	s_cbranch_scc1 .LBB3_155
; %bb.152:                              ;   in Loop: Header=BB3_144 Depth=1
	s_cmp_eq_u32 s20, 0
	s_cbranch_scc1 .LBB3_156
; %bb.153:                              ;   in Loop: Header=BB3_144 Depth=1
	s_mov_b64 s[16:17], 0
	v_pk_mov_b32 v[12:13], 0, 0
	s_mov_b64 s[18:19], 0
.LBB3_154:                              ;   Parent Loop BB3_144 Depth=1
                                        ; =>  This Inner Loop Header: Depth=2
	s_add_u32 s22, s4, s18
	s_addc_u32 s23, s5, s19
	global_load_ubyte v4, v31, s[22:23]
	s_add_u32 s18, s18, 1
	s_addc_u32 s19, s19, 0
	s_waitcnt vmcnt(0)
	v_and_b32_e32 v30, 0xffff, v4
	v_lshlrev_b64 v[4:5], s16, v[30:31]
	s_add_u32 s16, s16, 8
	s_addc_u32 s17, s17, 0
	v_or_b32_e32 v12, v4, v12
	s_cmp_lg_u32 s20, s18
	v_or_b32_e32 v13, v5, v13
	s_cbranch_scc1 .LBB3_154
	s_branch .LBB3_157
.LBB3_155:                              ;   in Loop: Header=BB3_144 Depth=1
                                        ; implicit-def: $vgpr12_vgpr13
                                        ; implicit-def: $sgpr21
	s_branch .LBB3_158
.LBB3_156:                              ;   in Loop: Header=BB3_144 Depth=1
	v_pk_mov_b32 v[12:13], 0, 0
.LBB3_157:                              ;   in Loop: Header=BB3_144 Depth=1
	s_mov_b32 s21, 0
	s_cbranch_execnz .LBB3_159
.LBB3_158:                              ;   in Loop: Header=BB3_144 Depth=1
	global_load_dwordx2 v[12:13], v31, s[4:5]
	s_add_i32 s21, s20, -8
	s_add_u32 s4, s4, 8
	s_addc_u32 s5, s5, 0
.LBB3_159:                              ;   in Loop: Header=BB3_144 Depth=1
	s_cmp_gt_u32 s21, 7
	s_cbranch_scc1 .LBB3_163
; %bb.160:                              ;   in Loop: Header=BB3_144 Depth=1
	s_cmp_eq_u32 s21, 0
	s_cbranch_scc1 .LBB3_164
; %bb.161:                              ;   in Loop: Header=BB3_144 Depth=1
	s_mov_b64 s[16:17], 0
	v_pk_mov_b32 v[14:15], 0, 0
	s_mov_b64 s[18:19], 0
.LBB3_162:                              ;   Parent Loop BB3_144 Depth=1
                                        ; =>  This Inner Loop Header: Depth=2
	s_add_u32 s22, s4, s18
	s_addc_u32 s23, s5, s19
	global_load_ubyte v4, v31, s[22:23]
	s_add_u32 s18, s18, 1
	s_addc_u32 s19, s19, 0
	s_waitcnt vmcnt(0)
	v_and_b32_e32 v30, 0xffff, v4
	v_lshlrev_b64 v[4:5], s16, v[30:31]
	s_add_u32 s16, s16, 8
	s_addc_u32 s17, s17, 0
	v_or_b32_e32 v14, v4, v14
	s_cmp_lg_u32 s21, s18
	v_or_b32_e32 v15, v5, v15
	s_cbranch_scc1 .LBB3_162
	s_branch .LBB3_165
.LBB3_163:                              ;   in Loop: Header=BB3_144 Depth=1
                                        ; implicit-def: $sgpr20
	s_branch .LBB3_166
.LBB3_164:                              ;   in Loop: Header=BB3_144 Depth=1
	v_pk_mov_b32 v[14:15], 0, 0
.LBB3_165:                              ;   in Loop: Header=BB3_144 Depth=1
	s_mov_b32 s20, 0
	s_cbranch_execnz .LBB3_167
.LBB3_166:                              ;   in Loop: Header=BB3_144 Depth=1
	global_load_dwordx2 v[14:15], v31, s[4:5]
	s_add_i32 s20, s21, -8
	s_add_u32 s4, s4, 8
	s_addc_u32 s5, s5, 0
.LBB3_167:                              ;   in Loop: Header=BB3_144 Depth=1
	s_cmp_gt_u32 s20, 7
	s_cbranch_scc1 .LBB3_171
; %bb.168:                              ;   in Loop: Header=BB3_144 Depth=1
	s_cmp_eq_u32 s20, 0
	s_cbranch_scc1 .LBB3_172
; %bb.169:                              ;   in Loop: Header=BB3_144 Depth=1
	s_mov_b64 s[16:17], 0
	v_pk_mov_b32 v[16:17], 0, 0
	s_mov_b64 s[18:19], 0
.LBB3_170:                              ;   Parent Loop BB3_144 Depth=1
                                        ; =>  This Inner Loop Header: Depth=2
	s_add_u32 s22, s4, s18
	s_addc_u32 s23, s5, s19
	global_load_ubyte v4, v31, s[22:23]
	s_add_u32 s18, s18, 1
	s_addc_u32 s19, s19, 0
	s_waitcnt vmcnt(0)
	v_and_b32_e32 v30, 0xffff, v4
	v_lshlrev_b64 v[4:5], s16, v[30:31]
	s_add_u32 s16, s16, 8
	s_addc_u32 s17, s17, 0
	v_or_b32_e32 v16, v4, v16
	s_cmp_lg_u32 s20, s18
	v_or_b32_e32 v17, v5, v17
	s_cbranch_scc1 .LBB3_170
	s_branch .LBB3_173
.LBB3_171:                              ;   in Loop: Header=BB3_144 Depth=1
                                        ; implicit-def: $vgpr16_vgpr17
                                        ; implicit-def: $sgpr21
	s_branch .LBB3_174
.LBB3_172:                              ;   in Loop: Header=BB3_144 Depth=1
	v_pk_mov_b32 v[16:17], 0, 0
.LBB3_173:                              ;   in Loop: Header=BB3_144 Depth=1
	s_mov_b32 s21, 0
	s_cbranch_execnz .LBB3_175
.LBB3_174:                              ;   in Loop: Header=BB3_144 Depth=1
	global_load_dwordx2 v[16:17], v31, s[4:5]
	s_add_i32 s21, s20, -8
	s_add_u32 s4, s4, 8
	s_addc_u32 s5, s5, 0
.LBB3_175:                              ;   in Loop: Header=BB3_144 Depth=1
	s_cmp_gt_u32 s21, 7
	s_cbranch_scc1 .LBB3_179
; %bb.176:                              ;   in Loop: Header=BB3_144 Depth=1
	s_cmp_eq_u32 s21, 0
	s_cbranch_scc1 .LBB3_180
; %bb.177:                              ;   in Loop: Header=BB3_144 Depth=1
	s_mov_b64 s[16:17], 0
	v_pk_mov_b32 v[18:19], 0, 0
	s_mov_b64 s[18:19], 0
.LBB3_178:                              ;   Parent Loop BB3_144 Depth=1
                                        ; =>  This Inner Loop Header: Depth=2
	s_add_u32 s22, s4, s18
	s_addc_u32 s23, s5, s19
	global_load_ubyte v4, v31, s[22:23]
	s_add_u32 s18, s18, 1
	s_addc_u32 s19, s19, 0
	s_waitcnt vmcnt(0)
	v_and_b32_e32 v30, 0xffff, v4
	v_lshlrev_b64 v[4:5], s16, v[30:31]
	s_add_u32 s16, s16, 8
	s_addc_u32 s17, s17, 0
	v_or_b32_e32 v18, v4, v18
	s_cmp_lg_u32 s21, s18
	v_or_b32_e32 v19, v5, v19
	s_cbranch_scc1 .LBB3_178
	s_branch .LBB3_181
.LBB3_179:                              ;   in Loop: Header=BB3_144 Depth=1
                                        ; implicit-def: $sgpr20
	s_branch .LBB3_182
.LBB3_180:                              ;   in Loop: Header=BB3_144 Depth=1
	v_pk_mov_b32 v[18:19], 0, 0
.LBB3_181:                              ;   in Loop: Header=BB3_144 Depth=1
	s_mov_b32 s20, 0
	s_cbranch_execnz .LBB3_183
.LBB3_182:                              ;   in Loop: Header=BB3_144 Depth=1
	global_load_dwordx2 v[18:19], v31, s[4:5]
	s_add_i32 s20, s21, -8
	s_add_u32 s4, s4, 8
	s_addc_u32 s5, s5, 0
.LBB3_183:                              ;   in Loop: Header=BB3_144 Depth=1
	s_cmp_gt_u32 s20, 7
	s_cbranch_scc1 .LBB3_187
; %bb.184:                              ;   in Loop: Header=BB3_144 Depth=1
	s_cmp_eq_u32 s20, 0
	s_cbranch_scc1 .LBB3_188
; %bb.185:                              ;   in Loop: Header=BB3_144 Depth=1
	s_mov_b64 s[16:17], 0
	v_pk_mov_b32 v[20:21], 0, 0
	s_mov_b64 s[18:19], 0
.LBB3_186:                              ;   Parent Loop BB3_144 Depth=1
                                        ; =>  This Inner Loop Header: Depth=2
	s_add_u32 s22, s4, s18
	s_addc_u32 s23, s5, s19
	global_load_ubyte v4, v31, s[22:23]
	s_add_u32 s18, s18, 1
	s_addc_u32 s19, s19, 0
	s_waitcnt vmcnt(0)
	v_and_b32_e32 v30, 0xffff, v4
	v_lshlrev_b64 v[4:5], s16, v[30:31]
	s_add_u32 s16, s16, 8
	s_addc_u32 s17, s17, 0
	v_or_b32_e32 v20, v4, v20
	s_cmp_lg_u32 s20, s18
	v_or_b32_e32 v21, v5, v21
	s_cbranch_scc1 .LBB3_186
	s_branch .LBB3_189
.LBB3_187:                              ;   in Loop: Header=BB3_144 Depth=1
                                        ; implicit-def: $vgpr20_vgpr21
                                        ; implicit-def: $sgpr21
	s_branch .LBB3_190
.LBB3_188:                              ;   in Loop: Header=BB3_144 Depth=1
	v_pk_mov_b32 v[20:21], 0, 0
.LBB3_189:                              ;   in Loop: Header=BB3_144 Depth=1
	s_mov_b32 s21, 0
	s_cbranch_execnz .LBB3_191
.LBB3_190:                              ;   in Loop: Header=BB3_144 Depth=1
	global_load_dwordx2 v[20:21], v31, s[4:5]
	s_add_i32 s21, s20, -8
	s_add_u32 s4, s4, 8
	s_addc_u32 s5, s5, 0
.LBB3_191:                              ;   in Loop: Header=BB3_144 Depth=1
	s_cmp_gt_u32 s21, 7
	s_cbranch_scc1 .LBB3_195
; %bb.192:                              ;   in Loop: Header=BB3_144 Depth=1
	s_cmp_eq_u32 s21, 0
	s_cbranch_scc1 .LBB3_196
; %bb.193:                              ;   in Loop: Header=BB3_144 Depth=1
	s_mov_b64 s[16:17], 0
	v_pk_mov_b32 v[22:23], 0, 0
	s_mov_b64 s[18:19], s[4:5]
.LBB3_194:                              ;   Parent Loop BB3_144 Depth=1
                                        ; =>  This Inner Loop Header: Depth=2
	global_load_ubyte v4, v31, s[18:19]
	s_add_i32 s21, s21, -1
	s_waitcnt vmcnt(0)
	v_and_b32_e32 v30, 0xffff, v4
	v_lshlrev_b64 v[4:5], s16, v[30:31]
	s_add_u32 s16, s16, 8
	s_addc_u32 s17, s17, 0
	s_add_u32 s18, s18, 1
	s_addc_u32 s19, s19, 0
	v_or_b32_e32 v22, v4, v22
	s_cmp_lg_u32 s21, 0
	v_or_b32_e32 v23, v5, v23
	s_cbranch_scc1 .LBB3_194
	s_branch .LBB3_197
.LBB3_195:                              ;   in Loop: Header=BB3_144 Depth=1
	s_branch .LBB3_198
.LBB3_196:                              ;   in Loop: Header=BB3_144 Depth=1
	v_pk_mov_b32 v[22:23], 0, 0
.LBB3_197:                              ;   in Loop: Header=BB3_144 Depth=1
	s_cbranch_execnz .LBB3_199
.LBB3_198:                              ;   in Loop: Header=BB3_144 Depth=1
	global_load_dwordx2 v[22:23], v31, s[4:5]
.LBB3_199:                              ;   in Loop: Header=BB3_144 Depth=1
	v_readfirstlane_b32 s4, v35
	v_cmp_eq_u32_e64 s[4:5], s4, v35
	s_waitcnt vmcnt(0)
	v_pk_mov_b32 v[4:5], 0, 0
	s_and_saveexec_b64 s[16:17], s[4:5]
	s_cbranch_execz .LBB3_205
; %bb.200:                              ;   in Loop: Header=BB3_144 Depth=1
	global_load_dwordx2 v[26:27], v31, s[6:7] offset:24 glc
	s_waitcnt vmcnt(0)
	buffer_invl2
	buffer_wbinvl1_vol
	global_load_dwordx2 v[4:5], v31, s[6:7] offset:40
	global_load_dwordx2 v[8:9], v31, s[6:7]
	s_waitcnt vmcnt(1)
	v_and_b32_e32 v4, v4, v26
	v_and_b32_e32 v5, v5, v27
	v_mul_lo_u32 v5, v5, 24
	v_mul_hi_u32 v24, v4, 24
	v_mul_lo_u32 v4, v4, 24
	v_add_u32_e32 v5, v24, v5
	s_waitcnt vmcnt(0)
	v_add_co_u32_e32 v4, vcc, v8, v4
	v_addc_co_u32_e32 v5, vcc, v9, v5, vcc
	global_load_dwordx2 v[24:25], v[4:5], off glc
	s_waitcnt vmcnt(0)
	global_atomic_cmpswap_x2 v[4:5], v31, v[24:27], s[6:7] offset:24 glc
	s_waitcnt vmcnt(0)
	buffer_invl2
	buffer_wbinvl1_vol
	v_cmp_ne_u64_e32 vcc, v[4:5], v[26:27]
	s_and_saveexec_b64 s[18:19], vcc
	s_cbranch_execz .LBB3_204
; %bb.201:                              ;   in Loop: Header=BB3_144 Depth=1
	s_mov_b64 s[20:21], 0
.LBB3_202:                              ;   Parent Loop BB3_144 Depth=1
                                        ; =>  This Inner Loop Header: Depth=2
	s_sleep 1
	global_load_dwordx2 v[8:9], v31, s[6:7] offset:40
	global_load_dwordx2 v[24:25], v31, s[6:7]
	v_pk_mov_b32 v[26:27], v[4:5], v[4:5] op_sel:[0,1]
	s_waitcnt vmcnt(1)
	v_and_b32_e32 v4, v8, v26
	s_waitcnt vmcnt(0)
	v_mad_u64_u32 v[4:5], s[22:23], v4, 24, v[24:25]
	v_and_b32_e32 v9, v9, v27
	v_mov_b32_e32 v8, v5
	v_mad_u64_u32 v[8:9], s[22:23], v9, 24, v[8:9]
	v_mov_b32_e32 v5, v8
	global_load_dwordx2 v[24:25], v[4:5], off glc
	s_waitcnt vmcnt(0)
	global_atomic_cmpswap_x2 v[4:5], v31, v[24:27], s[6:7] offset:24 glc
	s_waitcnt vmcnt(0)
	buffer_invl2
	buffer_wbinvl1_vol
	v_cmp_eq_u64_e32 vcc, v[4:5], v[26:27]
	s_or_b64 s[20:21], vcc, s[20:21]
	s_andn2_b64 exec, exec, s[20:21]
	s_cbranch_execnz .LBB3_202
; %bb.203:                              ;   in Loop: Header=BB3_144 Depth=1
	s_or_b64 exec, exec, s[20:21]
.LBB3_204:                              ;   in Loop: Header=BB3_144 Depth=1
	s_or_b64 exec, exec, s[18:19]
.LBB3_205:                              ;   in Loop: Header=BB3_144 Depth=1
	s_or_b64 exec, exec, s[16:17]
	global_load_dwordx2 v[8:9], v31, s[6:7] offset:40
	global_load_dwordx4 v[24:27], v31, s[6:7]
	v_readfirstlane_b32 s16, v4
	v_readfirstlane_b32 s17, v5
	s_mov_b64 s[18:19], exec
	s_waitcnt vmcnt(1)
	v_readfirstlane_b32 s20, v8
	v_readfirstlane_b32 s21, v9
	s_and_b64 s[20:21], s[16:17], s[20:21]
	s_mul_i32 s22, s21, 24
	s_mul_hi_u32 s23, s20, 24
	s_mul_i32 s24, s20, 24
	s_add_i32 s22, s23, s22
	v_mov_b32_e32 v4, s22
	s_waitcnt vmcnt(0)
	v_add_co_u32_e32 v32, vcc, s24, v24
	v_addc_co_u32_e32 v33, vcc, v25, v4, vcc
	s_and_saveexec_b64 s[22:23], s[4:5]
	s_cbranch_execz .LBB3_207
; %bb.206:                              ;   in Loop: Header=BB3_144 Depth=1
	v_pk_mov_b32 v[4:5], s[18:19], s[18:19] op_sel:[0,1]
	global_store_dwordx4 v[32:33], v[4:7], off offset:8
.LBB3_207:                              ;   in Loop: Header=BB3_144 Depth=1
	s_or_b64 exec, exec, s[22:23]
	s_lshl_b64 s[18:19], s[20:21], 12
	v_mov_b32_e32 v4, s19
	v_add_co_u32_e32 v26, vcc, s18, v26
	v_addc_co_u32_e32 v27, vcc, v27, v4, vcc
	v_or_b32_e32 v5, v2, v28
	v_cmp_gt_u64_e64 vcc, s[10:11], 56
	s_lshl_b32 s18, s14, 2
	v_cndmask_b32_e32 v2, v5, v2, vcc
	s_add_i32 s18, s18, 28
	v_or_b32_e32 v4, 0, v3
	s_and_b32 s18, s18, 0x1e0
	v_and_b32_e32 v2, 0xffffff1f, v2
	v_cndmask_b32_e32 v9, v4, v3, vcc
	v_or_b32_e32 v8, s18, v2
	v_readfirstlane_b32 s18, v26
	v_readfirstlane_b32 s19, v27
	s_nop 4
	global_store_dwordx4 v34, v[8:11], s[18:19]
	global_store_dwordx4 v34, v[12:15], s[18:19] offset:16
	global_store_dwordx4 v34, v[16:19], s[18:19] offset:32
	;; [unrolled: 1-line block ×3, first 2 shown]
	s_and_saveexec_b64 s[18:19], s[4:5]
	s_cbranch_execz .LBB3_215
; %bb.208:                              ;   in Loop: Header=BB3_144 Depth=1
	global_load_dwordx2 v[12:13], v31, s[6:7] offset:32 glc
	global_load_dwordx2 v[2:3], v31, s[6:7] offset:40
	v_mov_b32_e32 v10, s16
	v_mov_b32_e32 v11, s17
	s_waitcnt vmcnt(0)
	v_readfirstlane_b32 s20, v2
	v_readfirstlane_b32 s21, v3
	s_and_b64 s[20:21], s[20:21], s[16:17]
	s_mul_i32 s21, s21, 24
	s_mul_hi_u32 s22, s20, 24
	s_mul_i32 s20, s20, 24
	s_add_i32 s21, s22, s21
	v_mov_b32_e32 v2, s21
	v_add_co_u32_e32 v8, vcc, s20, v24
	v_addc_co_u32_e32 v9, vcc, v25, v2, vcc
	global_store_dwordx2 v[8:9], v[12:13], off
	buffer_wbl2
	s_waitcnt vmcnt(0)
	global_atomic_cmpswap_x2 v[4:5], v31, v[10:13], s[6:7] offset:32 glc
	s_waitcnt vmcnt(0)
	v_cmp_ne_u64_e32 vcc, v[4:5], v[12:13]
	s_and_saveexec_b64 s[20:21], vcc
	s_cbranch_execz .LBB3_211
; %bb.209:                              ;   in Loop: Header=BB3_144 Depth=1
	s_mov_b64 s[22:23], 0
.LBB3_210:                              ;   Parent Loop BB3_144 Depth=1
                                        ; =>  This Inner Loop Header: Depth=2
	s_sleep 1
	global_store_dwordx2 v[8:9], v[4:5], off
	v_mov_b32_e32 v2, s16
	v_mov_b32_e32 v3, s17
	buffer_wbl2
	s_waitcnt vmcnt(0)
	global_atomic_cmpswap_x2 v[2:3], v31, v[2:5], s[6:7] offset:32 glc
	s_waitcnt vmcnt(0)
	v_cmp_eq_u64_e32 vcc, v[2:3], v[4:5]
	s_or_b64 s[22:23], vcc, s[22:23]
	v_pk_mov_b32 v[4:5], v[2:3], v[2:3] op_sel:[0,1]
	s_andn2_b64 exec, exec, s[22:23]
	s_cbranch_execnz .LBB3_210
.LBB3_211:                              ;   in Loop: Header=BB3_144 Depth=1
	s_or_b64 exec, exec, s[20:21]
	global_load_dwordx2 v[2:3], v31, s[6:7] offset:16
	s_mov_b64 s[22:23], exec
	v_mbcnt_lo_u32_b32 v4, s22, 0
	v_mbcnt_hi_u32_b32 v4, s23, v4
	v_cmp_eq_u32_e32 vcc, 0, v4
	s_and_saveexec_b64 s[20:21], vcc
	s_cbranch_execz .LBB3_213
; %bb.212:                              ;   in Loop: Header=BB3_144 Depth=1
	s_bcnt1_i32_b64 s22, s[22:23]
	v_mov_b32_e32 v30, s22
	buffer_wbl2
	s_waitcnt vmcnt(0)
	global_atomic_add_x2 v[2:3], v[30:31], off offset:8
.LBB3_213:                              ;   in Loop: Header=BB3_144 Depth=1
	s_or_b64 exec, exec, s[20:21]
	s_waitcnt vmcnt(0)
	global_load_dwordx2 v[4:5], v[2:3], off offset:16
	s_waitcnt vmcnt(0)
	v_cmp_eq_u64_e32 vcc, 0, v[4:5]
	s_cbranch_vccnz .LBB3_215
; %bb.214:                              ;   in Loop: Header=BB3_144 Depth=1
	global_load_dword v30, v[2:3], off offset:24
	s_waitcnt vmcnt(0)
	v_and_b32_e32 v2, 0xffffff, v30
	v_readfirstlane_b32 m0, v2
	buffer_wbl2
	global_store_dwordx2 v[4:5], v[30:31], off
	s_sendmsg sendmsg(MSG_INTERRUPT)
.LBB3_215:                              ;   in Loop: Header=BB3_144 Depth=1
	s_or_b64 exec, exec, s[18:19]
	v_add_co_u32_e32 v2, vcc, v26, v34
	v_addc_co_u32_e32 v3, vcc, 0, v27, vcc
	s_branch .LBB3_219
.LBB3_216:                              ;   in Loop: Header=BB3_219 Depth=2
	s_or_b64 exec, exec, s[18:19]
	v_readfirstlane_b32 s18, v4
	s_cmp_eq_u32 s18, 0
	s_cbranch_scc1 .LBB3_218
; %bb.217:                              ;   in Loop: Header=BB3_219 Depth=2
	s_sleep 1
	s_cbranch_execnz .LBB3_219
	s_branch .LBB3_221
.LBB3_218:                              ;   in Loop: Header=BB3_144 Depth=1
	s_branch .LBB3_221
.LBB3_219:                              ;   Parent Loop BB3_144 Depth=1
                                        ; =>  This Inner Loop Header: Depth=2
	v_mov_b32_e32 v4, 1
	s_and_saveexec_b64 s[18:19], s[4:5]
	s_cbranch_execz .LBB3_216
; %bb.220:                              ;   in Loop: Header=BB3_219 Depth=2
	global_load_dword v4, v[32:33], off offset:20 glc
	s_waitcnt vmcnt(0)
	buffer_invl2
	buffer_wbinvl1_vol
	v_and_b32_e32 v4, 1, v4
	s_branch .LBB3_216
.LBB3_221:                              ;   in Loop: Header=BB3_144 Depth=1
	global_load_dwordx4 v[2:5], v[2:3], off
	s_and_saveexec_b64 s[18:19], s[4:5]
	s_cbranch_execz .LBB3_143
; %bb.222:                              ;   in Loop: Header=BB3_144 Depth=1
	global_load_dwordx2 v[4:5], v31, s[6:7] offset:40
	global_load_dwordx2 v[12:13], v31, s[6:7] offset:24 glc
	global_load_dwordx2 v[14:15], v31, s[6:7]
	v_mov_b32_e32 v9, s17
	s_waitcnt vmcnt(2)
	v_add_co_u32_e32 v11, vcc, 1, v4
	v_addc_co_u32_e32 v16, vcc, 0, v5, vcc
	v_add_co_u32_e32 v8, vcc, s16, v11
	v_addc_co_u32_e32 v9, vcc, v16, v9, vcc
	v_cmp_eq_u64_e32 vcc, 0, v[8:9]
	v_cndmask_b32_e32 v9, v9, v16, vcc
	v_cndmask_b32_e32 v8, v8, v11, vcc
	v_and_b32_e32 v5, v9, v5
	v_and_b32_e32 v4, v8, v4
	v_mul_lo_u32 v5, v5, 24
	v_mul_hi_u32 v11, v4, 24
	v_mul_lo_u32 v4, v4, 24
	v_add_u32_e32 v5, v11, v5
	s_waitcnt vmcnt(0)
	v_add_co_u32_e32 v4, vcc, v14, v4
	v_addc_co_u32_e32 v5, vcc, v15, v5, vcc
	v_mov_b32_e32 v10, v12
	global_store_dwordx2 v[4:5], v[12:13], off
	v_mov_b32_e32 v11, v13
	buffer_wbl2
	s_waitcnt vmcnt(0)
	global_atomic_cmpswap_x2 v[10:11], v31, v[8:11], s[6:7] offset:24 glc
	s_waitcnt vmcnt(0)
	v_cmp_ne_u64_e32 vcc, v[10:11], v[12:13]
	s_and_b64 exec, exec, vcc
	s_cbranch_execz .LBB3_143
; %bb.223:                              ;   in Loop: Header=BB3_144 Depth=1
	s_mov_b64 s[4:5], 0
.LBB3_224:                              ;   Parent Loop BB3_144 Depth=1
                                        ; =>  This Inner Loop Header: Depth=2
	s_sleep 1
	global_store_dwordx2 v[4:5], v[10:11], off
	buffer_wbl2
	s_waitcnt vmcnt(0)
	global_atomic_cmpswap_x2 v[12:13], v31, v[8:11], s[6:7] offset:24 glc
	s_waitcnt vmcnt(0)
	v_cmp_eq_u64_e32 vcc, v[12:13], v[10:11]
	s_or_b64 s[4:5], vcc, s[4:5]
	v_pk_mov_b32 v[10:11], v[12:13], v[12:13] op_sel:[0,1]
	s_andn2_b64 exec, exec, s[4:5]
	s_cbranch_execnz .LBB3_224
	s_branch .LBB3_143
.LBB3_225:
                                        ; implicit-def: $vgpr2_vgpr3
	s_cbranch_execnz .LBB3_227
	s_branch .LBB3_253
.LBB3_226:
	s_branch .LBB3_253
.LBB3_227:
	v_readfirstlane_b32 s4, v35
	v_cmp_eq_u32_e64 s[4:5], s4, v35
	v_pk_mov_b32 v[8:9], 0, 0
	s_and_saveexec_b64 s[10:11], s[4:5]
	s_cbranch_execz .LBB3_233
; %bb.228:
	s_waitcnt vmcnt(0)
	v_mov_b32_e32 v2, 0
	global_load_dwordx2 v[6:7], v2, s[6:7] offset:24 glc
	s_waitcnt vmcnt(0)
	buffer_invl2
	buffer_wbinvl1_vol
	global_load_dwordx2 v[4:5], v2, s[6:7] offset:40
	global_load_dwordx2 v[8:9], v2, s[6:7]
	s_waitcnt vmcnt(1)
	v_and_b32_e32 v3, v4, v6
	v_and_b32_e32 v4, v5, v7
	v_mul_lo_u32 v4, v4, 24
	v_mul_hi_u32 v5, v3, 24
	v_mul_lo_u32 v3, v3, 24
	v_add_u32_e32 v5, v5, v4
	s_waitcnt vmcnt(0)
	v_add_co_u32_e32 v4, vcc, v8, v3
	v_addc_co_u32_e32 v5, vcc, v9, v5, vcc
	global_load_dwordx2 v[4:5], v[4:5], off glc
	s_waitcnt vmcnt(0)
	global_atomic_cmpswap_x2 v[8:9], v2, v[4:7], s[6:7] offset:24 glc
	s_waitcnt vmcnt(0)
	buffer_invl2
	buffer_wbinvl1_vol
	v_cmp_ne_u64_e32 vcc, v[8:9], v[6:7]
	s_and_saveexec_b64 s[12:13], vcc
	s_cbranch_execz .LBB3_232
; %bb.229:
	s_mov_b64 s[14:15], 0
.LBB3_230:                              ; =>This Inner Loop Header: Depth=1
	s_sleep 1
	global_load_dwordx2 v[4:5], v2, s[6:7] offset:40
	global_load_dwordx2 v[10:11], v2, s[6:7]
	v_pk_mov_b32 v[6:7], v[8:9], v[8:9] op_sel:[0,1]
	s_waitcnt vmcnt(1)
	v_and_b32_e32 v4, v4, v6
	v_and_b32_e32 v3, v5, v7
	s_waitcnt vmcnt(0)
	v_mad_u64_u32 v[4:5], s[16:17], v4, 24, v[10:11]
	v_mov_b32_e32 v8, v5
	v_mad_u64_u32 v[8:9], s[16:17], v3, 24, v[8:9]
	v_mov_b32_e32 v5, v8
	global_load_dwordx2 v[4:5], v[4:5], off glc
	s_waitcnt vmcnt(0)
	global_atomic_cmpswap_x2 v[8:9], v2, v[4:7], s[6:7] offset:24 glc
	s_waitcnt vmcnt(0)
	buffer_invl2
	buffer_wbinvl1_vol
	v_cmp_eq_u64_e32 vcc, v[8:9], v[6:7]
	s_or_b64 s[14:15], vcc, s[14:15]
	s_andn2_b64 exec, exec, s[14:15]
	s_cbranch_execnz .LBB3_230
; %bb.231:
	s_or_b64 exec, exec, s[14:15]
.LBB3_232:
	s_or_b64 exec, exec, s[12:13]
.LBB3_233:
	s_or_b64 exec, exec, s[10:11]
	s_waitcnt vmcnt(0)
	v_mov_b32_e32 v2, 0
	global_load_dwordx2 v[10:11], v2, s[6:7] offset:40
	global_load_dwordx4 v[4:7], v2, s[6:7]
	v_readfirstlane_b32 s10, v8
	v_readfirstlane_b32 s11, v9
	s_mov_b64 s[12:13], exec
	s_waitcnt vmcnt(1)
	v_readfirstlane_b32 s14, v10
	v_readfirstlane_b32 s15, v11
	s_and_b64 s[14:15], s[10:11], s[14:15]
	s_mul_i32 s16, s15, 24
	s_mul_hi_u32 s17, s14, 24
	s_mul_i32 s18, s14, 24
	s_add_i32 s16, s17, s16
	v_mov_b32_e32 v3, s16
	s_waitcnt vmcnt(0)
	v_add_co_u32_e32 v8, vcc, s18, v4
	v_addc_co_u32_e32 v9, vcc, v5, v3, vcc
	s_and_saveexec_b64 s[16:17], s[4:5]
	s_cbranch_execz .LBB3_235
; %bb.234:
	v_pk_mov_b32 v[10:11], s[12:13], s[12:13] op_sel:[0,1]
	v_mov_b32_e32 v12, 2
	v_mov_b32_e32 v13, 1
	global_store_dwordx4 v[8:9], v[10:13], off offset:8
.LBB3_235:
	s_or_b64 exec, exec, s[16:17]
	s_lshl_b64 s[12:13], s[14:15], 12
	v_mov_b32_e32 v3, s13
	v_add_co_u32_e32 v10, vcc, s12, v6
	s_movk_i32 s12, 0xff1f
	v_addc_co_u32_e32 v11, vcc, v7, v3, vcc
	v_and_or_b32 v0, v0, s12, 32
	s_mov_b32 s12, 0
	v_mov_b32_e32 v3, v2
	v_readfirstlane_b32 s16, v10
	v_readfirstlane_b32 s17, v11
	s_mov_b32 s13, s12
	v_add_co_u32_e32 v6, vcc, v10, v34
	s_mov_b32 s14, s12
	s_mov_b32 s15, s12
	s_nop 0
	global_store_dwordx4 v34, v[0:3], s[16:17]
	v_addc_co_u32_e32 v7, vcc, 0, v11, vcc
	v_pk_mov_b32 v[0:1], s[12:13], s[12:13] op_sel:[0,1]
	v_pk_mov_b32 v[2:3], s[14:15], s[14:15] op_sel:[0,1]
	global_store_dwordx4 v34, v[0:3], s[16:17] offset:16
	global_store_dwordx4 v34, v[0:3], s[16:17] offset:32
	global_store_dwordx4 v34, v[0:3], s[16:17] offset:48
	s_and_saveexec_b64 s[12:13], s[4:5]
	s_cbranch_execz .LBB3_243
; %bb.236:
	v_mov_b32_e32 v10, 0
	global_load_dwordx2 v[14:15], v10, s[6:7] offset:32 glc
	global_load_dwordx2 v[0:1], v10, s[6:7] offset:40
	v_mov_b32_e32 v12, s10
	v_mov_b32_e32 v13, s11
	s_waitcnt vmcnt(0)
	v_readfirstlane_b32 s14, v0
	v_readfirstlane_b32 s15, v1
	s_and_b64 s[14:15], s[14:15], s[10:11]
	s_mul_i32 s15, s15, 24
	s_mul_hi_u32 s16, s14, 24
	s_mul_i32 s14, s14, 24
	s_add_i32 s15, s16, s15
	v_mov_b32_e32 v0, s15
	v_add_co_u32_e32 v4, vcc, s14, v4
	v_addc_co_u32_e32 v5, vcc, v5, v0, vcc
	global_store_dwordx2 v[4:5], v[14:15], off
	buffer_wbl2
	s_waitcnt vmcnt(0)
	global_atomic_cmpswap_x2 v[2:3], v10, v[12:15], s[6:7] offset:32 glc
	s_waitcnt vmcnt(0)
	v_cmp_ne_u64_e32 vcc, v[2:3], v[14:15]
	s_and_saveexec_b64 s[14:15], vcc
	s_cbranch_execz .LBB3_239
; %bb.237:
	s_mov_b64 s[16:17], 0
.LBB3_238:                              ; =>This Inner Loop Header: Depth=1
	s_sleep 1
	global_store_dwordx2 v[4:5], v[2:3], off
	v_mov_b32_e32 v0, s10
	v_mov_b32_e32 v1, s11
	buffer_wbl2
	s_waitcnt vmcnt(0)
	global_atomic_cmpswap_x2 v[0:1], v10, v[0:3], s[6:7] offset:32 glc
	s_waitcnt vmcnt(0)
	v_cmp_eq_u64_e32 vcc, v[0:1], v[2:3]
	s_or_b64 s[16:17], vcc, s[16:17]
	v_pk_mov_b32 v[2:3], v[0:1], v[0:1] op_sel:[0,1]
	s_andn2_b64 exec, exec, s[16:17]
	s_cbranch_execnz .LBB3_238
.LBB3_239:
	s_or_b64 exec, exec, s[14:15]
	v_mov_b32_e32 v3, 0
	global_load_dwordx2 v[0:1], v3, s[6:7] offset:16
	s_mov_b64 s[14:15], exec
	v_mbcnt_lo_u32_b32 v2, s14, 0
	v_mbcnt_hi_u32_b32 v2, s15, v2
	v_cmp_eq_u32_e32 vcc, 0, v2
	s_and_saveexec_b64 s[16:17], vcc
	s_cbranch_execz .LBB3_241
; %bb.240:
	s_bcnt1_i32_b64 s14, s[14:15]
	v_mov_b32_e32 v2, s14
	buffer_wbl2
	s_waitcnt vmcnt(0)
	global_atomic_add_x2 v[0:1], v[2:3], off offset:8
.LBB3_241:
	s_or_b64 exec, exec, s[16:17]
	s_waitcnt vmcnt(0)
	global_load_dwordx2 v[2:3], v[0:1], off offset:16
	s_waitcnt vmcnt(0)
	v_cmp_eq_u64_e32 vcc, 0, v[2:3]
	s_cbranch_vccnz .LBB3_243
; %bb.242:
	global_load_dword v0, v[0:1], off offset:24
	v_mov_b32_e32 v1, 0
	buffer_wbl2
	s_waitcnt vmcnt(0)
	global_store_dwordx2 v[2:3], v[0:1], off
	v_and_b32_e32 v0, 0xffffff, v0
	v_readfirstlane_b32 m0, v0
	s_sendmsg sendmsg(MSG_INTERRUPT)
.LBB3_243:
	s_or_b64 exec, exec, s[12:13]
	s_branch .LBB3_247
.LBB3_244:                              ;   in Loop: Header=BB3_247 Depth=1
	s_or_b64 exec, exec, s[12:13]
	v_readfirstlane_b32 s12, v0
	s_cmp_eq_u32 s12, 0
	s_cbranch_scc1 .LBB3_246
; %bb.245:                              ;   in Loop: Header=BB3_247 Depth=1
	s_sleep 1
	s_cbranch_execnz .LBB3_247
	s_branch .LBB3_249
.LBB3_246:
	s_branch .LBB3_249
.LBB3_247:                              ; =>This Inner Loop Header: Depth=1
	v_mov_b32_e32 v0, 1
	s_and_saveexec_b64 s[12:13], s[4:5]
	s_cbranch_execz .LBB3_244
; %bb.248:                              ;   in Loop: Header=BB3_247 Depth=1
	global_load_dword v0, v[8:9], off offset:20 glc
	s_waitcnt vmcnt(0)
	buffer_invl2
	buffer_wbinvl1_vol
	v_and_b32_e32 v0, 1, v0
	s_branch .LBB3_244
.LBB3_249:
	global_load_dwordx2 v[2:3], v[6:7], off
	s_and_saveexec_b64 s[12:13], s[4:5]
	s_cbranch_execz .LBB3_252
; %bb.250:
	v_mov_b32_e32 v8, 0
	global_load_dwordx2 v[0:1], v8, s[6:7] offset:40
	global_load_dwordx2 v[10:11], v8, s[6:7] offset:24 glc
	global_load_dwordx2 v[12:13], v8, s[6:7]
	v_mov_b32_e32 v5, s11
	s_mov_b64 s[4:5], 0
	s_waitcnt vmcnt(2)
	v_add_co_u32_e32 v7, vcc, 1, v0
	v_addc_co_u32_e32 v9, vcc, 0, v1, vcc
	v_add_co_u32_e32 v4, vcc, s10, v7
	v_addc_co_u32_e32 v5, vcc, v9, v5, vcc
	v_cmp_eq_u64_e32 vcc, 0, v[4:5]
	v_cndmask_b32_e32 v5, v5, v9, vcc
	v_cndmask_b32_e32 v4, v4, v7, vcc
	v_and_b32_e32 v1, v5, v1
	v_and_b32_e32 v0, v4, v0
	v_mul_lo_u32 v1, v1, 24
	v_mul_hi_u32 v7, v0, 24
	v_mul_lo_u32 v0, v0, 24
	v_add_u32_e32 v1, v7, v1
	s_waitcnt vmcnt(0)
	v_add_co_u32_e32 v0, vcc, v12, v0
	v_addc_co_u32_e32 v1, vcc, v13, v1, vcc
	v_mov_b32_e32 v6, v10
	global_store_dwordx2 v[0:1], v[10:11], off
	v_mov_b32_e32 v7, v11
	buffer_wbl2
	s_waitcnt vmcnt(0)
	global_atomic_cmpswap_x2 v[6:7], v8, v[4:7], s[6:7] offset:24 glc
	s_waitcnt vmcnt(0)
	v_cmp_ne_u64_e32 vcc, v[6:7], v[10:11]
	s_and_b64 exec, exec, vcc
	s_cbranch_execz .LBB3_252
.LBB3_251:                              ; =>This Inner Loop Header: Depth=1
	s_sleep 1
	global_store_dwordx2 v[0:1], v[6:7], off
	buffer_wbl2
	s_waitcnt vmcnt(0)
	global_atomic_cmpswap_x2 v[10:11], v8, v[4:7], s[6:7] offset:24 glc
	s_waitcnt vmcnt(0)
	v_cmp_eq_u64_e32 vcc, v[10:11], v[6:7]
	s_or_b64 s[4:5], vcc, s[4:5]
	v_pk_mov_b32 v[6:7], v[10:11], v[10:11] op_sel:[0,1]
	s_andn2_b64 exec, exec, s[4:5]
	s_cbranch_execnz .LBB3_251
.LBB3_252:
	s_or_b64 exec, exec, s[12:13]
.LBB3_253:
	v_readfirstlane_b32 s4, v35
	v_cmp_eq_u32_e64 s[4:5], s4, v35
	s_waitcnt vmcnt(0)
	v_pk_mov_b32 v[0:1], 0, 0
	s_and_saveexec_b64 s[10:11], s[4:5]
	s_cbranch_execz .LBB3_259
; %bb.254:
	v_mov_b32_e32 v4, 0
	global_load_dwordx2 v[8:9], v4, s[6:7] offset:24 glc
	s_waitcnt vmcnt(0)
	buffer_invl2
	buffer_wbinvl1_vol
	global_load_dwordx2 v[0:1], v4, s[6:7] offset:40
	global_load_dwordx2 v[6:7], v4, s[6:7]
	s_waitcnt vmcnt(1)
	v_and_b32_e32 v0, v0, v8
	v_and_b32_e32 v1, v1, v9
	v_mul_lo_u32 v1, v1, 24
	v_mul_hi_u32 v5, v0, 24
	v_mul_lo_u32 v0, v0, 24
	v_add_u32_e32 v1, v5, v1
	s_waitcnt vmcnt(0)
	v_add_co_u32_e32 v0, vcc, v6, v0
	v_addc_co_u32_e32 v1, vcc, v7, v1, vcc
	global_load_dwordx2 v[6:7], v[0:1], off glc
	s_waitcnt vmcnt(0)
	global_atomic_cmpswap_x2 v[0:1], v4, v[6:9], s[6:7] offset:24 glc
	s_waitcnt vmcnt(0)
	buffer_invl2
	buffer_wbinvl1_vol
	v_cmp_ne_u64_e32 vcc, v[0:1], v[8:9]
	s_and_saveexec_b64 s[12:13], vcc
	s_cbranch_execz .LBB3_258
; %bb.255:
	s_mov_b64 s[14:15], 0
.LBB3_256:                              ; =>This Inner Loop Header: Depth=1
	s_sleep 1
	global_load_dwordx2 v[6:7], v4, s[6:7] offset:40
	global_load_dwordx2 v[10:11], v4, s[6:7]
	v_pk_mov_b32 v[8:9], v[0:1], v[0:1] op_sel:[0,1]
	s_waitcnt vmcnt(1)
	v_and_b32_e32 v0, v6, v8
	s_waitcnt vmcnt(0)
	v_mad_u64_u32 v[0:1], s[16:17], v0, 24, v[10:11]
	v_and_b32_e32 v5, v7, v9
	v_mov_b32_e32 v6, v1
	v_mad_u64_u32 v[6:7], s[16:17], v5, 24, v[6:7]
	v_mov_b32_e32 v1, v6
	global_load_dwordx2 v[6:7], v[0:1], off glc
	s_waitcnt vmcnt(0)
	global_atomic_cmpswap_x2 v[0:1], v4, v[6:9], s[6:7] offset:24 glc
	s_waitcnt vmcnt(0)
	buffer_invl2
	buffer_wbinvl1_vol
	v_cmp_eq_u64_e32 vcc, v[0:1], v[8:9]
	s_or_b64 s[14:15], vcc, s[14:15]
	s_andn2_b64 exec, exec, s[14:15]
	s_cbranch_execnz .LBB3_256
; %bb.257:
	s_or_b64 exec, exec, s[14:15]
.LBB3_258:
	s_or_b64 exec, exec, s[12:13]
.LBB3_259:
	s_or_b64 exec, exec, s[10:11]
	v_mov_b32_e32 v5, 0
	global_load_dwordx2 v[10:11], v5, s[6:7] offset:40
	global_load_dwordx4 v[6:9], v5, s[6:7]
	v_readfirstlane_b32 s10, v0
	v_readfirstlane_b32 s11, v1
	s_mov_b64 s[12:13], exec
	s_waitcnt vmcnt(1)
	v_readfirstlane_b32 s14, v10
	v_readfirstlane_b32 s15, v11
	s_and_b64 s[14:15], s[10:11], s[14:15]
	s_mul_i32 s16, s15, 24
	s_mul_hi_u32 s17, s14, 24
	s_mul_i32 s18, s14, 24
	s_add_i32 s16, s17, s16
	v_mov_b32_e32 v0, s16
	s_waitcnt vmcnt(0)
	v_add_co_u32_e32 v10, vcc, s18, v6
	v_addc_co_u32_e32 v11, vcc, v7, v0, vcc
	s_and_saveexec_b64 s[16:17], s[4:5]
	s_cbranch_execz .LBB3_261
; %bb.260:
	v_pk_mov_b32 v[12:13], s[12:13], s[12:13] op_sel:[0,1]
	v_mov_b32_e32 v14, 2
	v_mov_b32_e32 v15, 1
	global_store_dwordx4 v[10:11], v[12:15], off offset:8
.LBB3_261:
	s_or_b64 exec, exec, s[16:17]
	s_lshl_b64 s[12:13], s[14:15], 12
	v_mov_b32_e32 v1, s13
	v_add_co_u32_e32 v0, vcc, s12, v8
	s_movk_i32 s12, 0xff1f
	v_addc_co_u32_e32 v1, vcc, v9, v1, vcc
	v_and_or_b32 v2, v2, s12, 32
	s_mov_b32 s12, 0
	v_add_co_u32_e32 v8, vcc, v0, v34
	v_mov_b32_e32 v4, 0x6cc
	v_readfirstlane_b32 s16, v0
	v_readfirstlane_b32 s17, v1
	s_mov_b32 s13, s12
	v_addc_co_u32_e32 v9, vcc, 0, v1, vcc
	s_mov_b32 s14, s12
	s_mov_b32 s15, s12
	s_nop 0
	global_store_dwordx4 v34, v[2:5], s[16:17]
	v_pk_mov_b32 v[0:1], s[12:13], s[12:13] op_sel:[0,1]
	v_pk_mov_b32 v[2:3], s[14:15], s[14:15] op_sel:[0,1]
	global_store_dwordx4 v34, v[0:3], s[16:17] offset:16
	global_store_dwordx4 v34, v[0:3], s[16:17] offset:32
	;; [unrolled: 1-line block ×3, first 2 shown]
	s_and_saveexec_b64 s[12:13], s[4:5]
	s_cbranch_execz .LBB3_269
; %bb.262:
	v_mov_b32_e32 v12, 0
	global_load_dwordx2 v[16:17], v12, s[6:7] offset:32 glc
	global_load_dwordx2 v[0:1], v12, s[6:7] offset:40
	v_mov_b32_e32 v14, s10
	v_mov_b32_e32 v15, s11
	s_waitcnt vmcnt(0)
	v_readfirstlane_b32 s14, v0
	v_readfirstlane_b32 s15, v1
	s_and_b64 s[14:15], s[14:15], s[10:11]
	s_mul_i32 s15, s15, 24
	s_mul_hi_u32 s16, s14, 24
	s_mul_i32 s14, s14, 24
	s_add_i32 s15, s16, s15
	v_mov_b32_e32 v0, s15
	v_add_co_u32_e32 v4, vcc, s14, v6
	v_addc_co_u32_e32 v5, vcc, v7, v0, vcc
	global_store_dwordx2 v[4:5], v[16:17], off
	buffer_wbl2
	s_waitcnt vmcnt(0)
	global_atomic_cmpswap_x2 v[2:3], v12, v[14:17], s[6:7] offset:32 glc
	s_waitcnt vmcnt(0)
	v_cmp_ne_u64_e32 vcc, v[2:3], v[16:17]
	s_and_saveexec_b64 s[14:15], vcc
	s_cbranch_execz .LBB3_265
; %bb.263:
	s_mov_b64 s[16:17], 0
.LBB3_264:                              ; =>This Inner Loop Header: Depth=1
	s_sleep 1
	global_store_dwordx2 v[4:5], v[2:3], off
	v_mov_b32_e32 v0, s10
	v_mov_b32_e32 v1, s11
	buffer_wbl2
	s_waitcnt vmcnt(0)
	global_atomic_cmpswap_x2 v[0:1], v12, v[0:3], s[6:7] offset:32 glc
	s_waitcnt vmcnt(0)
	v_cmp_eq_u64_e32 vcc, v[0:1], v[2:3]
	s_or_b64 s[16:17], vcc, s[16:17]
	v_pk_mov_b32 v[2:3], v[0:1], v[0:1] op_sel:[0,1]
	s_andn2_b64 exec, exec, s[16:17]
	s_cbranch_execnz .LBB3_264
.LBB3_265:
	s_or_b64 exec, exec, s[14:15]
	v_mov_b32_e32 v3, 0
	global_load_dwordx2 v[0:1], v3, s[6:7] offset:16
	s_mov_b64 s[14:15], exec
	v_mbcnt_lo_u32_b32 v2, s14, 0
	v_mbcnt_hi_u32_b32 v2, s15, v2
	v_cmp_eq_u32_e32 vcc, 0, v2
	s_and_saveexec_b64 s[16:17], vcc
	s_cbranch_execz .LBB3_267
; %bb.266:
	s_bcnt1_i32_b64 s14, s[14:15]
	v_mov_b32_e32 v2, s14
	buffer_wbl2
	s_waitcnt vmcnt(0)
	global_atomic_add_x2 v[0:1], v[2:3], off offset:8
.LBB3_267:
	s_or_b64 exec, exec, s[16:17]
	s_waitcnt vmcnt(0)
	global_load_dwordx2 v[2:3], v[0:1], off offset:16
	s_waitcnt vmcnt(0)
	v_cmp_eq_u64_e32 vcc, 0, v[2:3]
	s_cbranch_vccnz .LBB3_269
; %bb.268:
	global_load_dword v0, v[0:1], off offset:24
	v_mov_b32_e32 v1, 0
	buffer_wbl2
	s_waitcnt vmcnt(0)
	global_store_dwordx2 v[2:3], v[0:1], off
	v_and_b32_e32 v0, 0xffffff, v0
	v_readfirstlane_b32 m0, v0
	s_sendmsg sendmsg(MSG_INTERRUPT)
.LBB3_269:
	s_or_b64 exec, exec, s[12:13]
	s_branch .LBB3_273
.LBB3_270:                              ;   in Loop: Header=BB3_273 Depth=1
	s_or_b64 exec, exec, s[12:13]
	v_readfirstlane_b32 s12, v0
	s_cmp_eq_u32 s12, 0
	s_cbranch_scc1 .LBB3_272
; %bb.271:                              ;   in Loop: Header=BB3_273 Depth=1
	s_sleep 1
	s_cbranch_execnz .LBB3_273
	s_branch .LBB3_275
.LBB3_272:
	s_branch .LBB3_275
.LBB3_273:                              ; =>This Inner Loop Header: Depth=1
	v_mov_b32_e32 v0, 1
	s_and_saveexec_b64 s[12:13], s[4:5]
	s_cbranch_execz .LBB3_270
; %bb.274:                              ;   in Loop: Header=BB3_273 Depth=1
	global_load_dword v0, v[10:11], off offset:20 glc
	s_waitcnt vmcnt(0)
	buffer_invl2
	buffer_wbinvl1_vol
	v_and_b32_e32 v0, 1, v0
	s_branch .LBB3_270
.LBB3_275:
	global_load_dwordx2 v[0:1], v[8:9], off
	s_and_saveexec_b64 s[12:13], s[4:5]
	s_cbranch_execz .LBB3_278
; %bb.276:
	v_mov_b32_e32 v8, 0
	global_load_dwordx2 v[6:7], v8, s[6:7] offset:40
	global_load_dwordx2 v[10:11], v8, s[6:7] offset:24 glc
	global_load_dwordx2 v[12:13], v8, s[6:7]
	v_mov_b32_e32 v3, s11
	s_mov_b64 s[4:5], 0
	s_waitcnt vmcnt(2)
	v_add_co_u32_e32 v5, vcc, 1, v6
	v_addc_co_u32_e32 v9, vcc, 0, v7, vcc
	v_add_co_u32_e32 v2, vcc, s10, v5
	v_addc_co_u32_e32 v3, vcc, v9, v3, vcc
	v_cmp_eq_u64_e32 vcc, 0, v[2:3]
	v_cndmask_b32_e32 v3, v3, v9, vcc
	v_cndmask_b32_e32 v2, v2, v5, vcc
	v_and_b32_e32 v5, v3, v7
	v_and_b32_e32 v6, v2, v6
	v_mul_lo_u32 v5, v5, 24
	v_mul_hi_u32 v7, v6, 24
	v_mul_lo_u32 v6, v6, 24
	v_add_u32_e32 v5, v7, v5
	s_waitcnt vmcnt(0)
	v_add_co_u32_e32 v6, vcc, v12, v6
	v_addc_co_u32_e32 v7, vcc, v13, v5, vcc
	v_mov_b32_e32 v4, v10
	global_store_dwordx2 v[6:7], v[10:11], off
	v_mov_b32_e32 v5, v11
	buffer_wbl2
	s_waitcnt vmcnt(0)
	global_atomic_cmpswap_x2 v[4:5], v8, v[2:5], s[6:7] offset:24 glc
	s_waitcnt vmcnt(0)
	v_cmp_ne_u64_e32 vcc, v[4:5], v[10:11]
	s_and_b64 exec, exec, vcc
	s_cbranch_execz .LBB3_278
.LBB3_277:                              ; =>This Inner Loop Header: Depth=1
	s_sleep 1
	global_store_dwordx2 v[6:7], v[4:5], off
	buffer_wbl2
	s_waitcnt vmcnt(0)
	global_atomic_cmpswap_x2 v[10:11], v8, v[2:5], s[6:7] offset:24 glc
	s_waitcnt vmcnt(0)
	v_cmp_eq_u64_e32 vcc, v[10:11], v[4:5]
	s_or_b64 s[4:5], vcc, s[4:5]
	v_pk_mov_b32 v[4:5], v[10:11], v[10:11] op_sel:[0,1]
	s_andn2_b64 exec, exec, s[4:5]
	s_cbranch_execnz .LBB3_277
.LBB3_278:
	s_or_b64 exec, exec, s[12:13]
	s_getpc_b64 s[4:5]
	s_add_u32 s4, s4, __FUNCTION__._ZL18flash_attn_ext_f16ILi64ELi64ELi8ELi2ELb1ELb0EEvPKcS1_S1_S1_S1_PKiPfP15HIP_vector_typeIfLj2EEffffjfiS5_IjLj3EEiiiiiiiiiiiliiliiiiil@rel32@lo+4
	s_addc_u32 s5, s5, __FUNCTION__._ZL18flash_attn_ext_f16ILi64ELi64ELi8ELi2ELb1ELb0EEvPKcS1_S1_S1_S1_PKiPfP15HIP_vector_typeIfLj2EEffffjfiS5_IjLj3EEiiiiiiiiiiiliiliiiiil@rel32@hi+12
	s_cmp_lg_u64 s[4:5], 0
	s_cselect_b32 s10, 19, 0
	s_mov_b64 s[8:9], s[26:27]
	v_mov_b32_e32 v2, s4
	v_mov_b32_e32 v3, s5
	;; [unrolled: 1-line block ×4, first 2 shown]
	s_getpc_b64 s[6:7]
	s_add_u32 s6, s6, __ockl_printf_append_string_n@rel32@lo+4
	s_addc_u32 s7, s7, __ockl_printf_append_string_n@rel32@hi+12
	s_swappc_b64 s[30:31], s[6:7]
	s_mov_b64 s[8:9], s[26:27]
	v_mov_b32_e32 v2, 0x514
	v_mov_b32_e32 v3, 0
	;; [unrolled: 1-line block ×3, first 2 shown]
	s_getpc_b64 s[4:5]
	s_add_u32 s4, s4, __ockl_printf_append_args@rel32@lo+4
	s_addc_u32 s5, s5, __ockl_printf_append_args@rel32@hi+12
	s_swappc_b64 s[30:31], s[4:5]
	s_trap 2
.Lfunc_end3:
	.size	_ZL14no_device_codePKciS0_iS0_, .Lfunc_end3-_ZL14no_device_codePKciS0_iS0_
                                        ; -- End function
	.section	.AMDGPU.csdata,"",@progbits
; Function info:
; codeLenInByte = 9988
; NumSgprs: 38
; NumVgprs: 39
; NumAgprs: 0
; TotalNumVgprs: 39
; ScratchSize: 16
; MemoryBound: 0
	.section	.text._ZL18flash_attn_ext_f16ILi64ELi64ELi8ELi2ELb1ELb0EEvPKcS1_S1_S1_S1_PKiPfP15HIP_vector_typeIfLj2EEffffjfiS5_IjLj3EEiiiiiiiiiiiliiliiiiil,"axG",@progbits,_ZL18flash_attn_ext_f16ILi64ELi64ELi8ELi2ELb1ELb0EEvPKcS1_S1_S1_S1_PKiPfP15HIP_vector_typeIfLj2EEffffjfiS5_IjLj3EEiiiiiiiiiiiliiliiiiil,comdat
	.globl	_ZL18flash_attn_ext_f16ILi64ELi64ELi8ELi2ELb1ELb0EEvPKcS1_S1_S1_S1_PKiPfP15HIP_vector_typeIfLj2EEffffjfiS5_IjLj3EEiiiiiiiiiiiliiliiiiil ; -- Begin function _ZL18flash_attn_ext_f16ILi64ELi64ELi8ELi2ELb1ELb0EEvPKcS1_S1_S1_S1_PKiPfP15HIP_vector_typeIfLj2EEffffjfiS5_IjLj3EEiiiiiiiiiiiliiliiiiil
	.p2align	8
	.type	_ZL18flash_attn_ext_f16ILi64ELi64ELi8ELi2ELb1ELb0EEvPKcS1_S1_S1_S1_PKiPfP15HIP_vector_typeIfLj2EEffffjfiS5_IjLj3EEiiiiiiiiiiiliiliiiiil,@function
_ZL18flash_attn_ext_f16ILi64ELi64ELi8ELi2ELb1ELb0EEvPKcS1_S1_S1_S1_PKiPfP15HIP_vector_typeIfLj2EEffffjfiS5_IjLj3EEiiiiiiiiiiiliiliiiiil: ; @_ZL18flash_attn_ext_f16ILi64ELi64ELi8ELi2ELb1ELb0EEvPKcS1_S1_S1_S1_PKiPfP15HIP_vector_typeIfLj2EEffffjfiS5_IjLj3EEiiiiiiiiiiiliiliiiiil
; %bb.0:
	s_add_u32 flat_scratch_lo, s6, s9
	s_addc_u32 flat_scratch_hi, s7, 0
	s_add_u32 s0, s0, s9
	s_addc_u32 s1, s1, 0
	s_add_u32 s8, s4, 0xd0
	s_addc_u32 s9, s5, 0
	s_mov_b32 s32, 0
	s_getpc_b64 s[4:5]
	s_add_u32 s4, s4, _ZL14no_device_codePKciS0_iS0_@rel32@lo+4
	s_addc_u32 s5, s5, _ZL14no_device_codePKciS0_iS0_@rel32@hi+12
	s_swappc_b64 s[30:31], s[4:5]
	.section	.rodata,"a",@progbits
	.p2align	6, 0x0
	.amdhsa_kernel _ZL18flash_attn_ext_f16ILi64ELi64ELi8ELi2ELb1ELb0EEvPKcS1_S1_S1_S1_PKiPfP15HIP_vector_typeIfLj2EEffffjfiS5_IjLj3EEiiiiiiiiiiiliiliiiiil
		.amdhsa_group_segment_fixed_size 0
		.amdhsa_private_segment_fixed_size 16
		.amdhsa_kernarg_size 464
		.amdhsa_user_sgpr_count 8
		.amdhsa_user_sgpr_private_segment_buffer 1
		.amdhsa_user_sgpr_dispatch_ptr 0
		.amdhsa_user_sgpr_queue_ptr 0
		.amdhsa_user_sgpr_kernarg_segment_ptr 1
		.amdhsa_user_sgpr_dispatch_id 0
		.amdhsa_user_sgpr_flat_scratch_init 1
		.amdhsa_user_sgpr_kernarg_preload_length 0
		.amdhsa_user_sgpr_kernarg_preload_offset 0
		.amdhsa_user_sgpr_private_segment_size 0
		.amdhsa_uses_dynamic_stack 0
		.amdhsa_system_sgpr_private_segment_wavefront_offset 1
		.amdhsa_system_sgpr_workgroup_id_x 1
		.amdhsa_system_sgpr_workgroup_id_y 0
		.amdhsa_system_sgpr_workgroup_id_z 0
		.amdhsa_system_sgpr_workgroup_info 0
		.amdhsa_system_vgpr_workitem_id 0
		.amdhsa_next_free_vgpr 39
		.amdhsa_next_free_sgpr 34
		.amdhsa_accum_offset 40
		.amdhsa_reserve_vcc 1
		.amdhsa_reserve_flat_scratch 1
		.amdhsa_float_round_mode_32 0
		.amdhsa_float_round_mode_16_64 0
		.amdhsa_float_denorm_mode_32 3
		.amdhsa_float_denorm_mode_16_64 3
		.amdhsa_dx10_clamp 1
		.amdhsa_ieee_mode 1
		.amdhsa_fp16_overflow 0
		.amdhsa_tg_split 0
		.amdhsa_exception_fp_ieee_invalid_op 0
		.amdhsa_exception_fp_denorm_src 0
		.amdhsa_exception_fp_ieee_div_zero 0
		.amdhsa_exception_fp_ieee_overflow 0
		.amdhsa_exception_fp_ieee_underflow 0
		.amdhsa_exception_fp_ieee_inexact 0
		.amdhsa_exception_int_div_zero 0
	.end_amdhsa_kernel
	.section	.text._ZL18flash_attn_ext_f16ILi64ELi64ELi8ELi2ELb1ELb0EEvPKcS1_S1_S1_S1_PKiPfP15HIP_vector_typeIfLj2EEffffjfiS5_IjLj3EEiiiiiiiiiiiliiliiiiil,"axG",@progbits,_ZL18flash_attn_ext_f16ILi64ELi64ELi8ELi2ELb1ELb0EEvPKcS1_S1_S1_S1_PKiPfP15HIP_vector_typeIfLj2EEffffjfiS5_IjLj3EEiiiiiiiiiiiliiliiiiil,comdat
.Lfunc_end4:
	.size	_ZL18flash_attn_ext_f16ILi64ELi64ELi8ELi2ELb1ELb0EEvPKcS1_S1_S1_S1_PKiPfP15HIP_vector_typeIfLj2EEffffjfiS5_IjLj3EEiiiiiiiiiiiliiliiiiil, .Lfunc_end4-_ZL18flash_attn_ext_f16ILi64ELi64ELi8ELi2ELb1ELb0EEvPKcS1_S1_S1_S1_PKiPfP15HIP_vector_typeIfLj2EEffffjfiS5_IjLj3EEiiiiiiiiiiiliiliiiiil
                                        ; -- End function
	.section	.AMDGPU.csdata,"",@progbits
; Kernel info:
; codeLenInByte = 56
; NumSgprs: 40
; NumVgprs: 39
; NumAgprs: 0
; TotalNumVgprs: 39
; ScratchSize: 16
; MemoryBound: 0
; FloatMode: 240
; IeeeMode: 1
; LDSByteSize: 0 bytes/workgroup (compile time only)
; SGPRBlocks: 4
; VGPRBlocks: 4
; NumSGPRsForWavesPerEU: 40
; NumVGPRsForWavesPerEU: 39
; AccumOffset: 40
; Occupancy: 8
; WaveLimiterHint : 1
; COMPUTE_PGM_RSRC2:SCRATCH_EN: 1
; COMPUTE_PGM_RSRC2:USER_SGPR: 8
; COMPUTE_PGM_RSRC2:TRAP_HANDLER: 0
; COMPUTE_PGM_RSRC2:TGID_X_EN: 1
; COMPUTE_PGM_RSRC2:TGID_Y_EN: 0
; COMPUTE_PGM_RSRC2:TGID_Z_EN: 0
; COMPUTE_PGM_RSRC2:TIDIG_COMP_CNT: 0
; COMPUTE_PGM_RSRC3_GFX90A:ACCUM_OFFSET: 9
; COMPUTE_PGM_RSRC3_GFX90A:TG_SPLIT: 0
	.section	.text._ZL25flash_attn_mask_to_KV_maxILi8EEvPK7__half2Piiii,"axG",@progbits,_ZL25flash_attn_mask_to_KV_maxILi8EEvPK7__half2Piiii,comdat
	.globl	_ZL25flash_attn_mask_to_KV_maxILi8EEvPK7__half2Piiii ; -- Begin function _ZL25flash_attn_mask_to_KV_maxILi8EEvPK7__half2Piiii
	.p2align	8
	.type	_ZL25flash_attn_mask_to_KV_maxILi8EEvPK7__half2Piiii,@function
_ZL25flash_attn_mask_to_KV_maxILi8EEvPK7__half2Piiii: ; @_ZL25flash_attn_mask_to_KV_maxILi8EEvPK7__half2Piiii
; %bb.0:
	s_load_dwordx4 s[8:11], s[4:5], 0x0
	v_cmp_gt_u32_e32 vcc, 32, v0
	s_and_saveexec_b64 s[0:1], vcc
	s_cbranch_execz .LBB5_2
; %bb.1:
	v_lshlrev_b32_e32 v1, 2, v0
	v_mov_b32_e32 v2, 1
	ds_write_b32 v1, v2
.LBB5_2:
	s_or_b64 exec, exec, s[0:1]
	s_load_dwordx4 s[12:15], s[4:5], 0x10
	s_load_dword s33, s[4:5], 0x20
	v_and_b32_e32 v2, 31, v0
	v_lshlrev_b32_e32 v6, 2, v2
	v_lshrrev_b32_e32 v1, 3, v0
	s_waitcnt lgkmcnt(0)
	s_mul_i32 s1, s6, s13
	s_mul_i32 s0, s7, s14
	s_lshl_b32 s1, s1, 3
	s_add_i32 s0, s0, s1
	s_ashr_i32 s1, s0, 31
	s_lshl_b64 s[0:1], s[0:1], 2
	s_add_u32 s42, s8, s0
	s_addc_u32 s43, s9, s1
	v_cmp_eq_u32_e64 s[0:1], 0, v2
	v_mbcnt_lo_u32_b32 v2, -1, 0
	v_mbcnt_hi_u32_b32 v7, -1, v2
	v_and_b32_e32 v2, 0x60, v7
	s_lshl_b32 s12, s12, 8
	s_mov_b64 s[4:5], 0
	v_mov_b32_e32 v3, 0
	s_movk_i32 s44, 0x204
	s_movk_i32 s45, 0x7fff
	;; [unrolled: 1-line block ×3, first 2 shown]
	v_add_u32_e32 v8, 32, v2
	v_xor_b32_e32 v9, 16, v7
	s_barrier
	s_waitcnt lgkmcnt(0)
                                        ; implicit-def: $sgpr2_sgpr3
	s_branch .LBB5_5
.LBB5_3:                                ;   in Loop: Header=BB5_5 Depth=1
	s_or_b64 exec, exec, s[8:9]
	s_waitcnt lgkmcnt(0)
	s_barrier
	ds_read_b32 v12, v6
	s_waitcnt lgkmcnt(0)
	s_barrier
	ds_bpermute_b32 v2, v2, v12
	v_cmp_ne_u32_e32 vcc, 0, v12
	s_waitcnt lgkmcnt(0)
	v_cmp_ne_u32_e64 s[2:3], 0, v2
	s_and_b64 s[2:3], vcc, s[2:3]
	v_cndmask_b32_e64 v2, 0, 1, s[2:3]
	ds_bpermute_b32 v2, v4, v2
	s_waitcnt lgkmcnt(0)
	v_cmp_ne_u32_e32 vcc, 0, v2
	s_and_b64 s[2:3], vcc, s[2:3]
	v_cndmask_b32_e64 v2, 0, 1, s[2:3]
	ds_bpermute_b32 v2, v5, v2
	s_waitcnt lgkmcnt(0)
	v_cmp_ne_u32_e32 vcc, 0, v2
	;; [unrolled: 5-line block ×3, first 2 shown]
	s_and_b64 s[2:3], vcc, s[2:3]
	v_cndmask_b32_e64 v2, 0, 1, s[2:3]
	ds_bpermute_b32 v2, v11, v2
	s_xor_b64 s[2:3], s[2:3], -1
	s_waitcnt lgkmcnt(0)
	v_cmp_eq_u32_e32 vcc, 0, v2
	s_or_b64 s[2:3], vcc, s[2:3]
.LBB5_4:                                ;   in Loop: Header=BB5_5 Depth=1
	s_and_b64 s[8:9], exec, s[2:3]
	s_or_b64 s[4:5], s[8:9], s[4:5]
	v_mov_b32_e32 v2, s12
	s_mov_b32 s12, s47
	s_andn2_b64 exec, exec, s[4:5]
	s_cbranch_execz .LBB5_36
.LBB5_5:                                ; =>This Inner Loop Header: Depth=1
	s_add_i32 s47, s12, 0xffffff00
	s_or_b64 s[2:3], s[2:3], exec
	s_cmp_lt_i32 s47, 0
	s_cbranch_scc1 .LBB5_4
; %bb.6:                                ;   in Loop: Header=BB5_5 Depth=1
	s_lshr_b32 s2, s47, 1
	v_add_u32_e32 v2, s2, v0
	v_lshlrev_b64 v[4:5], 2, v[2:3]
	v_mov_b32_e32 v10, s43
	v_add_co_u32_e32 v4, vcc, s42, v4
	v_addc_co_u32_e32 v5, vcc, v10, v5, vcc
	global_load_dword v4, v[4:5], off
	s_mov_b64 s[8:9], 0
	s_waitcnt vmcnt(0)
	v_cmp_class_f16_e64 s[2:3], v4, s44
	v_and_b32_sdwa v4, s45, v4 dst_sel:DWORD dst_unused:UNUSED_PAD src0_sel:DWORD src1_sel:WORD_1
	v_cmp_eq_f16_e32 vcc, s46, v4
	s_and_b64 s[14:15], s[2:3], vcc
	s_and_saveexec_b64 s[2:3], s[14:15]
	s_cbranch_execz .LBB5_34
; %bb.7:                                ;   in Loop: Header=BB5_5 Depth=1
	v_add_u32_e32 v4, s13, v2
	v_ashrrev_i32_e32 v5, 31, v4
	v_lshlrev_b64 v[10:11], 2, v[4:5]
	v_mov_b32_e32 v2, s43
	v_add_co_u32_e32 v10, vcc, s42, v10
	v_addc_co_u32_e32 v11, vcc, v2, v11, vcc
	global_load_dword v2, v[10:11], off
	s_mov_b64 s[14:15], 0
	s_waitcnt vmcnt(0)
	v_cmp_class_f16_e64 s[16:17], v2, s44
	s_and_saveexec_b64 s[8:9], s[16:17]
	s_cbranch_execz .LBB5_33
; %bb.8:                                ;   in Loop: Header=BB5_5 Depth=1
	v_cmp_class_f16_sdwa s[18:19], v2, s44 src0_sel:WORD_1 src1_sel:DWORD
	s_mov_b64 s[16:17], 0
	s_and_saveexec_b64 s[14:15], s[18:19]
	s_cbranch_execz .LBB5_32
; %bb.9:                                ;   in Loop: Header=BB5_5 Depth=1
	v_add_u32_e32 v4, s13, v4
	v_ashrrev_i32_e32 v5, 31, v4
	v_lshlrev_b64 v[10:11], 2, v[4:5]
	v_mov_b32_e32 v2, s43
	v_add_co_u32_e32 v10, vcc, s42, v10
	v_addc_co_u32_e32 v11, vcc, v2, v11, vcc
	global_load_dword v2, v[10:11], off
	s_mov_b64 s[18:19], 0
	s_waitcnt vmcnt(0)
	v_cmp_class_f16_e64 s[20:21], v2, s44
	s_and_saveexec_b64 s[16:17], s[20:21]
	s_cbranch_execz .LBB5_31
; %bb.10:                               ;   in Loop: Header=BB5_5 Depth=1
	v_cmp_class_f16_sdwa s[22:23], v2, s44 src0_sel:WORD_1 src1_sel:DWORD
	s_mov_b64 s[20:21], 0
	s_and_saveexec_b64 s[18:19], s[22:23]
	s_cbranch_execz .LBB5_30
; %bb.11:                               ;   in Loop: Header=BB5_5 Depth=1
	v_add_u32_e32 v4, s13, v4
	v_ashrrev_i32_e32 v5, 31, v4
	v_lshlrev_b64 v[10:11], 2, v[4:5]
	v_mov_b32_e32 v2, s43
	v_add_co_u32_e32 v10, vcc, s42, v10
	v_addc_co_u32_e32 v11, vcc, v2, v11, vcc
	global_load_dword v2, v[10:11], off
	s_mov_b64 s[22:23], 0
	s_waitcnt vmcnt(0)
	v_cmp_class_f16_e64 s[24:25], v2, s44
	s_and_saveexec_b64 s[20:21], s[24:25]
	s_cbranch_execz .LBB5_29
; %bb.12:                               ;   in Loop: Header=BB5_5 Depth=1
	v_cmp_class_f16_sdwa s[26:27], v2, s44 src0_sel:WORD_1 src1_sel:DWORD
	s_mov_b64 s[24:25], 0
	s_and_saveexec_b64 s[22:23], s[26:27]
	s_cbranch_execz .LBB5_28
; %bb.13:                               ;   in Loop: Header=BB5_5 Depth=1
	v_add_u32_e32 v4, s13, v4
	v_ashrrev_i32_e32 v5, 31, v4
	v_lshlrev_b64 v[10:11], 2, v[4:5]
	v_mov_b32_e32 v2, s43
	v_add_co_u32_e32 v10, vcc, s42, v10
	v_addc_co_u32_e32 v11, vcc, v2, v11, vcc
	global_load_dword v2, v[10:11], off
	s_mov_b64 s[26:27], 0
	s_waitcnt vmcnt(0)
	v_cmp_class_f16_e64 s[28:29], v2, s44
	s_and_saveexec_b64 s[24:25], s[28:29]
	s_cbranch_execz .LBB5_27
; %bb.14:                               ;   in Loop: Header=BB5_5 Depth=1
	v_cmp_class_f16_sdwa s[30:31], v2, s44 src0_sel:WORD_1 src1_sel:DWORD
	s_mov_b64 s[28:29], 0
	s_and_saveexec_b64 s[26:27], s[30:31]
	s_cbranch_execz .LBB5_26
; %bb.15:                               ;   in Loop: Header=BB5_5 Depth=1
	v_add_u32_e32 v4, s13, v4
	v_ashrrev_i32_e32 v5, 31, v4
	v_lshlrev_b64 v[10:11], 2, v[4:5]
	v_mov_b32_e32 v2, s43
	v_add_co_u32_e32 v10, vcc, s42, v10
	v_addc_co_u32_e32 v11, vcc, v2, v11, vcc
	global_load_dword v2, v[10:11], off
	s_mov_b64 s[30:31], 0
	s_waitcnt vmcnt(0)
	v_cmp_class_f16_e64 s[34:35], v2, s44
	s_and_saveexec_b64 s[28:29], s[34:35]
	s_cbranch_execz .LBB5_25
; %bb.16:                               ;   in Loop: Header=BB5_5 Depth=1
	v_cmp_class_f16_sdwa s[36:37], v2, s44 src0_sel:WORD_1 src1_sel:DWORD
	s_mov_b64 s[34:35], 0
	s_and_saveexec_b64 s[30:31], s[36:37]
	s_cbranch_execz .LBB5_24
; %bb.17:                               ;   in Loop: Header=BB5_5 Depth=1
	v_add_u32_e32 v4, s13, v4
	v_ashrrev_i32_e32 v5, 31, v4
	v_lshlrev_b64 v[10:11], 2, v[4:5]
	v_mov_b32_e32 v2, s43
	v_add_co_u32_e32 v10, vcc, s42, v10
	v_addc_co_u32_e32 v11, vcc, v2, v11, vcc
	global_load_dword v2, v[10:11], off
	s_mov_b64 s[36:37], 0
	s_waitcnt vmcnt(0)
	v_cmp_class_f16_e64 s[38:39], v2, s44
	s_and_saveexec_b64 s[34:35], s[38:39]
	s_cbranch_execz .LBB5_23
; %bb.18:                               ;   in Loop: Header=BB5_5 Depth=1
	v_cmp_class_f16_sdwa s[40:41], v2, s44 src0_sel:WORD_1 src1_sel:DWORD
	s_mov_b64 s[38:39], 0
	s_and_saveexec_b64 s[36:37], s[40:41]
	s_cbranch_execz .LBB5_22
; %bb.19:                               ;   in Loop: Header=BB5_5 Depth=1
	v_add_u32_e32 v4, s13, v4
	v_ashrrev_i32_e32 v5, 31, v4
	v_lshlrev_b64 v[4:5], 2, v[4:5]
	v_mov_b32_e32 v2, s43
	v_add_co_u32_e32 v4, vcc, s42, v4
	v_addc_co_u32_e32 v5, vcc, v2, v5, vcc
	global_load_dword v2, v[4:5], off
	s_waitcnt vmcnt(0)
	v_cmp_class_f16_e64 s[48:49], v2, s44
	s_and_saveexec_b64 s[40:41], s[48:49]
; %bb.20:                               ;   in Loop: Header=BB5_5 Depth=1
	v_cmp_class_f16_sdwa s[38:39], v2, s44 src0_sel:WORD_1 src1_sel:DWORD
	s_and_b64 s[38:39], s[38:39], exec
; %bb.21:                               ;   in Loop: Header=BB5_5 Depth=1
	s_or_b64 exec, exec, s[40:41]
	s_and_b64 s[38:39], s[38:39], exec
.LBB5_22:                               ;   in Loop: Header=BB5_5 Depth=1
	s_or_b64 exec, exec, s[36:37]
	s_and_b64 s[36:37], s[38:39], exec
.LBB5_23:                               ;   in Loop: Header=BB5_5 Depth=1
	s_or_b64 exec, exec, s[34:35]
	s_and_b64 s[34:35], s[36:37], exec
.LBB5_24:                               ;   in Loop: Header=BB5_5 Depth=1
	s_or_b64 exec, exec, s[30:31]
	s_and_b64 s[30:31], s[34:35], exec
.LBB5_25:                               ;   in Loop: Header=BB5_5 Depth=1
	s_or_b64 exec, exec, s[28:29]
	s_and_b64 s[28:29], s[30:31], exec
.LBB5_26:                               ;   in Loop: Header=BB5_5 Depth=1
	s_or_b64 exec, exec, s[26:27]
	s_and_b64 s[26:27], s[28:29], exec
.LBB5_27:                               ;   in Loop: Header=BB5_5 Depth=1
	s_or_b64 exec, exec, s[24:25]
	s_and_b64 s[24:25], s[26:27], exec
.LBB5_28:                               ;   in Loop: Header=BB5_5 Depth=1
	s_or_b64 exec, exec, s[22:23]
	s_and_b64 s[22:23], s[24:25], exec
.LBB5_29:                               ;   in Loop: Header=BB5_5 Depth=1
	s_or_b64 exec, exec, s[20:21]
	s_and_b64 s[20:21], s[22:23], exec
.LBB5_30:                               ;   in Loop: Header=BB5_5 Depth=1
	s_or_b64 exec, exec, s[18:19]
	s_and_b64 s[18:19], s[20:21], exec
.LBB5_31:                               ;   in Loop: Header=BB5_5 Depth=1
	s_or_b64 exec, exec, s[16:17]
	s_and_b64 s[16:17], s[18:19], exec
.LBB5_32:                               ;   in Loop: Header=BB5_5 Depth=1
	s_or_b64 exec, exec, s[14:15]
	s_and_b64 s[14:15], s[16:17], exec
.LBB5_33:                               ;   in Loop: Header=BB5_5 Depth=1
	s_or_b64 exec, exec, s[8:9]
	s_and_b64 s[8:9], s[14:15], exec
.LBB5_34:                               ;   in Loop: Header=BB5_5 Depth=1
	s_or_b64 exec, exec, s[2:3]
	v_cmp_lt_i32_e32 vcc, v9, v8
	v_cndmask_b32_e32 v2, v7, v9, vcc
	v_cndmask_b32_e64 v4, 0, 1, s[8:9]
	v_lshlrev_b32_e32 v2, 2, v2
	ds_bpermute_b32 v4, v2, v4
	v_xor_b32_e32 v5, 8, v7
	s_waitcnt lgkmcnt(0)
	v_cmp_ne_u32_e32 vcc, 0, v4
	s_and_b64 s[2:3], s[8:9], vcc
	v_cmp_lt_i32_e32 vcc, v5, v8
	v_cndmask_b32_e32 v4, v7, v5, vcc
	v_cndmask_b32_e64 v10, 0, 1, s[2:3]
	v_lshlrev_b32_e32 v4, 2, v4
	ds_bpermute_b32 v5, v4, v10
	s_waitcnt lgkmcnt(0)
	v_cmp_ne_u32_e32 vcc, 0, v5
	v_xor_b32_e32 v5, 4, v7
	s_and_b64 s[2:3], vcc, s[2:3]
	v_cmp_lt_i32_e32 vcc, v5, v8
	v_cndmask_b32_e32 v5, v7, v5, vcc
	v_cndmask_b32_e64 v10, 0, 1, s[2:3]
	v_lshlrev_b32_e32 v5, 2, v5
	ds_bpermute_b32 v10, v5, v10
	s_waitcnt lgkmcnt(0)
	v_cmp_ne_u32_e32 vcc, 0, v10
	v_xor_b32_e32 v10, 2, v7
	s_and_b64 s[2:3], vcc, s[2:3]
	;; [unrolled: 9-line block ×3, first 2 shown]
	v_cmp_lt_i32_e32 vcc, v11, v8
	v_cndmask_b32_e32 v11, v7, v11, vcc
	v_cndmask_b32_e64 v12, 0, 1, s[2:3]
	v_lshlrev_b32_e32 v11, 2, v11
	ds_bpermute_b32 v12, v11, v12
	s_and_saveexec_b64 s[8:9], s[0:1]
	s_cbranch_execz .LBB5_3
; %bb.35:                               ;   in Loop: Header=BB5_5 Depth=1
	s_waitcnt lgkmcnt(0)
	v_cmp_ne_u32_e32 vcc, 0, v12
	s_and_b64 s[2:3], vcc, s[2:3]
	v_cndmask_b32_e64 v12, 0, 1, s[2:3]
	ds_write_b32 v1, v12
	s_branch .LBB5_3
.LBB5_36:
	s_or_b64 exec, exec, s[4:5]
	v_cmp_eq_u32_e32 vcc, 0, v0
	s_and_saveexec_b64 s[0:1], vcc
	s_cbranch_execz .LBB5_38
; %bb.37:
	s_mul_i32 s0, s33, s7
	s_add_i32 s0, s0, s6
	s_ashr_i32 s1, s0, 31
	s_lshl_b64 s[0:1], s[0:1], 2
	s_add_u32 s0, s10, s0
	s_addc_u32 s1, s11, s1
	v_mov_b32_e32 v0, 0
	global_store_dword v0, v2, s[0:1]
.LBB5_38:
	s_endpgm
	.section	.rodata,"a",@progbits
	.p2align	6, 0x0
	.amdhsa_kernel _ZL25flash_attn_mask_to_KV_maxILi8EEvPK7__half2Piiii
		.amdhsa_group_segment_fixed_size 128
		.amdhsa_private_segment_fixed_size 0
		.amdhsa_kernarg_size 288
		.amdhsa_user_sgpr_count 6
		.amdhsa_user_sgpr_private_segment_buffer 1
		.amdhsa_user_sgpr_dispatch_ptr 0
		.amdhsa_user_sgpr_queue_ptr 0
		.amdhsa_user_sgpr_kernarg_segment_ptr 1
		.amdhsa_user_sgpr_dispatch_id 0
		.amdhsa_user_sgpr_flat_scratch_init 0
		.amdhsa_user_sgpr_kernarg_preload_length 0
		.amdhsa_user_sgpr_kernarg_preload_offset 0
		.amdhsa_user_sgpr_private_segment_size 0
		.amdhsa_uses_dynamic_stack 0
		.amdhsa_system_sgpr_private_segment_wavefront_offset 0
		.amdhsa_system_sgpr_workgroup_id_x 1
		.amdhsa_system_sgpr_workgroup_id_y 1
		.amdhsa_system_sgpr_workgroup_id_z 0
		.amdhsa_system_sgpr_workgroup_info 0
		.amdhsa_system_vgpr_workitem_id 0
		.amdhsa_next_free_vgpr 13
		.amdhsa_next_free_sgpr 50
		.amdhsa_accum_offset 16
		.amdhsa_reserve_vcc 1
		.amdhsa_reserve_flat_scratch 0
		.amdhsa_float_round_mode_32 0
		.amdhsa_float_round_mode_16_64 0
		.amdhsa_float_denorm_mode_32 3
		.amdhsa_float_denorm_mode_16_64 3
		.amdhsa_dx10_clamp 1
		.amdhsa_ieee_mode 1
		.amdhsa_fp16_overflow 0
		.amdhsa_tg_split 0
		.amdhsa_exception_fp_ieee_invalid_op 0
		.amdhsa_exception_fp_denorm_src 0
		.amdhsa_exception_fp_ieee_div_zero 0
		.amdhsa_exception_fp_ieee_overflow 0
		.amdhsa_exception_fp_ieee_underflow 0
		.amdhsa_exception_fp_ieee_inexact 0
		.amdhsa_exception_int_div_zero 0
	.end_amdhsa_kernel
	.section	.text._ZL25flash_attn_mask_to_KV_maxILi8EEvPK7__half2Piiii,"axG",@progbits,_ZL25flash_attn_mask_to_KV_maxILi8EEvPK7__half2Piiii,comdat
.Lfunc_end5:
	.size	_ZL25flash_attn_mask_to_KV_maxILi8EEvPK7__half2Piiii, .Lfunc_end5-_ZL25flash_attn_mask_to_KV_maxILi8EEvPK7__half2Piiii
                                        ; -- End function
	.section	.AMDGPU.csdata,"",@progbits
; Kernel info:
; codeLenInByte = 1424
; NumSgprs: 54
; NumVgprs: 13
; NumAgprs: 0
; TotalNumVgprs: 13
; ScratchSize: 0
; MemoryBound: 0
; FloatMode: 240
; IeeeMode: 1
; LDSByteSize: 128 bytes/workgroup (compile time only)
; SGPRBlocks: 6
; VGPRBlocks: 1
; NumSGPRsForWavesPerEU: 54
; NumVGPRsForWavesPerEU: 13
; AccumOffset: 16
; Occupancy: 8
; WaveLimiterHint : 0
; COMPUTE_PGM_RSRC2:SCRATCH_EN: 0
; COMPUTE_PGM_RSRC2:USER_SGPR: 6
; COMPUTE_PGM_RSRC2:TRAP_HANDLER: 0
; COMPUTE_PGM_RSRC2:TGID_X_EN: 1
; COMPUTE_PGM_RSRC2:TGID_Y_EN: 1
; COMPUTE_PGM_RSRC2:TGID_Z_EN: 0
; COMPUTE_PGM_RSRC2:TIDIG_COMP_CNT: 0
; COMPUTE_PGM_RSRC3_GFX90A:ACCUM_OFFSET: 3
; COMPUTE_PGM_RSRC3_GFX90A:TG_SPLIT: 0
	.section	.text._ZL33flash_attn_stream_k_fixup_uniformILi64ELi8ELi2EEvPfPK15HIP_vector_typeIfLj2EEiiiiiiS1_IjLj3EES5_S5_,"axG",@progbits,_ZL33flash_attn_stream_k_fixup_uniformILi64ELi8ELi2EEvPfPK15HIP_vector_typeIfLj2EEiiiiiiS1_IjLj3EES5_S5_,comdat
	.globl	_ZL33flash_attn_stream_k_fixup_uniformILi64ELi8ELi2EEvPfPK15HIP_vector_typeIfLj2EEiiiiiiS1_IjLj3EES5_S5_ ; -- Begin function _ZL33flash_attn_stream_k_fixup_uniformILi64ELi8ELi2EEvPfPK15HIP_vector_typeIfLj2EEiiiiiiS1_IjLj3EES5_S5_
	.p2align	8
	.type	_ZL33flash_attn_stream_k_fixup_uniformILi64ELi8ELi2EEvPfPK15HIP_vector_typeIfLj2EEiiiiiiS1_IjLj3EES5_S5_,@function
_ZL33flash_attn_stream_k_fixup_uniformILi64ELi8ELi2EEvPfPK15HIP_vector_typeIfLj2EEiiiiiiS1_IjLj3EES5_S5_: ; @_ZL33flash_attn_stream_k_fixup_uniformILi64ELi8ELi2EEvPfPK15HIP_vector_typeIfLj2EEiiiiiiS1_IjLj3EES5_S5_
; %bb.0:
	s_load_dwordx8 s[12:19], s[4:5], 0x1c
	s_load_dwordx2 s[10:11], s[4:5], 0x10
	s_load_dwordx4 s[0:3], s[4:5], 0x3c
	s_waitcnt lgkmcnt(0)
	s_mul_hi_u32 s9, s15, s6
	s_add_i32 s9, s6, s9
	s_lshr_b32 s9, s9, s16
	s_mul_i32 s15, s9, s17
	s_sub_i32 s15, s6, s15
	s_mul_hi_u32 s16, s15, s18
	s_add_i32 s16, s15, s16
	s_lshr_b32 s16, s16, s19
	s_mul_i32 s0, s16, s0
	s_sub_i32 s0, s15, s0
	;; [unrolled: 5-line block ×3, first 2 shown]
	s_lshl_b32 s0, s17, 3
	s_lshl_b32 s15, s1, 1
	s_add_i32 s0, s0, s7
	s_cmp_lt_i32 s0, s10
	s_cselect_b64 s[0:1], -1, 0
	s_add_i32 s2, s15, s8
	s_cmp_lt_i32 s2, s13
	s_cselect_b64 s[2:3], -1, 0
	s_and_b64 s[0:1], s[0:1], s[2:3]
	s_andn2_b64 vcc, exec, s[0:1]
	s_cbranch_vccnz .LBB6_6
; %bb.1:
	s_load_dwordx4 s[0:3], s[4:5], 0x0
	s_mul_i32 s4, s9, s10
	s_add_i32 s4, s4, s7
	s_mul_i32 s4, s4, s11
	s_mul_i32 s16, s16, s13
	s_add_i32 s4, s4, s8
	s_add_i32 s4, s4, s16
	s_mul_i32 s5, s11, s17
	s_add_i32 s4, s4, s15
	s_lshl_b32 s5, s5, 9
	s_lshl_b32 s4, s4, 6
	s_add_i32 s5, s5, s4
	v_or_b32_e32 v2, s5, v0
	v_ashrrev_i32_e32 v3, 31, v2
	v_lshlrev_b64 v[2:3], 2, v[2:3]
	s_waitcnt lgkmcnt(0)
	v_mov_b32_e32 v1, s1
	v_add_co_u32_e32 v2, vcc, s0, v2
	v_addc_co_u32_e32 v3, vcc, v1, v3, vcc
	global_load_dword v8, v[2:3], off
	s_mul_i32 s9, s6, s14
	s_lshl_b32 s4, s7, 1
	s_add_i32 s11, s9, s14
	s_add_i32 s0, s4, s8
	s_lshl_b32 s1, s11, 4
	s_add_i32 s0, s0, s1
	s_add_i32 s0, s0, -16
	s_ashr_i32 s1, s0, 31
	s_lshl_b64 s[0:1], s[0:1], 3
	s_add_u32 s0, s2, s0
	s_addc_u32 s1, s3, s1
	s_load_dword s5, s[0:1], 0x4
	s_add_i32 s10, s11, -2
	s_cmp_lt_i32 s10, s9
	s_cbranch_scc1 .LBB6_4
; %bb.2:
	s_lshl_b32 s16, s12, 6
	s_ashr_i32 s17, s16, 31
	s_lshl_b64 s[16:17], s[16:17], 2
	s_add_u32 s10, s2, s16
	s_addc_u32 s13, s3, s17
	s_add_i32 s6, s6, 1
	s_load_dword s0, s[0:1], 0x0
	s_mul_i32 s1, s14, s6
	s_lshl_b32 s7, s7, 7
	s_lshl_b32 s14, s8, 6
	;; [unrolled: 1-line block ×3, first 2 shown]
	s_add_i32 s7, s14, s7
	s_lshl_b32 s1, s1, 4
	s_add_i32 s7, s7, s6
	s_add_i32 s1, s8, s1
	s_lshl_b32 s6, s12, 4
	s_add_i32 s1, s1, s6
	v_or_b32_e32 v0, s7, v0
	s_add_i32 s1, s1, s4
	s_add_i32 s11, s11, -1
	v_add_u32_e32 v0, 0xfffff800, v0
	s_sub_i32 s4, s1, 32
	s_waitcnt lgkmcnt(0)
	v_mov_b32_e32 v7, s5
	v_mov_b32_e32 v6, s0
	;; [unrolled: 1-line block ×3, first 2 shown]
	s_mov_b32 s6, 0x3fb8aa3b
	s_mov_b32 s7, 0xc2ce8ed0
	;; [unrolled: 1-line block ×3, first 2 shown]
	v_mov_b32_e32 v5, 0x7f800000
	s_mov_b32 s12, 0xc1a00000
.LBB6_3:                                ; =>This Inner Loop Header: Depth=1
	v_ashrrev_i32_e32 v1, 31, v0
	v_lshlrev_b64 v[10:11], 2, v[0:1]
	v_add_co_u32_e32 v10, vcc, s10, v10
	v_addc_co_u32_e32 v11, vcc, v4, v11, vcc
	global_load_dword v1, v[10:11], off
	s_ashr_i32 s5, s4, 31
	s_lshl_b64 s[0:1], s[4:5], 3
	s_add_u32 s0, s2, s0
	s_addc_u32 s1, s3, s1
	s_load_dwordx2 s[14:15], s[0:1], 0x0
	s_waitcnt vmcnt(1)
	v_mov_b32_e32 v9, v8
	v_max_f32_e32 v8, v6, v6
	v_mov_b32_e32 v10, v7
	s_add_i32 s11, s11, -1
	s_waitcnt lgkmcnt(0)
	v_max_f32_e64 v7, s14, s14
	v_max_f32_e32 v7, v8, v7
	v_sub_f32_e32 v11, s14, v7
	v_sub_f32_e32 v8, v6, v7
	v_mul_f32_e32 v12, 0x3fb8aa3b, v11
	v_mov_b32_e32 v6, v7
	v_mul_f32_e32 v7, 0x3fb8aa3b, v8
	v_fma_f32 v15, v11, s6, -v12
	v_rndne_f32_e32 v16, v12
	v_fma_f32 v13, v8, s6, -v7
	v_rndne_f32_e32 v14, v7
	v_fmac_f32_e32 v15, 0x32a5705f, v11
	v_sub_f32_e32 v12, v12, v16
	v_fmac_f32_e32 v13, 0x32a5705f, v8
	v_sub_f32_e32 v7, v7, v14
	v_add_f32_e32 v12, v12, v15
	v_cvt_i32_f32_e32 v16, v16
	v_add_f32_e32 v7, v7, v13
	v_exp_f32_e32 v12, v12
	v_cvt_i32_f32_e32 v14, v14
	v_exp_f32_e32 v7, v7
	v_cmp_ngt_f32_e32 vcc, s7, v11
	v_ldexp_f32 v12, v12, v16
	v_cmp_ngt_f32_e64 s[0:1], s7, v8
	v_ldexp_f32 v7, v7, v14
	v_cndmask_b32_e32 v12, 0, v12, vcc
	v_cmp_nlt_f32_e32 vcc, s8, v11
	v_cndmask_b32_e64 v7, 0, v7, s[0:1]
	v_cmp_nlt_f32_e64 s[0:1], s8, v8
	v_cndmask_b32_e32 v12, v5, v12, vcc
	v_cmp_le_f32_e32 vcc, s12, v11
	v_cndmask_b32_e64 v7, v5, v7, s[0:1]
	v_cmp_le_f32_e64 s[0:1], s12, v8
	v_cndmask_b32_e32 v8, 0, v12, vcc
	s_add_i32 s4, s4, -16
	v_cndmask_b32_e64 v11, 0, v7, s[0:1]
	v_mul_f32_e32 v7, s15, v8
	v_add_u32_e32 v0, 0xfffffc00, v0
	s_cmp_le_i32 s11, s9
	v_fmac_f32_e32 v7, v10, v11
	s_waitcnt vmcnt(0)
	v_mul_f32_e32 v8, v1, v8
	v_fmac_f32_e32 v8, v9, v11
	s_cbranch_scc0 .LBB6_3
	s_branch .LBB6_5
.LBB6_4:
	s_waitcnt lgkmcnt(0)
	v_mov_b32_e32 v7, s5
.LBB6_5:
	s_waitcnt vmcnt(0)
	v_div_scale_f32 v0, s[0:1], v7, v7, v8
	v_rcp_f32_e32 v1, v0
	v_div_scale_f32 v4, vcc, v8, v7, v8
	v_fma_f32 v5, -v0, v1, 1.0
	v_fmac_f32_e32 v1, v5, v1
	v_mul_f32_e32 v5, v4, v1
	v_fma_f32 v6, -v0, v5, v4
	v_fmac_f32_e32 v5, v6, v1
	v_fma_f32 v0, -v0, v5, v4
	v_div_fmas_f32 v0, v0, v1, v5
	v_div_fixup_f32 v0, v0, v7, v8
	global_store_dword v[2:3], v0, off
.LBB6_6:
	s_endpgm
	.section	.rodata,"a",@progbits
	.p2align	6, 0x0
	.amdhsa_kernel _ZL33flash_attn_stream_k_fixup_uniformILi64ELi8ELi2EEvPfPK15HIP_vector_typeIfLj2EEiiiiiiS1_IjLj3EES5_S5_
		.amdhsa_group_segment_fixed_size 0
		.amdhsa_private_segment_fixed_size 0
		.amdhsa_kernarg_size 76
		.amdhsa_user_sgpr_count 6
		.amdhsa_user_sgpr_private_segment_buffer 1
		.amdhsa_user_sgpr_dispatch_ptr 0
		.amdhsa_user_sgpr_queue_ptr 0
		.amdhsa_user_sgpr_kernarg_segment_ptr 1
		.amdhsa_user_sgpr_dispatch_id 0
		.amdhsa_user_sgpr_flat_scratch_init 0
		.amdhsa_user_sgpr_kernarg_preload_length 0
		.amdhsa_user_sgpr_kernarg_preload_offset 0
		.amdhsa_user_sgpr_private_segment_size 0
		.amdhsa_uses_dynamic_stack 0
		.amdhsa_system_sgpr_private_segment_wavefront_offset 0
		.amdhsa_system_sgpr_workgroup_id_x 1
		.amdhsa_system_sgpr_workgroup_id_y 1
		.amdhsa_system_sgpr_workgroup_id_z 1
		.amdhsa_system_sgpr_workgroup_info 0
		.amdhsa_system_vgpr_workitem_id 0
		.amdhsa_next_free_vgpr 17
		.amdhsa_next_free_sgpr 20
		.amdhsa_accum_offset 20
		.amdhsa_reserve_vcc 1
		.amdhsa_reserve_flat_scratch 0
		.amdhsa_float_round_mode_32 0
		.amdhsa_float_round_mode_16_64 0
		.amdhsa_float_denorm_mode_32 3
		.amdhsa_float_denorm_mode_16_64 3
		.amdhsa_dx10_clamp 1
		.amdhsa_ieee_mode 1
		.amdhsa_fp16_overflow 0
		.amdhsa_tg_split 0
		.amdhsa_exception_fp_ieee_invalid_op 0
		.amdhsa_exception_fp_denorm_src 0
		.amdhsa_exception_fp_ieee_div_zero 0
		.amdhsa_exception_fp_ieee_overflow 0
		.amdhsa_exception_fp_ieee_underflow 0
		.amdhsa_exception_fp_ieee_inexact 0
		.amdhsa_exception_int_div_zero 0
	.end_amdhsa_kernel
	.section	.text._ZL33flash_attn_stream_k_fixup_uniformILi64ELi8ELi2EEvPfPK15HIP_vector_typeIfLj2EEiiiiiiS1_IjLj3EES5_S5_,"axG",@progbits,_ZL33flash_attn_stream_k_fixup_uniformILi64ELi8ELi2EEvPfPK15HIP_vector_typeIfLj2EEiiiiiiS1_IjLj3EES5_S5_,comdat
.Lfunc_end6:
	.size	_ZL33flash_attn_stream_k_fixup_uniformILi64ELi8ELi2EEvPfPK15HIP_vector_typeIfLj2EEiiiiiiS1_IjLj3EES5_S5_, .Lfunc_end6-_ZL33flash_attn_stream_k_fixup_uniformILi64ELi8ELi2EEvPfPK15HIP_vector_typeIfLj2EEiiiiiiS1_IjLj3EES5_S5_
                                        ; -- End function
	.section	.AMDGPU.csdata,"",@progbits
; Kernel info:
; codeLenInByte = 856
; NumSgprs: 24
; NumVgprs: 17
; NumAgprs: 0
; TotalNumVgprs: 17
; ScratchSize: 0
; MemoryBound: 0
; FloatMode: 240
; IeeeMode: 1
; LDSByteSize: 0 bytes/workgroup (compile time only)
; SGPRBlocks: 2
; VGPRBlocks: 2
; NumSGPRsForWavesPerEU: 24
; NumVGPRsForWavesPerEU: 17
; AccumOffset: 20
; Occupancy: 8
; WaveLimiterHint : 0
; COMPUTE_PGM_RSRC2:SCRATCH_EN: 0
; COMPUTE_PGM_RSRC2:USER_SGPR: 6
; COMPUTE_PGM_RSRC2:TRAP_HANDLER: 0
; COMPUTE_PGM_RSRC2:TGID_X_EN: 1
; COMPUTE_PGM_RSRC2:TGID_Y_EN: 1
; COMPUTE_PGM_RSRC2:TGID_Z_EN: 1
; COMPUTE_PGM_RSRC2:TIDIG_COMP_CNT: 0
; COMPUTE_PGM_RSRC3_GFX90A:ACCUM_OFFSET: 4
; COMPUTE_PGM_RSRC3_GFX90A:TG_SPLIT: 0
	.section	.text._ZL33flash_attn_stream_k_fixup_generalILi64ELi8ELi2EEvPfPK15HIP_vector_typeIfLj2EEiiiiS1_IjLj3EES5_S5_S5_,"axG",@progbits,_ZL33flash_attn_stream_k_fixup_generalILi64ELi8ELi2EEvPfPK15HIP_vector_typeIfLj2EEiiiiS1_IjLj3EES5_S5_S5_,comdat
	.globl	_ZL33flash_attn_stream_k_fixup_generalILi64ELi8ELi2EEvPfPK15HIP_vector_typeIfLj2EEiiiiS1_IjLj3EES5_S5_S5_ ; -- Begin function _ZL33flash_attn_stream_k_fixup_generalILi64ELi8ELi2EEvPfPK15HIP_vector_typeIfLj2EEiiiiS1_IjLj3EES5_S5_S5_
	.p2align	8
	.type	_ZL33flash_attn_stream_k_fixup_generalILi64ELi8ELi2EEvPfPK15HIP_vector_typeIfLj2EEiiiiS1_IjLj3EES5_S5_S5_,@function
_ZL33flash_attn_stream_k_fixup_generalILi64ELi8ELi2EEvPfPK15HIP_vector_typeIfLj2EEiiiiS1_IjLj3EES5_S5_S5_: ; @_ZL33flash_attn_stream_k_fixup_generalILi64ELi8ELi2EEvPfPK15HIP_vector_typeIfLj2EEiiiiS1_IjLj3EES5_S5_S5_
; %bb.0:
	s_load_dwordx4 s[12:15], s[4:5], 0x10
	s_load_dword s9, s[4:5], 0x50
	s_mov_b32 s2, 0
	s_waitcnt lgkmcnt(0)
	s_mul_hi_i32 s3, s15, s6
	s_cmp_lg_u64 s[2:3], 0
	s_mul_i32 s2, s15, s6
	s_cbranch_scc0 .LBB7_21
; %bb.1:
	v_cvt_f32_u32_e32 v1, s9
	v_cvt_f32_ubyte0_e32 v2, 0
	s_sub_u32 s10, 0, s9
	s_subb_u32 s11, 0, 0
	v_madmk_f32 v1, v2, 0x4f800000, v1
	v_rcp_f32_e32 v1, v1
	v_mul_f32_e32 v1, 0x5f7ffffc, v1
	v_mul_f32_e32 v2, 0x2f800000, v1
	v_trunc_f32_e32 v2, v2
	v_madmk_f32 v1, v2, 0xcf800000, v1
	v_cvt_u32_f32_e32 v2, v2
	v_cvt_u32_f32_e32 v1, v1
	v_readfirstlane_b32 s16, v2
	v_readfirstlane_b32 s17, v1
	s_mul_i32 s18, s10, s16
	s_mul_hi_u32 s20, s10, s17
	s_mul_i32 s19, s11, s17
	s_add_i32 s18, s20, s18
	s_add_i32 s18, s18, s19
	s_mul_i32 s21, s10, s17
	s_mul_hi_u32 s19, s17, s18
	s_mul_i32 s20, s17, s18
	s_mul_hi_u32 s17, s17, s21
	s_add_u32 s17, s17, s20
	s_addc_u32 s19, 0, s19
	s_mul_hi_u32 s22, s16, s21
	s_mul_i32 s21, s16, s21
	s_add_u32 s17, s17, s21
	s_mul_hi_u32 s20, s16, s18
	s_addc_u32 s17, s19, s22
	s_addc_u32 s19, s20, 0
	s_mul_i32 s18, s16, s18
	s_add_u32 s17, s17, s18
	s_addc_u32 s18, 0, s19
	v_add_co_u32_e32 v1, vcc, s17, v1
	s_cmp_lg_u64 vcc, 0
	s_addc_u32 s16, s16, s18
	v_readfirstlane_b32 s18, v1
	s_mul_i32 s17, s10, s16
	s_mul_hi_u32 s19, s10, s18
	s_add_i32 s17, s19, s17
	s_mul_i32 s11, s11, s18
	s_add_i32 s17, s17, s11
	s_mul_i32 s10, s10, s18
	s_mul_hi_u32 s19, s16, s10
	s_mul_i32 s20, s16, s10
	s_mul_i32 s22, s18, s17
	s_mul_hi_u32 s10, s18, s10
	s_mul_hi_u32 s21, s18, s17
	s_add_u32 s10, s10, s22
	s_addc_u32 s18, 0, s21
	s_add_u32 s10, s10, s20
	s_mul_hi_u32 s11, s16, s17
	s_addc_u32 s10, s18, s19
	s_addc_u32 s11, s11, 0
	s_mul_i32 s17, s16, s17
	s_add_u32 s10, s10, s17
	s_addc_u32 s11, 0, s11
	v_add_co_u32_e32 v1, vcc, s10, v1
	s_cmp_lg_u64 vcc, 0
	s_addc_u32 s18, s16, s11
	s_ashr_i32 s10, s3, 31
	s_add_u32 s16, s2, s10
	s_mov_b32 s11, s10
	s_addc_u32 s17, s3, s10
	s_xor_b64 s[16:17], s[16:17], s[10:11]
	v_readfirstlane_b32 s20, v1
	s_mul_i32 s19, s16, s18
	s_mul_hi_u32 s21, s16, s20
	s_mul_hi_u32 s3, s16, s18
	s_add_u32 s19, s21, s19
	s_addc_u32 s3, 0, s3
	s_mul_hi_u32 s22, s17, s20
	s_mul_i32 s20, s17, s20
	s_add_u32 s19, s19, s20
	s_mul_hi_u32 s21, s17, s18
	s_addc_u32 s3, s3, s22
	s_addc_u32 s19, s21, 0
	s_mul_i32 s18, s17, s18
	s_add_u32 s3, s3, s18
	s_addc_u32 s18, 0, s19
	s_add_u32 s19, s3, 1
	s_addc_u32 s20, s18, 0
	s_add_u32 s21, s3, 2
	s_mul_i32 s23, s9, s18
	s_mul_hi_u32 s24, s9, s3
	s_addc_u32 s22, s18, 0
	s_add_i32 s24, s24, s23
	s_mul_i32 s23, s9, s3
	v_mov_b32_e32 v1, s23
	v_sub_co_u32_e32 v1, vcc, s16, v1
	s_cmp_lg_u64 vcc, 0
	s_subb_u32 s16, s17, s24
	v_subrev_co_u32_e32 v2, vcc, s9, v1
	s_cmp_lg_u64 vcc, 0
	s_subb_u32 s17, s16, 0
	v_readfirstlane_b32 s23, v2
	s_cmp_ge_u32 s23, s9
	s_cselect_b32 s23, -1, 0
	s_cmp_eq_u32 s17, 0
	s_cselect_b32 s17, s23, -1
	s_cmp_lg_u32 s17, 0
	s_cselect_b32 s17, s22, s20
	v_readfirstlane_b32 s20, v1
	s_cselect_b32 s19, s21, s19
	s_cmp_ge_u32 s20, s9
	s_cselect_b32 s20, -1, 0
	s_cmp_eq_u32 s16, 0
	s_cselect_b32 s16, s20, -1
	s_cmp_lg_u32 s16, 0
	s_cselect_b32 s17, s17, s18
	s_cselect_b32 s16, s19, s3
	s_xor_b64 s[16:17], s[16:17], s[10:11]
	s_sub_u32 s20, s16, s10
	s_load_dwordx4 s[16:19], s[4:5], 0x44
	s_cbranch_execnz .LBB7_3
.LBB7_2:
	v_cvt_f32_u32_e32 v1, s9
	s_sub_i32 s0, 0, s9
	v_rcp_iflag_f32_e32 v1, v1
	v_mul_f32_e32 v1, 0x4f7ffffe, v1
	v_cvt_u32_f32_e32 v1, v1
	v_readfirstlane_b32 s1, v1
	s_mul_i32 s0, s0, s1
	s_mul_hi_u32 s0, s1, s0
	s_add_i32 s1, s1, s0
	s_mul_hi_u32 s0, s2, s1
	s_mul_i32 s3, s0, s9
	s_sub_i32 s2, s2, s3
	s_add_i32 s1, s0, 1
	s_sub_i32 s3, s2, s9
	s_cmp_ge_u32 s2, s9
	s_cselect_b32 s0, s1, s0
	s_cselect_b32 s2, s3, s2
	s_add_i32 s1, s0, 1
	s_cmp_ge_u32 s2, s9
	s_cselect_b32 s20, s1, s0
.LBB7_3:
	s_add_i32 s0, s6, 1
	s_mul_hi_i32 s3, s15, s0
	s_mov_b32 s2, 0
	s_cmp_lg_u64 s[2:3], 0
	s_mul_i32 s2, s15, s0
	s_cbranch_scc0 .LBB7_22
; %bb.4:
	v_cvt_f32_u32_e32 v1, s9
	v_cvt_f32_ubyte0_e32 v2, 0
	s_sub_u32 s10, 0, s9
	s_subb_u32 s11, 0, 0
	v_madmk_f32 v1, v2, 0x4f800000, v1
	v_rcp_f32_e32 v1, v1
	v_mul_f32_e32 v1, 0x5f7ffffc, v1
	v_mul_f32_e32 v2, 0x2f800000, v1
	v_trunc_f32_e32 v2, v2
	v_madmk_f32 v1, v2, 0xcf800000, v1
	v_cvt_u32_f32_e32 v2, v2
	v_cvt_u32_f32_e32 v1, v1
	s_waitcnt lgkmcnt(0)
	v_readfirstlane_b32 s19, v2
	v_readfirstlane_b32 s21, v1
	s_mul_i32 s22, s10, s19
	s_mul_hi_u32 s24, s10, s21
	s_mul_i32 s23, s11, s21
	s_add_i32 s22, s24, s22
	s_add_i32 s22, s22, s23
	s_mul_i32 s25, s10, s21
	s_mul_hi_u32 s23, s21, s22
	s_mul_i32 s24, s21, s22
	s_mul_hi_u32 s21, s21, s25
	s_add_u32 s21, s21, s24
	s_addc_u32 s23, 0, s23
	s_mul_hi_u32 s26, s19, s25
	s_mul_i32 s25, s19, s25
	s_add_u32 s21, s21, s25
	s_mul_hi_u32 s24, s19, s22
	s_addc_u32 s21, s23, s26
	s_addc_u32 s23, s24, 0
	s_mul_i32 s22, s19, s22
	s_add_u32 s21, s21, s22
	s_addc_u32 s22, 0, s23
	v_add_co_u32_e32 v1, vcc, s21, v1
	s_cmp_lg_u64 vcc, 0
	s_addc_u32 s19, s19, s22
	v_readfirstlane_b32 s22, v1
	s_mul_i32 s21, s10, s19
	s_mul_hi_u32 s23, s10, s22
	s_add_i32 s21, s23, s21
	s_mul_i32 s11, s11, s22
	s_add_i32 s21, s21, s11
	s_mul_i32 s10, s10, s22
	s_mul_hi_u32 s23, s19, s10
	s_mul_i32 s24, s19, s10
	s_mul_i32 s26, s22, s21
	s_mul_hi_u32 s10, s22, s10
	s_mul_hi_u32 s25, s22, s21
	s_add_u32 s10, s10, s26
	s_addc_u32 s22, 0, s25
	s_add_u32 s10, s10, s24
	s_mul_hi_u32 s11, s19, s21
	s_addc_u32 s10, s22, s23
	s_addc_u32 s11, s11, 0
	s_mul_i32 s21, s19, s21
	s_add_u32 s10, s10, s21
	s_addc_u32 s11, 0, s11
	v_add_co_u32_e32 v1, vcc, s10, v1
	s_cmp_lg_u64 vcc, 0
	s_addc_u32 s19, s19, s11
	s_ashr_i32 s10, s3, 31
	s_add_u32 s22, s2, s10
	s_mov_b32 s11, s10
	s_addc_u32 s23, s3, s10
	s_xor_b64 s[22:23], s[22:23], s[10:11]
	v_readfirstlane_b32 s21, v1
	s_mul_i32 s11, s22, s19
	s_mul_hi_u32 s24, s22, s21
	s_mul_hi_u32 s3, s22, s19
	s_add_u32 s11, s24, s11
	s_addc_u32 s3, 0, s3
	s_mul_hi_u32 s25, s23, s21
	s_mul_i32 s21, s23, s21
	s_add_u32 s11, s11, s21
	s_mul_hi_u32 s24, s23, s19
	s_addc_u32 s3, s3, s25
	s_addc_u32 s11, s24, 0
	s_mul_i32 s19, s23, s19
	s_add_u32 s3, s3, s19
	s_addc_u32 s11, 0, s11
	s_mul_i32 s11, s9, s11
	s_mul_hi_u32 s24, s9, s3
	s_add_i32 s24, s24, s11
	s_mul_i32 s11, s9, s3
	v_mov_b32_e32 v1, s11
	s_add_u32 s19, s3, 1
	s_add_u32 s21, s3, 2
	v_sub_co_u32_e32 v1, vcc, s22, v1
	s_cmp_lg_u64 vcc, 0
	s_subb_u32 s11, s23, s24
	v_subrev_co_u32_e32 v2, vcc, s9, v1
	s_cmp_lg_u64 vcc, 0
	s_subb_u32 s22, s11, 0
	v_cmp_le_u32_e32 vcc, s9, v2
	s_cmp_eq_u32 s22, 0
	v_cndmask_b32_e64 v2, 0, -1, vcc
	s_cselect_b64 vcc, -1, 0
	v_cndmask_b32_e32 v2, -1, v2, vcc
	v_mov_b32_e32 v3, s19
	v_mov_b32_e32 v4, s21
	v_cmp_ne_u32_e32 vcc, 0, v2
	v_cndmask_b32_e32 v2, v3, v4, vcc
	v_cmp_le_u32_e32 vcc, s9, v1
	s_cmp_eq_u32 s11, 0
	v_cndmask_b32_e64 v1, 0, -1, vcc
	s_cselect_b64 vcc, -1, 0
	v_cndmask_b32_e32 v1, -1, v1, vcc
	v_mov_b32_e32 v3, s3
	v_cmp_ne_u32_e32 vcc, 0, v1
	v_cndmask_b32_e32 v1, v3, v2, vcc
	v_xor_b32_e32 v1, s10, v1
	v_subrev_co_u32_e32 v2, vcc, s10, v1
	s_cbranch_execnz .LBB7_6
.LBB7_5:
	v_cvt_f32_u32_e32 v1, s9
	s_sub_i32 s0, 0, s9
	s_mov_b32 s1, 0
	v_rcp_iflag_f32_e32 v1, v1
	v_mul_f32_e32 v1, 0x4f7ffffe, v1
	v_cvt_u32_f32_e32 v1, v1
	v_readfirstlane_b32 s3, v1
	s_mul_i32 s0, s0, s3
	s_mul_hi_u32 s0, s3, s0
	s_add_i32 s3, s3, s0
	s_mul_hi_u32 s0, s2, s3
	s_mul_i32 s10, s0, s9
	s_sub_i32 s2, s2, s10
	s_add_i32 s3, s0, 1
	s_sub_i32 s10, s2, s9
	s_cmp_ge_u32 s2, s9
	s_cselect_b32 s0, s3, s0
	s_cselect_b32 s2, s10, s2
	s_add_i32 s3, s0, 1
	s_cmp_ge_u32 s2, s9
	s_cselect_b32 s0, s3, s0
	v_pk_mov_b32 v[2:3], s[0:1], s[0:1] op_sel:[0,1]
.LBB7_6:
	s_waitcnt lgkmcnt(0)
	s_mul_hi_u32 s0, s20, s16
	s_add_i32 s0, s0, s20
	v_mul_hi_u32 v1, v2, s16
	s_lshr_b32 s19, s0, s17
	v_add_u32_e32 v1, v1, v2
	s_mul_i32 s0, s19, s18
	v_lshrrev_b32_e32 v1, s17, v1
	s_cmp_eq_u32 s0, s20
	v_cmp_eq_u32_e64 s[0:1], s19, v1
	v_mul_lo_u32 v1, v1, s18
	v_cmp_eq_u32_e32 vcc, s20, v2
	s_cselect_b64 s[10:11], -1, 0
	v_cmp_ne_u32_e64 s[2:3], v1, v2
	s_and_b64 s[0:1], s[0:1], s[2:3]
	s_or_b64 s[2:3], vcc, s[10:11]
	s_or_b64 s[0:1], s[2:3], s[0:1]
	s_and_b64 vcc, exec, s[0:1]
	s_cbranch_vccnz .LBB7_24
; %bb.7:
	s_load_dwordx8 s[24:31], s[4:5], 0x20
	s_load_dword s0, s[4:5], 0x40
	s_mov_b32 s10, 0
	s_waitcnt lgkmcnt(0)
	s_mul_hi_u32 s1, s20, s24
	s_add_i32 s1, s1, s20
	s_lshr_b32 s11, s1, s25
	s_mul_i32 s1, s11, s26
	s_sub_i32 s1, s20, s1
	s_mul_hi_u32 s2, s1, s27
	s_add_i32 s2, s1, s2
	s_lshr_b32 s24, s2, s28
	s_mul_i32 s2, s24, s29
	s_sub_i32 s1, s1, s2
	;; [unrolled: 5-line block ×3, first 2 shown]
	s_mul_hi_u32 s1, s0, s16
	s_add_i32 s0, s0, s1
	s_lshr_b32 s26, s0, s17
	s_lshl_b32 s0, s26, 3
	s_lshl_b32 s25, s2, 1
	s_add_i32 s0, s0, s7
	s_cmp_lt_i32 s0, s12
	s_cselect_b64 s[0:1], -1, 0
	s_add_i32 s2, s25, s8
	s_cmp_lt_i32 s2, s14
	s_cselect_b64 s[2:3], -1, 0
	s_and_b64 s[0:1], s[0:1], s[2:3]
	s_andn2_b64 vcc, exec, s[0:1]
	s_cbranch_vccnz .LBB7_24
; %bb.8:
	s_load_dwordx4 s[0:3], s[4:5], 0x0
	s_lshl_b32 s21, s7, 1
	s_lshl_b32 s4, s9, 6
	s_mov_b32 s5, s10
	s_add_i32 s21, s21, s8
	s_lshl_b64 s[4:5], s[4:5], 2
	s_waitcnt lgkmcnt(0)
	s_add_u32 s22, s2, s4
	s_mul_i32 s4, s11, s12
	s_addc_u32 s23, s3, s5
	s_add_i32 s4, s4, s7
	s_mul_i32 s4, s4, s13
	s_mul_i32 s24, s24, s14
	s_add_i32 s4, s4, s8
	s_add_i32 s4, s4, s24
	s_mul_i32 s5, s13, s26
	s_add_i32 s4, s4, s25
	s_lshl_b32 s5, s5, 9
	s_lshl_b32 s4, s4, 6
	s_add_i32 s5, s5, s4
	v_or_b32_e32 v2, s5, v0
	v_ashrrev_i32_e32 v3, 31, v2
	v_lshlrev_b64 v[2:3], 2, v[2:3]
	v_mov_b32_e32 v1, s1
	v_add_co_u32_e32 v2, vcc, s0, v2
	v_addc_co_u32_e32 v3, vcc, v1, v3, vcc
	global_load_dword v5, v[2:3], off
	v_lshl_or_b32 v4, s21, 6, v0
	v_cvt_f32_u32_e32 v0, s9
	v_cvt_f32_ubyte0_e32 v1, 0
	s_lshl_b32 s0, s6, 4
	s_add_i32 s0, s21, s0
	v_mac_f32_e32 v0, 0x4f800000, v1
	v_rcp_f32_e32 v0, v0
	v_cvt_f32_u32_e32 v1, s9
	s_ashr_i32 s1, s0, 31
	s_lshl_b64 s[0:1], s[0:1], 3
	v_mul_f32_e32 v0, 0x5f7ffffc, v0
	v_rcp_iflag_f32_e32 v1, v1
	s_add_u32 s0, s2, s0
	v_mul_f32_e32 v9, 0x2f800000, v0
	s_addc_u32 s1, s3, s1
	v_trunc_f32_e32 v10, v9
	s_load_dwordx2 s[0:1], s[0:1], 0x0
	v_mac_f32_e32 v0, 0xcf800000, v10
	v_cvt_u32_f32_e32 v9, v0
	v_mul_f32_e32 v0, 0x4f7ffffe, v1
	v_cvt_u32_f32_e32 v10, v10
	v_cvt_u32_f32_e32 v11, v0
	s_add_i32 s8, s6, -1
	s_waitcnt lgkmcnt(0)
	v_mov_b32_e32 v6, s1
	v_mov_b32_e32 v7, s0
	;; [unrolled: 1-line block ×3, first 2 shown]
	s_mov_b32 s6, 0x3fb8aa3b
	s_mov_b32 s7, 0xc2ce8ed0
	;; [unrolled: 1-line block ×4, first 2 shown]
	v_mov_b32_e32 v12, 0x7f800000
	s_mul_hi_i32 s11, s8, s15
	s_cmp_lg_u64 s[10:11], 0
	s_mul_i32 s4, s8, s15
	s_cbranch_scc0 .LBB7_15
.LBB7_9:
	s_sub_u32 s0, 0, s9
	v_readfirstlane_b32 s5, v9
	v_readfirstlane_b32 s24, v10
	s_subb_u32 s1, 0, 0
	s_mul_hi_u32 s20, s0, s5
	s_mul_i32 s25, s0, s24
	s_mul_i32 s14, s1, s5
	s_add_i32 s20, s20, s25
	s_add_i32 s20, s20, s14
	s_mul_i32 s26, s0, s5
	s_mul_hi_u32 s14, s5, s20
	s_mul_i32 s25, s5, s20
	s_mul_hi_u32 s5, s5, s26
	s_add_u32 s5, s5, s25
	s_addc_u32 s14, 0, s14
	s_mul_hi_u32 s27, s24, s26
	s_mul_i32 s26, s24, s26
	s_add_u32 s5, s5, s26
	s_mul_hi_u32 s25, s24, s20
	s_addc_u32 s5, s14, s27
	s_addc_u32 s14, s25, 0
	s_mul_i32 s20, s24, s20
	s_add_u32 s5, s5, s20
	s_addc_u32 s14, 0, s14
	v_add_co_u32_e32 v0, vcc, s5, v9
	s_cmp_lg_u64 vcc, 0
	s_addc_u32 s5, s24, s14
	v_readfirstlane_b32 s20, v0
	s_mul_i32 s14, s0, s5
	s_mul_hi_u32 s24, s0, s20
	s_add_i32 s14, s24, s14
	s_mul_i32 s1, s1, s20
	s_add_i32 s14, s14, s1
	s_mul_i32 s0, s0, s20
	s_mul_hi_u32 s24, s5, s0
	s_mul_i32 s25, s5, s0
	s_mul_i32 s27, s20, s14
	s_mul_hi_u32 s0, s20, s0
	s_mul_hi_u32 s26, s20, s14
	s_add_u32 s0, s0, s27
	s_addc_u32 s20, 0, s26
	s_add_u32 s0, s0, s25
	s_mul_hi_u32 s1, s5, s14
	s_addc_u32 s0, s20, s24
	s_addc_u32 s1, s1, 0
	s_mul_i32 s14, s5, s14
	s_add_u32 s0, s0, s14
	s_addc_u32 s1, 0, s1
	v_add_co_u32_e32 v0, vcc, s0, v0
	s_cmp_lg_u64 vcc, 0
	s_addc_u32 s5, s5, s1
	s_ashr_i32 s0, s11, 31
	s_add_u32 s24, s4, s0
	s_mov_b32 s1, s0
	s_addc_u32 s25, s11, s0
	s_xor_b64 s[24:25], s[24:25], s[0:1]
	v_readfirstlane_b32 s14, v0
	s_mul_i32 s11, s24, s5
	s_mul_hi_u32 s20, s24, s14
	s_mul_hi_u32 s1, s24, s5
	s_add_u32 s11, s20, s11
	s_addc_u32 s1, 0, s1
	s_mul_hi_u32 s26, s25, s14
	s_mul_i32 s14, s25, s14
	s_add_u32 s11, s11, s14
	s_mul_hi_u32 s20, s25, s5
	s_addc_u32 s1, s1, s26
	s_addc_u32 s11, s20, 0
	s_mul_i32 s5, s25, s5
	s_add_u32 s1, s1, s5
	s_addc_u32 s5, 0, s11
	s_mul_i32 s5, s9, s5
	s_mul_hi_u32 s20, s9, s1
	s_add_i32 s20, s20, s5
	s_mul_i32 s5, s9, s1
	v_mov_b32_e32 v0, s5
	s_add_u32 s11, s1, 1
	s_add_u32 s14, s1, 2
	v_sub_co_u32_e32 v0, vcc, s24, v0
	s_cmp_lg_u64 vcc, 0
	s_subb_u32 s5, s25, s20
	v_subrev_co_u32_e32 v1, vcc, s9, v0
	s_cmp_lg_u64 vcc, 0
	s_subb_u32 s20, s5, 0
	v_cmp_le_u32_e32 vcc, s9, v1
	s_cmp_eq_u32 s20, 0
	v_cndmask_b32_e64 v1, 0, -1, vcc
	s_cselect_b64 vcc, -1, 0
	v_cndmask_b32_e32 v1, -1, v1, vcc
	v_mov_b32_e32 v13, s11
	v_mov_b32_e32 v14, s14
	v_cmp_ne_u32_e32 vcc, 0, v1
	v_cndmask_b32_e32 v1, v13, v14, vcc
	v_cmp_le_u32_e32 vcc, s9, v0
	s_cmp_eq_u32 s5, 0
	v_cndmask_b32_e64 v0, 0, -1, vcc
	s_cselect_b64 vcc, -1, 0
	v_cndmask_b32_e32 v0, -1, v0, vcc
	v_mov_b32_e32 v13, s1
	v_cmp_ne_u32_e32 vcc, 0, v0
	v_cndmask_b32_e32 v0, v13, v1, vcc
	v_xor_b32_e32 v0, s0, v0
	v_subrev_co_u32_e32 v0, vcc, s0, v0
	s_cbranch_execnz .LBB7_11
.LBB7_10:
	s_sub_i32 s0, 0, s9
	v_mul_lo_u32 v0, s0, v11
	v_mul_hi_u32 v0, v11, v0
	v_add_u32_e32 v0, v11, v0
	v_mul_hi_u32 v0, s4, v0
	v_mul_lo_u32 v13, v0, s9
	v_sub_u32_e32 v13, s4, v13
	v_add_u32_e32 v1, 1, v0
	v_subrev_u32_e32 v14, s9, v13
	v_cmp_le_u32_e32 vcc, s9, v13
	v_cndmask_b32_e32 v13, v13, v14, vcc
	v_cndmask_b32_e32 v0, v0, v1, vcc
	v_add_u32_e32 v1, 1, v0
	v_cmp_le_u32_e32 vcc, s9, v13
	v_cndmask_b32_e32 v0, v0, v1, vcc
.LBB7_11:
	v_cmp_ne_u32_e32 vcc, v8, v0
	s_cbranch_vccz .LBB7_14
; %bb.12:
	s_add_i32 s0, s8, s9
	s_lshl_b32 s0, s0, 4
	v_mul_hi_u32 v1, v0, s16
	s_add_i32 s0, s0, s21
	s_mov_b32 s1, s10
	v_add_u32_e32 v1, v1, v0
	s_lshl_b64 s[0:1], s[0:1], 3
	v_lshrrev_b32_e32 v1, s17, v1
	s_add_u32 s4, s2, s0
	v_mul_lo_u32 v13, v1, s18
	s_addc_u32 s5, s3, s1
	v_cmp_eq_u32_e32 vcc, v13, v0
	v_cmp_gt_u32_e64 s[0:1], s19, v1
	s_or_b64 s[0:1], s[0:1], vcc
	s_and_b64 vcc, exec, s[0:1]
	s_cbranch_vccnz .LBB7_16
; %bb.13:
	s_add_i32 s11, s8, -1
	s_mov_b64 s[0:1], 0
	s_branch .LBB7_17
.LBB7_14:
                                        ; implicit-def: $sgpr0_sgpr1
                                        ; implicit-def: $vgpr14
                                        ; implicit-def: $vgpr1
                                        ; implicit-def: $vgpr13
                                        ; implicit-def: $sgpr11
                                        ; implicit-def: $vgpr0
	s_branch .LBB7_18
.LBB7_15:
                                        ; implicit-def: $vgpr0_vgpr1
	s_branch .LBB7_10
.LBB7_16:
	s_mov_b64 s[0:1], -1
	s_mov_b32 s11, s8
	v_mov_b32_e32 v0, v8
.LBB7_17:
	v_lshl_add_u32 v14, s8, 10, v4
	v_ashrrev_i32_e32 v15, 31, v14
	v_lshlrev_b64 v[14:15], 2, v[14:15]
	v_mov_b32_e32 v1, s23
	v_add_co_u32_e32 v14, vcc, s22, v14
	v_addc_co_u32_e32 v15, vcc, v1, v15, vcc
	global_load_dword v14, v[14:15], off
	s_load_dwordx2 s[4:5], s[4:5], 0x0
	v_max_f32_e32 v1, v7, v7
	s_waitcnt lgkmcnt(0)
	v_max_f32_e64 v13, s4, s4
	v_max_f32_e32 v1, v1, v13
	v_sub_f32_e32 v13, v7, v1
	v_sub_f32_e32 v15, s4, v1
	v_mul_f32_e32 v16, 0x3fb8aa3b, v13
	v_mul_f32_e32 v17, 0x3fb8aa3b, v15
	v_fma_f32 v18, v13, s6, -v16
	v_rndne_f32_e32 v19, v16
	v_fma_f32 v20, v15, s6, -v17
	v_rndne_f32_e32 v21, v17
	v_fmac_f32_e32 v18, 0x32a5705f, v13
	v_sub_f32_e32 v16, v16, v19
	v_fmac_f32_e32 v20, 0x32a5705f, v15
	v_sub_f32_e32 v17, v17, v21
	v_add_f32_e32 v16, v16, v18
	v_cvt_i32_f32_e32 v19, v19
	v_add_f32_e32 v17, v17, v20
	v_exp_f32_e32 v16, v16
	v_cvt_i32_f32_e32 v21, v21
	v_exp_f32_e32 v17, v17
	v_cmp_ngt_f32_e32 vcc, s7, v13
	v_ldexp_f32 v16, v16, v19
	v_cndmask_b32_e32 v16, 0, v16, vcc
	v_ldexp_f32 v17, v17, v21
	v_cmp_ngt_f32_e32 vcc, s7, v15
	v_cndmask_b32_e32 v17, 0, v17, vcc
	v_cmp_nlt_f32_e32 vcc, s12, v13
	v_cndmask_b32_e32 v16, v12, v16, vcc
	v_cmp_nlt_f32_e32 vcc, s12, v15
	v_cndmask_b32_e32 v17, v12, v17, vcc
	v_cmp_le_f32_e32 vcc, s13, v13
	v_cndmask_b32_e32 v16, 0, v16, vcc
	v_cmp_le_f32_e32 vcc, s13, v15
	v_cndmask_b32_e32 v15, 0, v17, vcc
	v_mul_f32_e32 v13, s5, v15
	v_fmac_f32_e32 v13, v6, v16
	s_waitcnt vmcnt(0)
	v_mul_f32_e32 v14, v14, v15
	v_fmac_f32_e32 v14, v5, v16
	s_cbranch_execnz .LBB7_19
.LBB7_18:
	s_add_i32 s11, s8, -1
	s_mov_b64 s[0:1], 0
	v_mov_b32_e32 v0, v8
	v_mov_b32_e32 v13, v6
	;; [unrolled: 1-line block ×3, first 2 shown]
	s_waitcnt vmcnt(0)
	v_mov_b32_e32 v14, v5
.LBB7_19:
	s_andn2_b64 vcc, exec, s[0:1]
	s_cbranch_vccz .LBB7_23
; %bb.20:
	v_mov_b32_e32 v8, v0
	s_mov_b32 s8, s11
	v_mov_b32_e32 v6, v13
	v_mov_b32_e32 v7, v1
	s_waitcnt vmcnt(0)
	v_mov_b32_e32 v5, v14
	s_mul_hi_i32 s11, s8, s15
	s_cmp_lg_u64 s[10:11], 0
	s_mul_i32 s4, s8, s15
	s_cbranch_scc1 .LBB7_9
	s_branch .LBB7_15
.LBB7_21:
                                        ; implicit-def: $sgpr20_sgpr21
	s_load_dwordx4 s[16:19], s[4:5], 0x44
	s_branch .LBB7_2
.LBB7_22:
                                        ; implicit-def: $vgpr2_vgpr3
	s_branch .LBB7_5
.LBB7_23:
	v_div_scale_f32 v0, s[0:1], v13, v13, v14
	v_rcp_f32_e32 v1, v0
	v_div_scale_f32 v4, vcc, v14, v13, v14
	s_waitcnt vmcnt(0)
	v_fma_f32 v5, -v0, v1, 1.0
	v_fmac_f32_e32 v1, v5, v1
	v_mul_f32_e32 v5, v4, v1
	v_fma_f32 v6, -v0, v5, v4
	v_fmac_f32_e32 v5, v6, v1
	v_fma_f32 v0, -v0, v5, v4
	v_div_fmas_f32 v0, v0, v1, v5
	v_div_fixup_f32 v0, v0, v13, v14
	global_store_dword v[2:3], v0, off
.LBB7_24:
	s_endpgm
	.section	.rodata,"a",@progbits
	.p2align	6, 0x0
	.amdhsa_kernel _ZL33flash_attn_stream_k_fixup_generalILi64ELi8ELi2EEvPfPK15HIP_vector_typeIfLj2EEiiiiS1_IjLj3EES5_S5_S5_
		.amdhsa_group_segment_fixed_size 0
		.amdhsa_private_segment_fixed_size 0
		.amdhsa_kernarg_size 336
		.amdhsa_user_sgpr_count 6
		.amdhsa_user_sgpr_private_segment_buffer 1
		.amdhsa_user_sgpr_dispatch_ptr 0
		.amdhsa_user_sgpr_queue_ptr 0
		.amdhsa_user_sgpr_kernarg_segment_ptr 1
		.amdhsa_user_sgpr_dispatch_id 0
		.amdhsa_user_sgpr_flat_scratch_init 0
		.amdhsa_user_sgpr_kernarg_preload_length 0
		.amdhsa_user_sgpr_kernarg_preload_offset 0
		.amdhsa_user_sgpr_private_segment_size 0
		.amdhsa_uses_dynamic_stack 0
		.amdhsa_system_sgpr_private_segment_wavefront_offset 0
		.amdhsa_system_sgpr_workgroup_id_x 1
		.amdhsa_system_sgpr_workgroup_id_y 1
		.amdhsa_system_sgpr_workgroup_id_z 1
		.amdhsa_system_sgpr_workgroup_info 0
		.amdhsa_system_vgpr_workitem_id 0
		.amdhsa_next_free_vgpr 22
		.amdhsa_next_free_sgpr 32
		.amdhsa_accum_offset 24
		.amdhsa_reserve_vcc 1
		.amdhsa_reserve_flat_scratch 0
		.amdhsa_float_round_mode_32 0
		.amdhsa_float_round_mode_16_64 0
		.amdhsa_float_denorm_mode_32 3
		.amdhsa_float_denorm_mode_16_64 3
		.amdhsa_dx10_clamp 1
		.amdhsa_ieee_mode 1
		.amdhsa_fp16_overflow 0
		.amdhsa_tg_split 0
		.amdhsa_exception_fp_ieee_invalid_op 0
		.amdhsa_exception_fp_denorm_src 0
		.amdhsa_exception_fp_ieee_div_zero 0
		.amdhsa_exception_fp_ieee_overflow 0
		.amdhsa_exception_fp_ieee_underflow 0
		.amdhsa_exception_fp_ieee_inexact 0
		.amdhsa_exception_int_div_zero 0
	.end_amdhsa_kernel
	.section	.text._ZL33flash_attn_stream_k_fixup_generalILi64ELi8ELi2EEvPfPK15HIP_vector_typeIfLj2EEiiiiS1_IjLj3EES5_S5_S5_,"axG",@progbits,_ZL33flash_attn_stream_k_fixup_generalILi64ELi8ELi2EEvPfPK15HIP_vector_typeIfLj2EEiiiiS1_IjLj3EES5_S5_S5_,comdat
.Lfunc_end7:
	.size	_ZL33flash_attn_stream_k_fixup_generalILi64ELi8ELi2EEvPfPK15HIP_vector_typeIfLj2EEiiiiS1_IjLj3EES5_S5_S5_, .Lfunc_end7-_ZL33flash_attn_stream_k_fixup_generalILi64ELi8ELi2EEvPfPK15HIP_vector_typeIfLj2EEiiiiS1_IjLj3EES5_S5_S5_
                                        ; -- End function
	.section	.AMDGPU.csdata,"",@progbits
; Kernel info:
; codeLenInByte = 2824
; NumSgprs: 36
; NumVgprs: 22
; NumAgprs: 0
; TotalNumVgprs: 22
; ScratchSize: 0
; MemoryBound: 0
; FloatMode: 240
; IeeeMode: 1
; LDSByteSize: 0 bytes/workgroup (compile time only)
; SGPRBlocks: 4
; VGPRBlocks: 2
; NumSGPRsForWavesPerEU: 36
; NumVGPRsForWavesPerEU: 22
; AccumOffset: 24
; Occupancy: 8
; WaveLimiterHint : 0
; COMPUTE_PGM_RSRC2:SCRATCH_EN: 0
; COMPUTE_PGM_RSRC2:USER_SGPR: 6
; COMPUTE_PGM_RSRC2:TRAP_HANDLER: 0
; COMPUTE_PGM_RSRC2:TGID_X_EN: 1
; COMPUTE_PGM_RSRC2:TGID_Y_EN: 1
; COMPUTE_PGM_RSRC2:TGID_Z_EN: 1
; COMPUTE_PGM_RSRC2:TIDIG_COMP_CNT: 0
; COMPUTE_PGM_RSRC3_GFX90A:ACCUM_OFFSET: 5
; COMPUTE_PGM_RSRC3_GFX90A:TG_SPLIT: 0
	.section	.text._ZL26flash_attn_combine_resultsILi64EEvPKfPK15HIP_vector_typeIfLj2EEPfi,"axG",@progbits,_ZL26flash_attn_combine_resultsILi64EEvPKfPK15HIP_vector_typeIfLj2EEPfi,comdat
	.globl	_ZL26flash_attn_combine_resultsILi64EEvPKfPK15HIP_vector_typeIfLj2EEPfi ; -- Begin function _ZL26flash_attn_combine_resultsILi64EEvPKfPK15HIP_vector_typeIfLj2EEPfi
	.p2align	8
	.type	_ZL26flash_attn_combine_resultsILi64EEvPKfPK15HIP_vector_typeIfLj2EEPfi,@function
_ZL26flash_attn_combine_resultsILi64EEvPKfPK15HIP_vector_typeIfLj2EEPfi: ; @_ZL26flash_attn_combine_resultsILi64EEvPKfPK15HIP_vector_typeIfLj2EEPfi
; %bb.0:
	s_load_dwordx2 s[10:11], s[4:5], 0x20
	s_load_dword s17, s[4:5], 0x18
	s_load_dwordx4 s[0:3], s[4:5], 0x0
	s_load_dwordx2 s[14:15], s[4:5], 0x10
	s_waitcnt lgkmcnt(0)
	s_mul_i32 s4, s10, s8
	s_add_i32 s4, s4, s6
	s_mul_i32 s16, s4, s11
	s_add_i32 s16, s16, s7
	s_lshl_b32 s18, s17, 1
	s_mul_i32 s4, s16, s17
	v_cmp_gt_i32_e32 vcc, s18, v0
	s_and_saveexec_b64 s[6:7], vcc
	s_cbranch_execz .LBB8_13
; %bb.1:
	v_xad_u32 v1, v0, -1, s18
	s_ashr_i32 s5, s4, 31
	v_cmp_lt_u32_e32 vcc, 63, v1
	s_mov_b64 s[10:11], -1
	v_mov_b32_e32 v2, v0
	s_and_saveexec_b64 s[8:9], vcc
	s_cbranch_execz .LBB8_10
; %bb.2:
	v_lshrrev_b32_e32 v6, 6, v1
	s_lshl_b64 s[10:11], s[4:5], 3
	v_add_u32_e32 v2, -1, v6
	s_add_u32 s19, s2, s10
	v_or_b32_e32 v1, 64, v0
	v_lshrrev_b32_e32 v3, 1, v2
	s_addc_u32 s20, s3, s11
	v_add_u32_e32 v7, 1, v3
	v_cmp_lt_u32_e32 vcc, 13, v2
	v_mov_b32_e32 v4, 0
	v_pk_mov_b32 v[2:3], v[0:1], v[0:1] op_sel:[0,1]
	s_and_saveexec_b64 s[10:11], vcc
	s_cbranch_execz .LBB8_6
; %bb.3:
	v_and_b32_e32 v8, -8, v7
	s_mov_b32 s21, 0
	v_lshl_add_u32 v9, v0, 2, 0
	s_mov_b64 s[12:13], 0
	v_mov_b32_e32 v10, s20
	v_mov_b32_e32 v5, 0
	v_pk_mov_b32 v[2:3], v[0:1], v[0:1] op_sel:[0,1]
.LBB8_4:                                ; =>This Inner Loop Header: Depth=1
	v_mov_b32_e32 v4, v2
	v_lshlrev_b64 v[26:27], 2, v[4:5]
	v_add_u32_e32 v12, 0x80, v3
	v_mov_b32_e32 v13, v5
	v_add_co_u32_e32 v26, vcc, s19, v26
	v_lshlrev_b64 v[12:13], 2, v[12:13]
	v_addc_co_u32_e32 v27, vcc, v10, v27, vcc
	v_add_u32_e32 v14, 0x100, v3
	v_mov_b32_e32 v15, v5
	v_add_co_u32_e32 v12, vcc, s19, v12
	v_lshlrev_b64 v[14:15], 2, v[14:15]
	v_addc_co_u32_e32 v13, vcc, v10, v13, vcc
	;; [unrolled: 5-line block ×7, first 2 shown]
	v_mov_b32_e32 v4, v3
	v_add_co_u32_e32 v24, vcc, s19, v24
	v_lshlrev_b64 v[28:29], 2, v[4:5]
	v_addc_co_u32_e32 v25, vcc, v10, v25, vcc
	v_add_u32_e32 v4, 0x80, v2
	v_add_co_u32_e32 v28, vcc, s19, v28
	v_addc_co_u32_e32 v29, vcc, v10, v29, vcc
	global_load_dword v1, v[26:27], off
	v_lshlrev_b64 v[26:27], 2, v[4:5]
	v_add_u32_e32 v4, 0x100, v2
	v_add_co_u32_e32 v26, vcc, s19, v26
	v_addc_co_u32_e32 v27, vcc, v10, v27, vcc
	v_lshlrev_b64 v[30:31], 2, v[4:5]
	v_add_u32_e32 v4, 0x180, v2
	global_load_dword v11, v[28:29], off
	global_load_dword v32, v[26:27], off
	;; [unrolled: 1-line block ×3, first 2 shown]
	v_add_co_u32_e32 v12, vcc, s19, v30
	v_addc_co_u32_e32 v13, vcc, v10, v31, vcc
	v_lshlrev_b64 v[26:27], 2, v[4:5]
	v_add_u32_e32 v4, 0x200, v2
	v_add_co_u32_e32 v26, vcc, s19, v26
	v_addc_co_u32_e32 v27, vcc, v10, v27, vcc
	v_lshlrev_b64 v[28:29], 2, v[4:5]
	v_add_u32_e32 v4, 0x280, v2
	global_load_dword v30, v[12:13], off
	global_load_dword v31, v[14:15], off
	;; [unrolled: 1-line block ×4, first 2 shown]
	v_add_co_u32_e32 v12, vcc, s19, v28
	v_addc_co_u32_e32 v13, vcc, v10, v29, vcc
	v_lshlrev_b64 v[14:15], 2, v[4:5]
	v_add_u32_e32 v4, 0x300, v2
	v_add_co_u32_e32 v14, vcc, s19, v14
	v_addc_co_u32_e32 v15, vcc, v10, v15, vcc
	v_lshlrev_b64 v[16:17], 2, v[4:5]
	v_add_u32_e32 v4, 0x380, v2
	global_load_dword v26, v[12:13], off
	global_load_dword v27, v[18:19], off
	;; [unrolled: 1-line block ×4, first 2 shown]
	v_add_co_u32_e32 v12, vcc, s19, v16
	v_addc_co_u32_e32 v13, vcc, v10, v17, vcc
	v_lshlrev_b64 v[14:15], 2, v[4:5]
	v_add_co_u32_e32 v14, vcc, s19, v14
	v_addc_co_u32_e32 v15, vcc, v10, v15, vcc
	global_load_dword v16, v[12:13], off
	global_load_dword v17, v[22:23], off
	;; [unrolled: 1-line block ×4, first 2 shown]
	v_add_u32_e32 v8, -8, v8
	s_add_i32 s21, s21, 16
	v_cmp_eq_u32_e32 vcc, 0, v8
	v_add_u32_e32 v3, 0x400, v3
	v_mov_b32_e32 v4, s21
	s_or_b64 s[12:13], vcc, s[12:13]
	v_add_u32_e32 v2, 0x400, v2
	s_waitcnt vmcnt(14)
	ds_write2st64_b32 v9, v1, v11 offset1:1
	s_waitcnt vmcnt(12)
	ds_write2st64_b32 v9, v32, v33 offset0:2 offset1:3
	s_waitcnt vmcnt(10)
	ds_write2st64_b32 v9, v30, v31 offset0:4 offset1:5
	;; [unrolled: 2-line block ×7, first 2 shown]
	v_add_u32_e32 v9, 0x1000, v9
	s_andn2_b64 exec, exec, s[12:13]
	s_cbranch_execnz .LBB8_4
; %bb.5:
	s_or_b64 exec, exec, s[12:13]
.LBB8_6:
	s_or_b64 exec, exec, s[10:11]
	v_and_b32_e32 v1, 7, v7
	v_cmp_ne_u32_e32 vcc, 0, v1
	s_and_saveexec_b64 s[10:11], vcc
	s_cbranch_execz .LBB8_9
; %bb.7:
	v_lshlrev_b32_e32 v5, 2, v0
	v_lshl_or_b32 v4, v4, 8, v5
	v_add_u32_e32 v7, 0, v4
	s_mov_b64 s[12:13], 0
	v_mov_b32_e32 v8, s20
	v_mov_b32_e32 v5, 0
.LBB8_8:                                ; =>This Inner Loop Header: Depth=1
	v_mov_b32_e32 v4, v2
	v_lshlrev_b64 v[10:11], 2, v[4:5]
	v_mov_b32_e32 v4, v3
	v_add_co_u32_e32 v10, vcc, s19, v10
	v_addc_co_u32_e32 v11, vcc, v8, v11, vcc
	v_lshlrev_b64 v[12:13], 2, v[4:5]
	v_add_co_u32_e32 v12, vcc, s19, v12
	v_addc_co_u32_e32 v13, vcc, v8, v13, vcc
	global_load_dword v4, v[10:11], off
	global_load_dword v9, v[12:13], off
	v_add_u32_e32 v1, -1, v1
	v_cmp_eq_u32_e32 vcc, 0, v1
	v_add_u32_e32 v2, 0x80, v2
	v_add_u32_e32 v3, 0x80, v3
	s_or_b64 s[12:13], vcc, s[12:13]
	s_waitcnt vmcnt(0)
	ds_write2st64_b32 v7, v4, v9 offset1:1
	v_add_u32_e32 v7, 0x200, v7
	s_andn2_b64 exec, exec, s[12:13]
	s_cbranch_execnz .LBB8_8
.LBB8_9:
	s_or_b64 exec, exec, s[10:11]
	v_add_u32_e32 v1, 1, v6
	v_and_b32_e32 v3, 0x7fffffe, v1
	v_cmp_ne_u32_e32 vcc, v1, v3
	v_lshl_or_b32 v2, v3, 6, v0
	s_orn2_b64 s[10:11], vcc, exec
.LBB8_10:
	s_or_b64 exec, exec, s[8:9]
	s_and_b64 exec, exec, s[10:11]
	s_cbranch_execz .LBB8_13
; %bb.11:
	s_lshl_b64 s[8:9], s[4:5], 3
	v_mov_b32_e32 v3, 0
	s_add_u32 s2, s2, s8
	v_lshlrev_b64 v[4:5], 2, v[2:3]
	s_addc_u32 s3, s3, s9
	v_mov_b32_e32 v1, s3
	v_add_co_u32_e32 v4, vcc, s2, v4
	v_addc_co_u32_e32 v5, vcc, v1, v5, vcc
	v_lshl_add_u32 v1, v2, 2, 0
	s_mov_b64 s[2:3], 0
.LBB8_12:                               ; =>This Inner Loop Header: Depth=1
	global_load_dword v3, v[4:5], off
	v_add_co_u32_e32 v4, vcc, 0x100, v4
	v_add_u32_e32 v2, 64, v2
	v_addc_co_u32_e32 v5, vcc, 0, v5, vcc
	v_cmp_le_i32_e32 vcc, s18, v2
	s_or_b64 s[2:3], vcc, s[2:3]
	s_waitcnt vmcnt(0)
	ds_write_b32 v1, v3
	v_add_u32_e32 v1, 0x100, v1
	s_andn2_b64 exec, exec, s[2:3]
	s_cbranch_execnz .LBB8_12
.LBB8_13:
	s_or_b64 exec, exec, s[6:7]
	v_mov_b32_e32 v1, 0
	s_waitcnt lgkmcnt(0)
	; wave barrier
	s_waitcnt lgkmcnt(0)
	ds_read_b32 v1, v1
	s_cmp_lt_i32 s17, 2
	s_cbranch_scc1 .LBB8_21
; %bb.14:
	s_add_i32 s2, s17, -1
	s_add_i32 s3, s17, -2
	s_cmp_lt_u32 s3, 7
	s_cbranch_scc1 .LBB8_18
; %bb.15:
	s_mov_b32 s6, 0
	s_add_i32 s3, 0, 8
	s_and_b32 s5, s2, -8
.LBB8_16:                               ; =>This Inner Loop Header: Depth=1
	v_mov_b32_e32 v8, s3
	ds_read2_b32 v[2:3], v8 offset1:2
	ds_read2_b32 v[4:5], v8 offset0:4 offset1:6
	ds_read2_b32 v[6:7], v8 offset0:8 offset1:10
	ds_read2_b32 v[8:9], v8 offset0:12 offset1:14
	s_mov_b32 s7, s6
	s_waitcnt lgkmcnt(3)
	v_max3_f32 v1, v1, v2, v3
	s_waitcnt lgkmcnt(2)
	v_max3_f32 v1, v1, v4, v5
	s_add_i32 s3, s3, 64
	s_add_i32 s6, s6, 8
	s_waitcnt lgkmcnt(1)
	v_max3_f32 v1, v1, v6, v7
	s_cmp_eq_u32 s5, s6
	s_waitcnt lgkmcnt(0)
	v_max3_f32 v1, v1, v8, v9
	s_cbranch_scc0 .LBB8_16
; %bb.17:
	s_add_i32 s3, s7, 9
	s_and_b32 s2, s2, 7
	s_cmp_eq_u32 s2, 0
	s_cbranch_scc0 .LBB8_19
	s_branch .LBB8_21
.LBB8_18:
	s_mov_b32 s3, 1
	s_and_b32 s2, s2, 7
	s_cmp_eq_u32 s2, 0
	s_cbranch_scc1 .LBB8_21
.LBB8_19:
	s_lshl_b32 s3, s3, 3
	s_add_i32 s3, s3, 0
.LBB8_20:                               ; =>This Inner Loop Header: Depth=1
	v_mov_b32_e32 v2, s3
	ds_read_b32 v2, v2
	s_waitcnt lgkmcnt(1)
	v_max_f32_e32 v1, v1, v1
	s_add_i32 s3, s3, 8
	s_add_i32 s2, s2, -1
	s_cmp_lg_u32 s2, 0
	s_waitcnt lgkmcnt(0)
	v_max_f32_e32 v2, v2, v2
	v_max_f32_e32 v1, v1, v2
	s_cbranch_scc1 .LBB8_20
.LBB8_21:
	s_cmp_lt_i32 s17, 1
	s_cbranch_scc1 .LBB8_26
; %bb.22:
	s_lshl_b32 s2, s4, 6
	s_ashr_i32 s3, s2, 31
	s_lshl_b64 s[2:3], s[2:3], 2
	s_add_u32 s18, s0, s2
	s_addc_u32 s19, s1, s3
	s_cmp_lt_u32 s17, 8
	v_mov_b32_e32 v6, 0
	s_cbranch_scc1 .LBB8_27
; %bb.23:
	s_and_b32 s20, s17, 0x7ffffff8
	v_or_b32_e32 v2, 0x1c0, v0
	s_mov_b32 s21, 0
	v_mov_b32_e32 v5, 0
	s_mov_b32 s22, 0x3fb8aa3b
	s_mov_b32 s23, 0xc2ce8ed0
	;; [unrolled: 1-line block ×3, first 2 shown]
	v_mov_b32_e32 v8, 0x7f800000
	v_mov_b32_e32 v9, s19
	s_mov_b32 s25, 0
	v_mov_b32_e32 v7, 0
	v_mov_b32_e32 v6, 0
.LBB8_24:                               ; =>This Inner Loop Header: Depth=1
	v_add_u32_e32 v4, 0xfffffe40, v2
	v_lshlrev_b64 v[26:27], 2, v[4:5]
	v_mov_b32_e32 v3, v5
	v_add_co_u32_e32 v26, vcc, s18, v26
	v_lshlrev_b64 v[28:29], 2, v[2:3]
	v_addc_co_u32_e32 v27, vcc, v9, v27, vcc
	v_add_u32_e32 v4, 0xfffffe80, v2
	v_add_co_u32_e32 v28, vcc, s18, v28
	v_mov_b32_e32 v22, s21
	v_lshlrev_b64 v[30:31], 2, v[4:5]
	v_addc_co_u32_e32 v29, vcc, v9, v29, vcc
	ds_read2_b64 v[10:13], v22 offset1:1
	ds_read2_b64 v[14:17], v22 offset0:2 offset1:3
	ds_read2_b64 v[18:21], v22 offset0:4 offset1:5
	;; [unrolled: 1-line block ×3, first 2 shown]
	v_add_u32_e32 v4, 0xfffffec0, v2
	global_load_dword v3, v[26:27], off
	v_add_co_u32_e32 v26, vcc, s18, v30
	v_addc_co_u32_e32 v27, vcc, v9, v31, vcc
	v_lshlrev_b64 v[30:31], 2, v[4:5]
	v_add_u32_e32 v4, 0xffffff00, v2
	v_add_co_u32_e32 v30, vcc, s18, v30
	v_addc_co_u32_e32 v31, vcc, v9, v31, vcc
	v_lshlrev_b64 v[32:33], 2, v[4:5]
	v_add_u32_e32 v4, 0xffffff40, v2
	global_load_dword v34, v[26:27], off
	global_load_dword v35, v[30:31], off
	v_add_co_u32_e32 v26, vcc, s18, v32
	v_addc_co_u32_e32 v27, vcc, v9, v33, vcc
	v_lshlrev_b64 v[30:31], 2, v[4:5]
	v_add_u32_e32 v4, 0xffffff80, v2
	v_add_co_u32_e32 v30, vcc, s18, v30
	v_addc_co_u32_e32 v31, vcc, v9, v31, vcc
	v_lshlrev_b64 v[32:33], 2, v[4:5]
	global_load_dword v36, v[26:27], off
	v_subrev_u32_e32 v4, 64, v2
	global_load_dword v28, v[28:29], off
	v_add_co_u32_e32 v26, vcc, s18, v32
	v_addc_co_u32_e32 v27, vcc, v9, v33, vcc
	global_load_dword v42, v[30:31], off
	s_waitcnt lgkmcnt(3)
	v_sub_f32_e32 v12, v12, v1
	global_load_dword v26, v[26:27], off
	v_lshlrev_b64 v[30:31], 2, v[4:5]
	v_add_co_u32_e32 v30, vcc, s18, v30
	v_addc_co_u32_e32 v31, vcc, v9, v31, vcc
	global_load_dword v30, v[30:31], off
	s_waitcnt lgkmcnt(2)
	v_sub_f32_e32 v14, v14, v1
	v_sub_f32_e32 v10, v10, v1
	v_mul_f32_e32 v38, 0x3fb8aa3b, v12
	v_mul_f32_e32 v39, 0x3fb8aa3b, v14
	s_waitcnt lgkmcnt(1)
	v_sub_f32_e32 v18, v18, v1
	s_waitcnt lgkmcnt(0)
	v_sub_f32_e32 v22, v22, v1
	v_mul_f32_e32 v37, 0x3fb8aa3b, v10
	v_fma_f32 v45, v12, s22, -v38
	v_rndne_f32_e32 v46, v38
	v_fma_f32 v47, v14, s22, -v39
	v_rndne_f32_e32 v48, v39
	v_sub_f32_e32 v16, v16, v1
	v_sub_f32_e32 v20, v20, v1
	v_mul_f32_e32 v41, 0x3fb8aa3b, v18
	v_mul_f32_e32 v32, 0x3fb8aa3b, v22
	v_fma_f32 v33, v10, s22, -v37
	v_rndne_f32_e32 v44, v37
	v_fmac_f32_e32 v45, 0x32a5705f, v12
	v_sub_f32_e32 v38, v38, v46
	v_fmac_f32_e32 v47, 0x32a5705f, v14
	v_sub_f32_e32 v39, v39, v48
	v_mul_f32_e32 v40, 0x3fb8aa3b, v16
	v_mul_f32_e32 v43, 0x3fb8aa3b, v20
	v_fma_f32 v27, v18, s22, -v41
	v_rndne_f32_e32 v31, v41
	v_fmac_f32_e32 v33, 0x32a5705f, v10
	v_sub_f32_e32 v37, v37, v44
	v_add_f32_e32 v38, v38, v45
	v_fma_f32 v45, v22, s22, -v32
	v_add_f32_e32 v39, v39, v47
	v_rndne_f32_e32 v47, v32
	v_fma_f32 v49, v16, s22, -v40
	v_rndne_f32_e32 v50, v40
	v_fma_f32 v29, v20, s22, -v43
	v_add_f32_e32 v33, v37, v33
	v_rndne_f32_e32 v37, v43
	v_fmac_f32_e32 v27, 0x32a5705f, v18
	v_sub_f32_e32 v41, v41, v31
	v_fmac_f32_e32 v45, 0x32a5705f, v22
	v_sub_f32_e32 v32, v32, v47
	;; [unrolled: 2-line block ×3, first 2 shown]
	v_add_f32_e32 v27, v41, v27
	v_cvt_i32_f32_e32 v44, v44
	v_fmac_f32_e32 v29, 0x32a5705f, v20
	v_sub_f32_e32 v43, v43, v37
	v_add_f32_e32 v32, v32, v45
	v_exp_f32_e32 v33, v33
	v_add_f32_e32 v40, v40, v49
	v_cvt_i32_f32_e32 v46, v46
	v_cvt_i32_f32_e32 v31, v31
	;; [unrolled: 1-line block ×3, first 2 shown]
	v_add_f32_e32 v29, v43, v29
	v_exp_f32_e32 v38, v38
	v_exp_f32_e32 v27, v27
	;; [unrolled: 1-line block ×3, first 2 shown]
	v_sub_f32_e32 v24, v24, v1
	v_cvt_i32_f32_e32 v48, v48
	v_cvt_i32_f32_e32 v50, v50
	;; [unrolled: 1-line block ×3, first 2 shown]
	v_exp_f32_e32 v39, v39
	v_exp_f32_e32 v40, v40
	v_exp_f32_e32 v29, v29
	v_mul_f32_e32 v4, 0x3fb8aa3b, v24
	v_fma_f32 v49, v24, s22, -v4
	v_rndne_f32_e32 v41, v4
	v_ldexp_f32 v33, v33, v44
	v_cmp_ngt_f32_e64 s[12:13], s23, v10
	v_fmac_f32_e32 v49, 0x32a5705f, v24
	v_sub_f32_e32 v4, v4, v41
	v_ldexp_f32 v38, v38, v46
	v_cmp_ngt_f32_e32 vcc, s23, v12
	v_ldexp_f32 v27, v27, v31
	v_ldexp_f32 v31, v32, v47
	v_cndmask_b32_e64 v32, 0, v33, s[12:13]
	v_cmp_nlt_f32_e64 s[12:13], s24, v10
	v_add_f32_e32 v4, v4, v49
	v_ldexp_f32 v39, v39, v48
	v_cmp_ngt_f32_e64 s[0:1], s23, v14
	v_ldexp_f32 v40, v40, v50
	v_cmp_ngt_f32_e64 s[2:3], s23, v16
	v_cmp_ngt_f32_e64 s[4:5], s23, v18
	v_ldexp_f32 v29, v29, v37
	v_cmp_ngt_f32_e64 s[6:7], s23, v20
	v_cmp_ngt_f32_e64 s[8:9], s23, v22
	v_cndmask_b32_e32 v33, 0, v38, vcc
	v_cmp_nlt_f32_e32 vcc, s24, v12
	v_cndmask_b32_e64 v10, v8, v32, s[12:13]
	v_cvt_i32_f32_e32 v41, v41
	v_exp_f32_e32 v4, v4
	v_cndmask_b32_e64 v12, 0, v39, s[0:1]
	v_cmp_nlt_f32_e64 s[0:1], s24, v14
	v_cndmask_b32_e64 v14, 0, v40, s[2:3]
	v_cmp_nlt_f32_e64 s[2:3], s24, v16
	;; [unrolled: 2-line block ×5, first 2 shown]
	v_cndmask_b32_e32 v22, v8, v33, vcc
	v_fmac_f32_e32 v7, v10, v11
	s_waitcnt vmcnt(7)
	v_fmac_f32_e32 v6, v3, v10
	v_cndmask_b32_e64 v12, v8, v12, s[0:1]
	v_fmac_f32_e32 v7, v22, v13
	s_waitcnt vmcnt(6)
	v_fmac_f32_e32 v6, v34, v22
	v_cndmask_b32_e64 v14, v8, v14, s[2:3]
	;; [unrolled: 4-line block ×3, first 2 shown]
	v_fmac_f32_e32 v7, v14, v17
	s_waitcnt vmcnt(4)
	v_fmac_f32_e32 v6, v36, v14
	v_ldexp_f32 v4, v4, v41
	v_cmp_ngt_f32_e64 s[10:11], s23, v24
	v_cndmask_b32_e64 v18, v8, v18, s[6:7]
	v_fmac_f32_e32 v7, v16, v19
	s_waitcnt vmcnt(2)
	v_fmac_f32_e32 v6, v42, v16
	v_cndmask_b32_e64 v4, 0, v4, s[10:11]
	v_cmp_nlt_f32_e64 s[10:11], s24, v24
	v_cndmask_b32_e64 v20, v8, v20, s[8:9]
	v_fmac_f32_e32 v7, v18, v21
	s_waitcnt vmcnt(1)
	v_fmac_f32_e32 v6, v26, v18
	s_add_i32 s25, s25, 8
	s_add_i32 s21, s21, 64
	v_cndmask_b32_e64 v4, v8, v4, s[10:11]
	v_fmac_f32_e32 v7, v20, v23
	s_waitcnt vmcnt(0)
	v_fmac_f32_e32 v6, v30, v20
	s_cmp_eq_u32 s20, s25
	v_add_u32_e32 v2, 0x200, v2
	v_fmac_f32_e32 v7, v4, v25
	v_fmac_f32_e32 v6, v28, v4
	s_cbranch_scc0 .LBB8_24
; %bb.25:
	s_and_b32 s0, s17, 7
	s_cmp_eq_u32 s0, 0
	s_cbranch_scc0 .LBB8_28
	s_branch .LBB8_30
.LBB8_26:
	s_waitcnt lgkmcnt(0)
	v_mov_b32_e32 v1, 0x7fc00000
	s_branch .LBB8_31
.LBB8_27:
	s_mov_b32 s20, 0
	v_mov_b32_e32 v7, 0
	s_and_b32 s0, s17, 7
	s_cmp_eq_u32 s0, 0
	s_cbranch_scc1 .LBB8_30
.LBB8_28:
	s_lshl_b32 s1, s20, 3
	v_lshl_or_b32 v2, s20, 6, v0
	s_add_i32 s1, s1, 0
	s_mov_b32 s2, 0x3fb8aa3b
	s_mov_b32 s3, 0xc2ce8ed0
	;; [unrolled: 1-line block ×3, first 2 shown]
	v_mov_b32_e32 v4, 0x7f800000
	v_mov_b32_e32 v3, 0
	;; [unrolled: 1-line block ×3, first 2 shown]
.LBB8_29:                               ; =>This Inner Loop Header: Depth=1
	v_lshlrev_b64 v[8:9], 2, v[2:3]
	v_add_co_u32_e32 v8, vcc, s18, v8
	v_addc_co_u32_e32 v9, vcc, v5, v9, vcc
	global_load_dword v10, v[8:9], off
	v_mov_b32_e32 v8, s1
	ds_read_b64 v[8:9], v8
	s_add_i32 s1, s1, 8
	s_add_i32 s0, s0, -1
	v_add_u32_e32 v2, 64, v2
	s_cmp_lg_u32 s0, 0
	s_waitcnt lgkmcnt(0)
	v_sub_f32_e32 v8, v8, v1
	v_mul_f32_e32 v11, 0x3fb8aa3b, v8
	v_fma_f32 v12, v8, s2, -v11
	v_rndne_f32_e32 v13, v11
	v_fmac_f32_e32 v12, 0x32a5705f, v8
	v_sub_f32_e32 v11, v11, v13
	v_add_f32_e32 v11, v11, v12
	v_cvt_i32_f32_e32 v13, v13
	v_exp_f32_e32 v11, v11
	v_cmp_ngt_f32_e32 vcc, s3, v8
	v_ldexp_f32 v11, v11, v13
	v_cndmask_b32_e32 v11, 0, v11, vcc
	v_cmp_nlt_f32_e32 vcc, s4, v8
	v_cndmask_b32_e32 v8, v4, v11, vcc
	v_fmac_f32_e32 v7, v8, v9
	s_waitcnt vmcnt(0)
	v_fmac_f32_e32 v6, v10, v8
	s_cbranch_scc1 .LBB8_29
.LBB8_30:
	s_waitcnt lgkmcnt(0)
	v_div_scale_f32 v1, s[0:1], v7, v7, v6
	v_rcp_f32_e32 v2, v1
	v_div_scale_f32 v3, vcc, v6, v7, v6
	v_fma_f32 v4, -v1, v2, 1.0
	v_fmac_f32_e32 v2, v4, v2
	v_mul_f32_e32 v4, v3, v2
	v_fma_f32 v5, -v1, v4, v3
	v_fmac_f32_e32 v4, v5, v2
	v_fma_f32 v1, -v1, v4, v3
	v_div_fmas_f32 v1, v1, v2, v4
	v_div_fixup_f32 v1, v1, v7, v6
.LBB8_31:
	s_lshl_b32 s0, s16, 6
	s_ashr_i32 s1, s0, 31
	s_lshl_b64 s[0:1], s[0:1], 2
	s_add_u32 s0, s14, s0
	s_addc_u32 s1, s15, s1
	v_lshlrev_b32_e32 v0, 2, v0
	global_store_dword v0, v1, s[0:1]
	s_endpgm
	.section	.rodata,"a",@progbits
	.p2align	6, 0x0
	.amdhsa_kernel _ZL26flash_attn_combine_resultsILi64EEvPKfPK15HIP_vector_typeIfLj2EEPfi
		.amdhsa_group_segment_fixed_size 0
		.amdhsa_private_segment_fixed_size 0
		.amdhsa_kernarg_size 288
		.amdhsa_user_sgpr_count 6
		.amdhsa_user_sgpr_private_segment_buffer 1
		.amdhsa_user_sgpr_dispatch_ptr 0
		.amdhsa_user_sgpr_queue_ptr 0
		.amdhsa_user_sgpr_kernarg_segment_ptr 1
		.amdhsa_user_sgpr_dispatch_id 0
		.amdhsa_user_sgpr_flat_scratch_init 0
		.amdhsa_user_sgpr_kernarg_preload_length 0
		.amdhsa_user_sgpr_kernarg_preload_offset 0
		.amdhsa_user_sgpr_private_segment_size 0
		.amdhsa_uses_dynamic_stack 0
		.amdhsa_system_sgpr_private_segment_wavefront_offset 0
		.amdhsa_system_sgpr_workgroup_id_x 1
		.amdhsa_system_sgpr_workgroup_id_y 1
		.amdhsa_system_sgpr_workgroup_id_z 1
		.amdhsa_system_sgpr_workgroup_info 0
		.amdhsa_system_vgpr_workitem_id 0
		.amdhsa_next_free_vgpr 51
		.amdhsa_next_free_sgpr 26
		.amdhsa_accum_offset 52
		.amdhsa_reserve_vcc 1
		.amdhsa_reserve_flat_scratch 0
		.amdhsa_float_round_mode_32 0
		.amdhsa_float_round_mode_16_64 0
		.amdhsa_float_denorm_mode_32 3
		.amdhsa_float_denorm_mode_16_64 3
		.amdhsa_dx10_clamp 1
		.amdhsa_ieee_mode 1
		.amdhsa_fp16_overflow 0
		.amdhsa_tg_split 0
		.amdhsa_exception_fp_ieee_invalid_op 0
		.amdhsa_exception_fp_denorm_src 0
		.amdhsa_exception_fp_ieee_div_zero 0
		.amdhsa_exception_fp_ieee_overflow 0
		.amdhsa_exception_fp_ieee_underflow 0
		.amdhsa_exception_fp_ieee_inexact 0
		.amdhsa_exception_int_div_zero 0
	.end_amdhsa_kernel
	.section	.text._ZL26flash_attn_combine_resultsILi64EEvPKfPK15HIP_vector_typeIfLj2EEPfi,"axG",@progbits,_ZL26flash_attn_combine_resultsILi64EEvPKfPK15HIP_vector_typeIfLj2EEPfi,comdat
.Lfunc_end8:
	.size	_ZL26flash_attn_combine_resultsILi64EEvPKfPK15HIP_vector_typeIfLj2EEPfi, .Lfunc_end8-_ZL26flash_attn_combine_resultsILi64EEvPKfPK15HIP_vector_typeIfLj2EEPfi
                                        ; -- End function
	.section	.AMDGPU.csdata,"",@progbits
; Kernel info:
; codeLenInByte = 3028
; NumSgprs: 30
; NumVgprs: 51
; NumAgprs: 0
; TotalNumVgprs: 51
; ScratchSize: 0
; MemoryBound: 0
; FloatMode: 240
; IeeeMode: 1
; LDSByteSize: 0 bytes/workgroup (compile time only)
; SGPRBlocks: 3
; VGPRBlocks: 6
; NumSGPRsForWavesPerEU: 30
; NumVGPRsForWavesPerEU: 51
; AccumOffset: 52
; Occupancy: 8
; WaveLimiterHint : 0
; COMPUTE_PGM_RSRC2:SCRATCH_EN: 0
; COMPUTE_PGM_RSRC2:USER_SGPR: 6
; COMPUTE_PGM_RSRC2:TRAP_HANDLER: 0
; COMPUTE_PGM_RSRC2:TGID_X_EN: 1
; COMPUTE_PGM_RSRC2:TGID_Y_EN: 1
; COMPUTE_PGM_RSRC2:TGID_Z_EN: 1
; COMPUTE_PGM_RSRC2:TIDIG_COMP_CNT: 0
; COMPUTE_PGM_RSRC3_GFX90A:ACCUM_OFFSET: 12
; COMPUTE_PGM_RSRC3_GFX90A:TG_SPLIT: 0
	.section	.text._ZL18flash_attn_ext_f16ILi80ELi80ELi8ELi2ELb0ELb0EEvPKcS1_S1_S1_S1_PKiPfP15HIP_vector_typeIfLj2EEffffjfiS5_IjLj3EEiiiiiiiiiiiliiliiiiil,"axG",@progbits,_ZL18flash_attn_ext_f16ILi80ELi80ELi8ELi2ELb0ELb0EEvPKcS1_S1_S1_S1_PKiPfP15HIP_vector_typeIfLj2EEffffjfiS5_IjLj3EEiiiiiiiiiiiliiliiiiil,comdat
	.globl	_ZL18flash_attn_ext_f16ILi80ELi80ELi8ELi2ELb0ELb0EEvPKcS1_S1_S1_S1_PKiPfP15HIP_vector_typeIfLj2EEffffjfiS5_IjLj3EEiiiiiiiiiiiliiliiiiil ; -- Begin function _ZL18flash_attn_ext_f16ILi80ELi80ELi8ELi2ELb0ELb0EEvPKcS1_S1_S1_S1_PKiPfP15HIP_vector_typeIfLj2EEffffjfiS5_IjLj3EEiiiiiiiiiiiliiliiiiil
	.p2align	8
	.type	_ZL18flash_attn_ext_f16ILi80ELi80ELi8ELi2ELb0ELb0EEvPKcS1_S1_S1_S1_PKiPfP15HIP_vector_typeIfLj2EEffffjfiS5_IjLj3EEiiiiiiiiiiiliiliiiiil,@function
_ZL18flash_attn_ext_f16ILi80ELi80ELi8ELi2ELb0ELb0EEvPKcS1_S1_S1_S1_PKiPfP15HIP_vector_typeIfLj2EEffffjfiS5_IjLj3EEiiiiiiiiiiiliiliiiiil: ; @_ZL18flash_attn_ext_f16ILi80ELi80ELi8ELi2ELb0ELb0EEvPKcS1_S1_S1_S1_PKiPfP15HIP_vector_typeIfLj2EEffffjfiS5_IjLj3EEiiiiiiiiiiiliiliiiiil
; %bb.0:
	s_load_dwordx2 s[2:3], s[4:5], 0x80
	s_load_dwordx4 s[36:39], s[4:5], 0x64
	s_mov_b32 s44, s6
                                        ; implicit-def: $vgpr167 : SGPR spill to VGPR lane
	s_load_dword s35, s[4:5], 0xd0
	s_mov_b32 s0, 0
	s_waitcnt lgkmcnt(0)
	s_abs_i32 s1, s3
	v_cvt_f32_u32_e32 v1, s1
	s_sub_i32 s8, 0, s1
	s_abs_i32 s7, s37
	s_xor_b32 s6, s37, s3
	v_rcp_iflag_f32_e32 v1, v1
	s_ashr_i32 s6, s6, 31
	v_cvt_f32_ubyte0_e32 v3, 0
	v_mul_f32_e32 v1, 0x4f7ffffe, v1
	v_cvt_u32_f32_e32 v1, v1
	v_readfirstlane_b32 s9, v1
	s_mul_i32 s8, s8, s9
	s_mul_hi_u32 s8, s9, s8
	s_add_i32 s9, s9, s8
	s_mul_hi_u32 s8, s7, s9
	s_mul_i32 s9, s8, s1
	s_sub_i32 s7, s7, s9
	s_add_i32 s10, s8, 1
	s_sub_i32 s9, s7, s1
	s_cmp_ge_u32 s7, s1
	s_cselect_b32 s8, s10, s8
	s_cselect_b32 s7, s9, s7
	s_add_i32 s9, s8, 1
	s_cmp_ge_u32 s7, s1
	s_cselect_b32 s1, s9, s8
	s_add_i32 s2, s2, 63
	s_xor_b32 s1, s1, s6
	s_ashr_i32 s7, s2, 31
	s_sub_i32 s33, s1, s6
	s_lshr_b32 s1, s7, 26
	s_add_i32 s2, s2, s1
	s_add_i32 s1, s36, 7
	s_lshr_b32 s6, s1, 3
	s_add_i32 s1, s33, 1
	s_ashr_i32 s86, s2, 6
	s_lshr_b32 s2, s1, 31
	s_add_i32 s1, s1, s2
	s_ashr_i32 s1, s1, 1
	v_writelane_b32 v167, s6, 0
	s_mul_i32 s2, s6, s86
	v_writelane_b32 v167, s2, 1
	s_mul_i32 s1, s2, s1
	;; [unrolled: 2-line block ×3, first 2 shown]
	s_mul_i32 s6, s1, s38
	s_ashr_i32 s7, s6, 31
	v_cvt_f32_u32_e32 v1, s35
	v_writelane_b32 v167, s1, 3
	s_mul_i32 s1, s7, s44
	s_mul_hi_u32 s2, s6, s44
	s_add_i32 s1, s2, s1
	s_mul_i32 s8, s6, s44
	s_cmp_lg_u64 s[0:1], 0
	s_cbranch_scc0 .LBB9_2
; %bb.1:
	v_madmk_f32 v2, v3, 0x4f800000, v1
	v_rcp_f32_e32 v2, v2
	s_sub_u32 s0, 0, s35
	s_subb_u32 s9, 0, 0
	s_mov_b64 s[2:3], 0
	v_mul_f32_e32 v2, 0x5f7ffffc, v2
	v_mul_f32_e32 v4, 0x2f800000, v2
	v_trunc_f32_e32 v4, v4
	v_madmk_f32 v2, v4, 0xcf800000, v2
	v_cvt_u32_f32_e32 v4, v4
	v_cvt_u32_f32_e32 v2, v2
	v_readfirstlane_b32 s10, v4
	v_readfirstlane_b32 s11, v2
	s_mul_hi_u32 s13, s0, s11
	s_mul_i32 s14, s0, s10
	s_mul_i32 s12, s9, s11
	s_add_i32 s13, s13, s14
	s_add_i32 s13, s13, s12
	s_mul_i32 s15, s0, s11
	s_mul_hi_u32 s12, s11, s13
	s_mul_i32 s14, s11, s13
	s_mul_hi_u32 s11, s11, s15
	s_add_u32 s11, s11, s14
	s_addc_u32 s12, 0, s12
	s_mul_hi_u32 s16, s10, s15
	s_mul_i32 s15, s10, s15
	s_add_u32 s11, s11, s15
	s_mul_hi_u32 s14, s10, s13
	s_addc_u32 s11, s12, s16
	s_addc_u32 s12, s14, 0
	s_mul_i32 s13, s10, s13
	s_add_u32 s11, s11, s13
	s_addc_u32 s12, 0, s12
	v_add_co_u32_e32 v2, vcc, s11, v2
	s_cmp_lg_u64 vcc, 0
	s_addc_u32 s10, s10, s12
	v_readfirstlane_b32 s12, v2
	s_mul_i32 s11, s0, s10
	s_mul_hi_u32 s13, s0, s12
	s_add_i32 s11, s13, s11
	s_mul_i32 s9, s9, s12
	s_add_i32 s11, s11, s9
	s_mul_i32 s0, s0, s12
	s_mul_hi_u32 s13, s10, s0
	s_mul_i32 s14, s10, s0
	s_mul_i32 s16, s12, s11
	s_mul_hi_u32 s0, s12, s0
	s_mul_hi_u32 s15, s12, s11
	s_add_u32 s0, s0, s16
	s_addc_u32 s12, 0, s15
	s_add_u32 s0, s0, s14
	s_mul_hi_u32 s9, s10, s11
	s_addc_u32 s0, s12, s13
	s_addc_u32 s9, s9, 0
	s_mul_i32 s11, s10, s11
	s_add_u32 s0, s0, s11
	s_addc_u32 s9, 0, s9
	v_add_co_u32_e32 v2, vcc, s0, v2
	s_cmp_lg_u64 vcc, 0
	s_addc_u32 s9, s10, s9
	s_ashr_i32 s10, s1, 31
	s_add_u32 s0, s8, s10
	s_mov_b32 s11, s10
	s_addc_u32 s1, s1, s10
	s_xor_b64 s[0:1], s[0:1], s[10:11]
	v_readfirstlane_b32 s14, v2
	s_mul_i32 s13, s0, s9
	s_mul_hi_u32 s15, s0, s14
	s_mul_hi_u32 s12, s0, s9
	s_add_u32 s13, s15, s13
	s_addc_u32 s12, 0, s12
	s_mul_hi_u32 s16, s1, s14
	s_mul_i32 s14, s1, s14
	s_add_u32 s13, s13, s14
	s_mul_hi_u32 s15, s1, s9
	s_addc_u32 s12, s12, s16
	s_addc_u32 s13, s15, 0
	s_mul_i32 s9, s1, s9
	s_add_u32 s9, s12, s9
	s_addc_u32 s12, 0, s13
	s_add_u32 s13, s9, 1
	s_addc_u32 s14, s12, 0
	s_add_u32 s15, s9, 2
	s_mul_i32 s17, s35, s12
	s_mul_hi_u32 s18, s35, s9
	s_addc_u32 s16, s12, 0
	s_add_i32 s18, s18, s17
	s_mul_i32 s17, s35, s9
	v_mov_b32_e32 v2, s17
	v_sub_co_u32_e32 v2, vcc, s0, v2
	s_cmp_lg_u64 vcc, 0
	s_subb_u32 s0, s1, s18
	v_subrev_co_u32_e32 v4, vcc, s35, v2
	s_cmp_lg_u64 vcc, 0
	s_subb_u32 s1, s0, 0
	v_readfirstlane_b32 s17, v4
	s_cmp_ge_u32 s17, s35
	s_cselect_b32 s17, -1, 0
	s_cmp_eq_u32 s1, 0
	s_cselect_b32 s1, s17, -1
	s_cmp_lg_u32 s1, 0
	s_cselect_b32 s1, s16, s14
	v_readfirstlane_b32 s14, v2
	s_cselect_b32 s13, s15, s13
	s_cmp_ge_u32 s14, s35
	s_cselect_b32 s14, -1, 0
	s_cmp_eq_u32 s0, 0
	s_cselect_b32 s0, s14, -1
	s_cmp_lg_u32 s0, 0
	s_cselect_b32 s1, s1, s12
	s_cselect_b32 s0, s13, s9
	s_xor_b64 s[0:1], s[0:1], s[10:11]
	s_sub_u32 s54, s0, s10
	s_branch .LBB9_3
.LBB9_2:
	s_mov_b64 s[2:3], -1
                                        ; implicit-def: $sgpr54_sgpr55
.LBB9_3:
	s_load_dwordx2 s[0:1], s[4:5], 0x74
	v_cvt_f32_u32_e32 v2, s35
	s_andn2_b64 vcc, exec, s[2:3]
	s_waitcnt lgkmcnt(0)
	v_writelane_b32 v167, s0, 4
	v_writelane_b32 v167, s1, 5
	s_cbranch_vccnz .LBB9_5
; %bb.4:
	v_rcp_iflag_f32_e32 v4, v2
	s_sub_i32 s0, 0, s35
	v_mul_f32_e32 v4, 0x4f7ffffe, v4
	v_cvt_u32_f32_e32 v4, v4
	v_readfirstlane_b32 s1, v4
	s_mul_i32 s0, s0, s1
	s_mul_hi_u32 s0, s1, s0
	s_add_i32 s1, s1, s0
	s_mul_hi_u32 s0, s8, s1
	s_mul_i32 s2, s0, s35
	s_sub_i32 s2, s8, s2
	s_add_i32 s1, s0, 1
	s_sub_i32 s3, s2, s35
	s_cmp_ge_u32 s2, s35
	s_cselect_b32 s0, s1, s0
	s_cselect_b32 s2, s3, s2
	s_add_i32 s1, s0, 1
	s_cmp_ge_u32 s2, s35
	s_cselect_b32 s54, s1, s0
.LBB9_5:
	s_add_i32 s0, s44, 1
	s_mul_i32 s1, s7, s0
	s_mul_hi_u32 s2, s6, s0
	s_add_i32 s3, s2, s1
	s_mov_b32 s2, 0
	s_cmp_lg_u64 s[2:3], 0
	s_mul_i32 s2, s6, s0
	s_cbranch_scc0 .LBB9_7
; %bb.6:
	v_madmk_f32 v1, v3, 0x4f800000, v1
	v_rcp_f32_e32 v1, v1
	s_sub_u32 s6, 0, s35
	s_subb_u32 s7, 0, 0
	s_mov_b64 s[0:1], 0
	v_mul_f32_e32 v1, 0x5f7ffffc, v1
	v_mul_f32_e32 v3, 0x2f800000, v1
	v_trunc_f32_e32 v3, v3
	v_madmk_f32 v1, v3, 0xcf800000, v1
	v_cvt_u32_f32_e32 v3, v3
	v_cvt_u32_f32_e32 v1, v1
	v_readfirstlane_b32 s8, v3
	v_readfirstlane_b32 s9, v1
	s_mul_hi_u32 s11, s6, s9
	s_mul_i32 s12, s6, s8
	s_mul_i32 s10, s7, s9
	s_add_i32 s11, s11, s12
	s_add_i32 s11, s11, s10
	s_mul_i32 s13, s6, s9
	s_mul_hi_u32 s10, s9, s11
	s_mul_i32 s12, s9, s11
	s_mul_hi_u32 s9, s9, s13
	s_add_u32 s9, s9, s12
	s_addc_u32 s10, 0, s10
	s_mul_hi_u32 s14, s8, s13
	s_mul_i32 s13, s8, s13
	s_add_u32 s9, s9, s13
	s_mul_hi_u32 s12, s8, s11
	s_addc_u32 s9, s10, s14
	s_addc_u32 s10, s12, 0
	s_mul_i32 s11, s8, s11
	s_add_u32 s9, s9, s11
	s_addc_u32 s10, 0, s10
	v_add_co_u32_e32 v1, vcc, s9, v1
	s_cmp_lg_u64 vcc, 0
	s_addc_u32 s8, s8, s10
	v_readfirstlane_b32 s10, v1
	s_mul_i32 s9, s6, s8
	s_mul_hi_u32 s11, s6, s10
	s_add_i32 s9, s11, s9
	s_mul_i32 s7, s7, s10
	s_add_i32 s9, s9, s7
	s_mul_i32 s6, s6, s10
	s_mul_hi_u32 s11, s8, s6
	s_mul_i32 s12, s8, s6
	s_mul_i32 s14, s10, s9
	s_mul_hi_u32 s6, s10, s6
	s_mul_hi_u32 s13, s10, s9
	s_add_u32 s6, s6, s14
	s_addc_u32 s10, 0, s13
	s_add_u32 s6, s6, s12
	s_mul_hi_u32 s7, s8, s9
	s_addc_u32 s6, s10, s11
	s_addc_u32 s7, s7, 0
	s_mul_i32 s9, s8, s9
	s_add_u32 s6, s6, s9
	s_addc_u32 s7, 0, s7
	v_add_co_u32_e32 v1, vcc, s6, v1
	s_cmp_lg_u64 vcc, 0
	s_addc_u32 s10, s8, s7
	s_ashr_i32 s6, s3, 31
	s_add_u32 s8, s2, s6
	s_mov_b32 s7, s6
	s_addc_u32 s9, s3, s6
	s_xor_b64 s[8:9], s[8:9], s[6:7]
	v_readfirstlane_b32 s12, v1
	s_mul_i32 s11, s8, s10
	s_mul_hi_u32 s13, s8, s12
	s_mul_hi_u32 s3, s8, s10
	s_add_u32 s11, s13, s11
	s_addc_u32 s3, 0, s3
	s_mul_hi_u32 s14, s9, s12
	s_mul_i32 s12, s9, s12
	s_add_u32 s11, s11, s12
	s_mul_hi_u32 s13, s9, s10
	s_addc_u32 s3, s3, s14
	s_addc_u32 s11, s13, 0
	s_mul_i32 s10, s9, s10
	s_add_u32 s3, s3, s10
	s_addc_u32 s10, 0, s11
	s_add_u32 s11, s3, 1
	s_addc_u32 s12, s10, 0
	s_add_u32 s13, s3, 2
	s_mul_i32 s15, s35, s10
	s_mul_hi_u32 s16, s35, s3
	s_addc_u32 s14, s10, 0
	s_add_i32 s16, s16, s15
	s_mul_i32 s15, s35, s3
	v_mov_b32_e32 v1, s15
	v_sub_co_u32_e32 v1, vcc, s8, v1
	s_cmp_lg_u64 vcc, 0
	s_subb_u32 s8, s9, s16
	v_subrev_co_u32_e32 v3, vcc, s35, v1
	s_cmp_lg_u64 vcc, 0
	s_subb_u32 s9, s8, 0
	v_readfirstlane_b32 s15, v3
	s_cmp_ge_u32 s15, s35
	s_cselect_b32 s15, -1, 0
	s_cmp_eq_u32 s9, 0
	s_cselect_b32 s9, s15, -1
	s_cmp_lg_u32 s9, 0
	s_cselect_b32 s9, s14, s12
	v_readfirstlane_b32 s12, v1
	s_cselect_b32 s11, s13, s11
	s_cmp_ge_u32 s12, s35
	s_cselect_b32 s12, -1, 0
	s_cmp_eq_u32 s8, 0
	s_cselect_b32 s8, s12, -1
	s_cmp_lg_u32 s8, 0
	s_cselect_b32 s9, s9, s10
	s_cselect_b32 s8, s11, s3
	s_xor_b64 s[8:9], s[8:9], s[6:7]
	s_sub_u32 s58, s8, s6
	s_branch .LBB9_8
.LBB9_7:
	s_mov_b64 s[0:1], -1
                                        ; implicit-def: $sgpr58_sgpr59
.LBB9_8:
	s_load_dwordx2 s[6:7], s[4:5], 0x5c
	s_andn2_b64 vcc, exec, s[0:1]
	s_waitcnt lgkmcnt(0)
	v_writelane_b32 v167, s6, 6
	v_writelane_b32 v167, s7, 7
	s_cbranch_vccnz .LBB9_10
; %bb.9:
	v_rcp_iflag_f32_e32 v1, v2
	s_sub_i32 s0, 0, s35
	v_mul_f32_e32 v1, 0x4f7ffffe, v1
	v_cvt_u32_f32_e32 v1, v1
	v_readfirstlane_b32 s1, v1
	s_mul_i32 s0, s0, s1
	s_mul_hi_u32 s0, s1, s0
	s_add_i32 s1, s1, s0
	s_mul_hi_u32 s0, s2, s1
	s_mul_i32 s3, s0, s35
	s_sub_i32 s2, s2, s3
	s_add_i32 s1, s0, 1
	s_sub_i32 s3, s2, s35
	s_cmp_ge_u32 s2, s35
	s_cselect_b32 s0, s1, s0
	s_cselect_b32 s2, s3, s2
	s_add_i32 s1, s0, 1
	s_cmp_ge_u32 s2, s35
	s_cselect_b32 s58, s1, s0
.LBB9_10:
	s_abs_i32 s87, s86
	v_cvt_f32_u32_e32 v1, s87
	v_readlane_b32 s0, v167, 4
	s_load_dwordx16 s[16:31], s[4:5], 0x0
	s_load_dword s6, s[4:5], 0x40
	s_load_dwordx2 s[2:3], s[4:5], 0x8c
	s_load_dwordx4 s[40:43], s[4:5], 0x98
	s_load_dwordx2 s[46:47], s[4:5], 0xa8
	s_load_dwordx2 s[12:13], s[4:5], 0xb8
	;; [unrolled: 1-line block ×3, first 2 shown]
	v_readlane_b32 s1, v167, 5
	v_rcp_iflag_f32_e32 v1, v1
	s_waitcnt lgkmcnt(0)
	s_mov_b32 s1, s3
	s_ashr_i32 s34, s2, 2
	s_sub_i32 s2, 0, s87
	v_mul_f32_e32 v1, 0x4f7ffffe, v1
	v_cvt_u32_f32_e32 v1, v1
	s_ashr_i32 s45, s0, 3
	v_writelane_b32 v167, s0, 8
	v_writelane_b32 v167, s1, 9
	v_readfirstlane_b32 s52, v1
	s_mul_i32 s2, s2, s52
	s_ashr_i32 s1, s86, 31
	s_mul_hi_u32 s2, s52, s2
	v_writelane_b32 v167, s1, 10
	s_abs_i32 s1, s54
	s_add_i32 s52, s52, s2
	s_mul_hi_u32 s2, s1, s52
	s_mul_i32 s2, s2, s87
	s_sub_i32 s1, s1, s2
	s_ashr_i32 s55, s39, 3
	s_ashr_i32 s38, s13, 1
	;; [unrolled: 1-line block ×4, first 2 shown]
	s_sub_i32 s2, s1, s87
	s_cmp_ge_u32 s1, s87
	s_cselect_b32 s1, s2, s1
	s_sub_i32 s2, s1, s87
	s_cmp_ge_u32 s1, s87
	s_cselect_b32 s1, s2, s1
	s_xor_b32 s1, s1, s0
	s_sub_i32 s76, s1, s0
	s_sub_i32 s0, s58, s54
	s_add_i32 s2, s0, s76
	s_min_i32 s82, s86, s2
	s_cmp_gt_i32 s58, s54
	s_cselect_b64 s[10:11], -1, 0
	s_cmp_le_i32 s58, s54
	v_cvt_f16_f32_e32 v1, s6
	s_cselect_b64 s[0:1], -1, 0
	s_cmp_gt_i32 s86, s2
	s_cselect_b64 s[2:3], -1, 0
	s_or_b64 s[0:1], s[2:3], s[0:1]
	v_bfe_u32 v61, v0, 10, 10
	s_mov_b32 s61, 0
	s_and_b64 vcc, exec, s[0:1]
	v_pack_b32_f16 v19, v1, v1
	v_lshlrev_b32_e32 v45, 1, v61
	v_lshlrev_b32_e32 v68, 2, v61
	;; [unrolled: 1-line block ×3, first 2 shown]
	v_and_b32_e32 v25, 3, v61
	v_mbcnt_lo_u32_b32 v69, -1, 0
	s_cbranch_vccz .LBB9_13
; %bb.11:
	s_andn2_b64 vcc, exec, s[10:11]
	s_cbranch_vccz .LBB9_181
.LBB9_12:
	s_endpgm
.LBB9_13:
	s_cmp_eq_u64 s[24:25], 0
	v_writelane_b32 v167, s35, 11
	s_cselect_b64 s[0:1], -1, 0
	v_writelane_b32 v167, s0, 12
	s_cmp_lg_u64 s[26:27], 0
	v_writelane_b32 v167, s1, 13
	s_cselect_b64 s[0:1], -1, 0
	v_and_b32_e32 v1, 0x3ff, v0
	v_writelane_b32 v167, s0, 14
	v_lshrrev_b32_e32 v13, 3, v1
	v_writelane_b32 v167, s1, 15
	v_lshrrev_b32_e32 v11, 5, v1
	v_and_b32_e32 v2, 0x3f0, v68
	s_movk_i32 s0, 0xb0
	v_and_b32_e32 v5, 15, v1
	v_and_b32_e32 v7, 30, v13
	v_lshlrev_b32_e32 v10, 1, v1
	v_add_u32_e32 v27, v11, v45
	v_mad_u32_u24 v3, v2, s0, 0
	v_mul_u32_u24_e32 v6, 0xb0, v5
	v_lshlrev_b32_e32 v9, 2, v7
	v_and_b32_e32 v10, 62, v10
	v_lshrrev_b32_e32 v12, 1, v1
	v_add3_u32 v37, v3, v6, v9
	v_mul_u32_u24_e32 v3, 0x90, v27
	v_lshl_add_u32 v15, v61, 5, v12
	v_lshlrev_b32_e32 v12, 1, v10
	v_lshlrev_b32_e32 v14, 2, v1
	v_add3_u32 v39, 0, v3, v12
	v_and_b32_e32 v12, 4, v14
	v_mad_u32_u24 v3, v15, s0, 0
	v_lshlrev_b32_e32 v16, 2, v12
	s_movk_i32 s57, 0x80
	v_add3_u32 v41, v3, v16, s57
	v_and_b32_e32 v3, 48, v63
	v_mad_u32_u24 v20, v3, s0, 0
	v_add3_u32 v70, v20, v6, v9
	v_lshrrev_b32_e32 v6, 2, v1
	v_and_b32_e32 v9, 60, v6
	v_mul_u32_u24_e32 v21, 0x58, v9
	v_lshlrev_b32_e32 v4, 3, v61
	v_or_b32_e32 v6, 3, v6
	v_or_b32_e32 v21, v21, v5
	v_add_u32_e32 v8, v4, v13
	v_add_u16_e32 v3, v3, v9
	v_mul_u32_u24_e32 v6, 0xb0, v6
	v_mul_u32_u24_e32 v9, 0xb0, v9
	v_lshl_add_u32 v72, v21, 1, v20
	v_lshlrev_b32_e32 v21, 1, v5
	v_and_b32_e32 v14, 28, v14
	s_lshl_b32 s60, s44, 4
	s_ashr_i32 s39, s38, 31
	s_ashr_i32 s35, s34, 31
	v_mul_u32_u24_e32 v17, 0xb0, v8
	s_ashr_i32 s15, s14, 31
	v_add3_u32 v73, v20, v9, v21
	v_add3_u32 v74, v20, v6, v21
	v_lshlrev_b32_e32 v6, 2, v14
	s_lshl_b64 s[0:1], s[60:61], 3
	v_or_b32_e32 v9, v68, v1
	v_lshrrev_b32_e32 v28, 1, v61
	v_mul_u32_u24_e32 v18, 0xb0, v15
	v_add3_u32 v75, 0, v17, v6
	v_add_u32_e32 v6, 0, v16
	s_add_u32 s0, s30, s0
	v_lshlrev_b32_e32 v9, 3, v9
	v_or_b32_e32 v5, v63, v5
	v_add_u32_e32 v40, v11, v28
	v_add_co_u32_e32 v16, vcc, s0, v9
	v_mad_u32_u24 v26, v5, 44, v7
	v_add3_u32 v76, v6, v18, s57
	v_lshlrev_b32_e32 v6, 2, v40
	v_and_b32_e32 v7, 15, v40
	s_movk_i32 s0, 0x3c0
	v_add_u32_e32 v30, 2, v40
	v_and_or_b32 v29, v6, s0, v7
	v_lshlrev_b32_e32 v6, 2, v30
	v_and_b32_e32 v7, 15, v30
	s_movk_i32 s0, 0x7c0
	v_add_u32_e32 v32, 4, v40
	v_and_or_b32 v31, v6, s0, v7
	v_lshlrev_b32_e32 v6, 2, v32
	v_and_b32_e32 v7, 15, v32
	v_add_u32_e32 v34, 6, v40
	v_and_or_b32 v33, v6, s0, v7
	v_lshlrev_b32_e32 v6, 2, v34
	v_and_b32_e32 v7, 15, v34
	;; [unrolled: 4-line block ×3, first 2 shown]
	v_add_u32_e32 v42, 10, v40
	v_writelane_b32 v167, s44, 16
	v_and_or_b32 v38, v6, s0, v7
	v_lshlrev_b32_e32 v6, 2, v42
	v_and_b32_e32 v7, 15, v42
	v_add_u32_e32 v44, 12, v40
	v_and_or_b32 v43, v6, s0, v7
	v_lshlrev_b32_e32 v6, 2, v44
	v_and_b32_e32 v7, 15, v44
	v_add_u32_e32 v47, 14, v40
	v_readlane_b32 s11, v167, 3
	s_addc_u32 s1, s31, s1
	v_and_or_b32 v46, v6, s0, v7
	v_lshlrev_b32_e32 v6, 2, v47
	v_and_b32_e32 v7, 15, v47
	s_abs_i32 s88, s11
	v_and_or_b32 v48, v6, s0, v7
	v_cvt_f32_u32_e32 v7, s88
	v_add_u32_e32 v5, v13, v45
	v_lshlrev_b32_e32 v6, 2, v5
	v_and_b32_e32 v9, 15, v5
	s_movk_i32 s0, 0xfc0
	v_and_or_b32 v49, v6, s0, v9
	v_rcp_iflag_f32_e32 v6, v7
	v_add_u32_e32 v50, 8, v5
	v_readlane_b32 s44, v167, 2
	v_lshlrev_b32_e32 v5, 2, v50
	v_and_b32_e32 v7, 15, v50
	s_abs_i32 s89, s44
	s_movk_i32 s0, 0x1fc0
	s_abs_i32 s91, s12
	v_mul_f32_e32 v6, 0x4f7ffffe, v6
	v_cvt_f32_u32_e32 v9, s89
	v_and_or_b32 v51, v5, s0, v7
	v_cvt_f32_u32_e32 v7, s91
	v_cvt_u32_f32_e32 v6, v6
	v_readlane_b32 s42, v167, 1
	v_rcp_iflag_f32_e32 v5, v9
	s_abs_i32 s90, s42
	v_rcp_iflag_f32_e32 v7, v7
	v_readfirstlane_b32 s6, v6
	v_cvt_f32_u32_e32 v6, s90
	v_mul_f32_e32 v5, 0x4f7ffffe, v5
	v_mul_f32_e32 v7, 0x4f7ffffe, v7
	v_cvt_u32_f32_e32 v5, v5
	v_rcp_iflag_f32_e32 v6, v6
	v_cvt_u32_f32_e32 v7, v7
	v_and_or_b32 v2, v1, 14, v2
	s_mov_b32 s0, s12
	v_lshl_add_u32 v81, v26, 2, 0
	v_add_u16_e32 v28, v11, v28
	v_add_u16_e32 v11, v11, v45
	v_and_b32_e32 v26, 31, v1
	v_lshrrev_b32_e32 v2, 1, v2
	v_lshrrev_b16_e32 v3, 1, v3
	v_mov_b32_e32 v17, s1
	v_writelane_b32 v167, s0, 17
	v_lshrrev_b16_e32 v82, 1, v11
	v_mad_u32_u24 v11, v27, 44, v26
	v_mul_u32_u24_e32 v2, 0x90, v2
	v_lshlrev_b32_e32 v3, 2, v3
	v_writelane_b32 v167, s1, 18
	s_sub_i32 s0, 0, s91
	v_lshl_add_u32 v83, v11, 2, 0
	v_add_u32_e32 v11, 8, v27
	v_add3_u32 v71, 0, v2, v3
	v_mul_lo_u32 v2, s14, v15
	v_mul_f32_e32 v6, 0x4f7ffffe, v6
	v_readfirstlane_b32 s7, v5
	v_mul_lo_u32 v5, s0, v7
	v_lshrrev_b32_e32 v84, 1, v11
	v_mad_u32_u24 v11, v29, 44, v26
	v_ashrrev_i32_e32 v3, 31, v2
	v_and_b32_e32 v18, 1, v1
	v_cvt_u32_f32_e32 v6, v6
	v_mul_hi_u32 v5, v7, v5
	v_lshl_add_u32 v87, v11, 2, 0
	v_mad_u32_u24 v11, v31, 44, v26
	v_addc_co_u32_e32 v17, vcc, 0, v17, vcc
	v_add_u32_e32 v77, v7, v5
	v_lshlrev_b32_e32 v5, 4, v18
	v_lshlrev_b64 v[20:21], 2, v[2:3]
	v_lshl_add_u32 v90, v11, 2, 0
	v_mad_u32_u24 v11, v33, 44, v26
	v_add_co_u32_e32 v2, vcc, v5, v20
	v_lshl_add_u32 v93, v11, 2, 0
	v_mad_u32_u24 v11, v35, 44, v26
	v_addc_co_u32_e32 v3, vcc, 0, v21, vcc
	v_lshl_add_u32 v96, v11, 2, 0
	v_mad_u32_u24 v11, v38, 44, v26
	v_readfirstlane_b32 s10, v6
	v_mov_b32_e32 v6, s21
	v_add_co_u32_e32 v52, vcc, s20, v2
	v_mul_lo_u32 v2, s34, v15
	v_lshl_add_u32 v99, v11, 2, 0
	v_mad_u32_u24 v11, v43, 44, v26
	v_addc_co_u32_e32 v53, vcc, v3, v6, vcc
	v_ashrrev_i32_e32 v3, 31, v2
	v_lshl_add_u32 v102, v11, 2, 0
	v_mad_u32_u24 v11, v46, 44, v26
	v_lshlrev_b64 v[22:23], 2, v[2:3]
	v_lshl_add_u32 v105, v11, 2, 0
	v_mad_u32_u24 v11, v48, 44, v26
	v_add_co_u32_e32 v2, vcc, v5, v22
	v_and_b32_e32 v24, 7, v1
	v_lshl_add_u32 v108, v11, 2, 0
	v_add_u16_e32 v11, v13, v45
	v_addc_co_u32_e32 v3, vcc, 0, v23, vcc
	v_lshrrev_b16_e32 v109, 1, v11
	v_mad_u32_u24 v11, v49, 44, v24
	s_ashr_i32 s11, s11, 31
	v_cmp_gt_u32_e64 s[0:1], 64, v15
	v_mov_b32_e32 v5, s19
	v_add_co_u32_e32 v15, vcc, s18, v2
	v_lshl_add_u32 v111, v11, 2, 0
	v_mad_u32_u24 v11, v51, 44, v24
	v_writelane_b32 v167, s11, 19
	s_sub_i32 s11, 0, s88
	v_addc_co_u32_e32 v54, vcc, v3, v5, vcc
	v_add_u16_e32 v2, v4, v13
	v_lshl_add_u32 v114, v11, 2, 0
	s_mul_i32 s11, s11, s6
	v_lshlrev_b32_e32 v11, 2, v26
	v_lshrrev_b16_e32 v78, 1, v2
	v_mad_u32_u24 v2, v8, 44, v24
	s_mul_hi_u32 s11, s6, s11
	v_mov_b32_e32 v13, s23
	v_add_co_u32_e32 v115, vcc, s22, v11
	v_cmp_gt_u32_e64 s[2:3], 16, v8
	v_lshl_add_u32 v79, v2, 2, 0
	v_mul_lo_u32 v2, s34, v8
	v_add_u32_e32 v6, 32, v8
	v_mul_lo_u32 v8, s14, v8
	s_add_i32 s6, s6, s11
	v_addc_co_u32_e32 v116, vcc, 0, v13, vcc
	v_ashrrev_i32_e32 v9, 31, v8
	v_writelane_b32 v167, s6, 20
	s_ashr_i32 s6, s44, 31
	v_add_co_u32_e32 v117, vcc, s57, v52
	v_mul_lo_u32 v6, s14, v6
	v_lshrrev_b16_e32 v85, 1, v28
	v_mul_u32_u24_e32 v86, 0xb0, v29
	v_writelane_b32 v167, s6, 21
	s_sub_i32 s6, 0, s89
	v_addc_co_u32_e32 v118, vcc, 0, v53, vcc
	v_lshlrev_b64 v[28:29], 2, v[8:9]
	v_ashrrev_i32_e32 v7, 31, v6
	s_mul_i32 s6, s6, s7
	v_mov_b32_e32 v8, s21
	v_add_co_u32_e32 v119, vcc, s20, v28
	v_lshrrev_b32_e32 v88, 1, v30
	v_mul_u32_u24_e32 v89, 0xb0, v31
	s_mul_hi_u32 s6, s7, s6
	v_addc_co_u32_e32 v120, vcc, v8, v29, vcc
	v_lshlrev_b64 v[30:31], 2, v[6:7]
	s_add_i32 s6, s7, s6
	v_mov_b32_e32 v6, s21
	v_add_co_u32_e32 v121, vcc, s20, v30
	v_writelane_b32 v167, s6, 22
	s_ashr_i32 s6, s42, 31
	v_addc_co_u32_e32 v122, vcc, v6, v31, vcc
	v_ashrrev_i32_e32 v3, 31, v2
	v_writelane_b32 v167, s6, 23
	s_sub_i32 s6, 0, s90
	v_add_co_u32_e32 v123, vcc, s57, v15
	v_lshl_add_u32 v4, s34, 5, v2
	v_lshrrev_b32_e32 v91, 1, v32
	v_mul_u32_u24_e32 v92, 0xb0, v33
	s_mul_i32 s6, s6, s10
	v_addc_co_u32_e32 v124, vcc, 0, v54, vcc
	v_lshlrev_b64 v[32:33], 2, v[2:3]
	v_ashrrev_i32_e32 v5, 31, v4
	s_mul_hi_u32 s6, s10, s6
	v_mov_b32_e32 v2, s19
	v_add_co_u32_e32 v125, vcc, s18, v32
	v_lshrrev_b32_e32 v94, 1, v34
	v_mul_u32_u24_e32 v95, 0xb0, v35
	v_lshrrev_b32_e32 v97, 1, v36
	s_add_i32 s66, s10, s6
	s_lshl_b64 s[6:7], s[38:39], 1
	v_addc_co_u32_e32 v126, vcc, v2, v33, vcc
	v_lshlrev_b64 v[34:35], 2, v[4:5]
	v_bfe_u32 v36, v1, 3, 1
	v_cmp_gt_u32_e64 s[8:9], 16, v1
	v_add_u32_e32 v55, v63, v1
	v_writelane_b32 v167, s6, 24
	v_add_co_u32_e32 v127, vcc, s18, v34
	v_bfe_u32 v129, v1, 5, 1
	v_mul_lo_u32 v1, s45, v36
	v_cmp_eq_u32_e64 s[4:5], 0, v25
	v_cmp_ne_u32_e64 s[12:13], 0, v25
	v_mul_u32_u24_e32 v80, 0xb0, v55
	v_mul_u32_u24_e32 v98, 0xb0, v38
	v_lshrrev_b32_e32 v100, 1, v42
	v_mul_u32_u24_e32 v101, 0xb0, v43
	v_lshrrev_b32_e32 v103, 1, v44
	;; [unrolled: 2-line block ×3, first 2 shown]
	v_mul_u32_u24_e32 v107, 0xb0, v48
	v_mul_u32_u24_e32 v110, 0xb0, v49
	v_lshrrev_b32_e32 v112, 1, v50
	v_mul_u32_u24_e32 v113, 0xb0, v51
	v_writelane_b32 v167, s7, 25
	s_lshl_b64 s[68:69], s[14:15], 8
	s_lshl_b64 s[70:71], s[34:35], 8
	v_addc_co_u32_e32 v128, vcc, v2, v35, vcc
	s_mov_b32 s39, 0x3fb8aa3b
	s_mov_b32 s67, 0xc2ce8ed0
	;; [unrolled: 1-line block ×5, first 2 shown]
	v_mov_b32_e32 v130, 0
	v_add3_u32 v38, v1, v24, 32
	v_add_u32_e32 v131, 32, v73
	v_add_u32_e32 v132, 64, v73
	;; [unrolled: 1-line block ×5, first 2 shown]
	v_and_b32_e32 v40, 1, v40
	v_mbcnt_hi_u32_b32 v136, -1, v69
	v_mov_b32_e32 v137, 0x7f800000
	v_mad_u64_u32 v[42:43], s[10:11], s45, v129, v[26:27]
	v_lshlrev_b32_e32 v44, 4, v24
	v_writelane_b32 v167, s45, 26
	s_branch .LBB9_16
.LBB9_14:                               ;   in Loop: Header=BB9_16 Depth=1
	s_or_b64 exec, exec, s[72:73]
	s_barrier
.LBB9_15:                               ;   in Loop: Header=BB9_16 Depth=1
	s_add_i32 s10, s54, s86
	s_abs_i32 s42, s10
	s_mul_hi_u32 s44, s42, s52
	s_mul_i32 s44, s44, s87
	s_sub_i32 s42, s42, s44
	s_ashr_i32 s11, s10, 31
	s_sub_i32 s44, s42, s87
	s_cmp_ge_u32 s42, s87
	s_cselect_b32 s42, s44, s42
	s_sub_i32 s44, s42, s87
	s_cmp_ge_u32 s42, s87
	s_cselect_b32 s42, s44, s42
	s_xor_b32 s42, s42, s11
	s_sub_i32 s11, s11, s42
	s_add_i32 s54, s10, s11
	s_sub_i32 s42, s58, s54
	s_min_i32 s82, s86, s42
	s_cmp_gt_i32 s58, s54
	s_cselect_b64 s[10:11], -1, 0
	s_cmp_le_i32 s86, s42
	s_cselect_b64 s[44:45], -1, 0
	s_and_b64 s[44:45], s[44:45], s[10:11]
	s_mov_b32 s76, 0
	s_and_b64 vcc, exec, s[44:45]
	s_cbranch_vccz .LBB9_180
.LBB9_16:                               ; =>This Loop Header: Depth=1
                                        ;     Child Loop BB9_118 Depth 2
                                        ;     Child Loop BB9_35 Depth 2
	s_ashr_i32 s10, s54, 31
	v_readlane_b32 s11, v167, 19
	s_xor_b32 s10, s10, s11
	s_abs_i32 s11, s54
	v_readlane_b32 s42, v167, 20
	s_mul_hi_u32 s42, s11, s42
	s_mul_i32 s44, s42, s88
	s_sub_i32 s11, s11, s44
	s_add_i32 s44, s42, 1
	s_sub_i32 s45, s11, s88
	s_cmp_ge_u32 s11, s88
	s_cselect_b32 s42, s44, s42
	s_cselect_b32 s11, s45, s11
	s_add_i32 s44, s42, 1
	s_cmp_ge_u32 s11, s88
	s_cselect_b32 s11, s44, s42
	s_xor_b32 s11, s11, s10
	s_sub_i32 s10, s11, s10
	v_readlane_b32 s11, v167, 3
	s_mul_i32 s11, s10, s11
	s_sub_i32 s42, s54, s11
	s_ashr_i32 s11, s42, 31
	v_readlane_b32 s44, v167, 21
	s_xor_b32 s11, s11, s44
	s_abs_i32 s44, s42
	v_readlane_b32 s45, v167, 22
	s_mul_hi_u32 s45, s44, s45
	s_mul_i32 s48, s45, s89
	s_sub_i32 s44, s44, s48
	s_add_i32 s48, s45, 1
	s_sub_i32 s49, s44, s89
	s_cmp_ge_u32 s44, s89
	s_cselect_b32 s45, s48, s45
	s_cselect_b32 s44, s49, s44
	s_add_i32 s48, s45, 1
	s_cmp_ge_u32 s44, s89
	s_cselect_b32 s44, s48, s45
	s_xor_b32 s44, s44, s11
	s_sub_i32 s11, s44, s11
	v_readlane_b32 s44, v167, 2
	s_mul_i32 s44, s11, s44
	s_sub_i32 s44, s42, s44
	s_ashr_i32 s42, s44, 31
	v_readlane_b32 s45, v167, 23
	s_xor_b32 s42, s42, s45
	s_abs_i32 s45, s44
	s_mul_hi_u32 s48, s45, s66
	s_mul_i32 s49, s48, s90
	s_sub_i32 s45, s45, s49
	s_add_i32 s49, s48, 1
	s_sub_i32 s56, s45, s90
	s_cmp_ge_u32 s45, s90
	s_cselect_b32 s48, s49, s48
	s_cselect_b32 s45, s56, s45
	s_add_i32 s49, s48, 1
	s_cmp_ge_u32 s45, s90
	s_cselect_b32 s45, s49, s48
	s_xor_b32 s45, s45, s42
	s_sub_i32 s42, s45, s42
	v_readlane_b32 s45, v167, 1
	s_mul_i32 s45, s42, s45
	s_sub_i32 s44, s44, s45
	s_ashr_i32 s45, s44, 31
	v_readlane_b32 s48, v167, 10
	s_abs_i32 s44, s44
	s_xor_b32 s45, s45, s48
	s_mul_hi_u32 s48, s44, s52
	s_mul_i32 s49, s48, s87
	s_sub_i32 s44, s44, s49
	s_add_i32 s49, s48, 1
	s_sub_i32 s56, s44, s87
	s_cmp_ge_u32 s44, s87
	s_cselect_b32 s48, s49, s48
	s_cselect_b32 s44, s56, s44
	s_add_i32 s49, s48, 1
	s_cmp_ge_u32 s44, s87
	s_cselect_b32 s44, s49, s48
	v_readlane_b32 s48, v167, 14
	s_xor_b32 s44, s44, s45
	v_readlane_b32 s49, v167, 15
	s_andn2_b64 vcc, exec, s[48:49]
	s_sub_i32 s56, s44, s45
	s_cbranch_vccnz .LBB9_18
; %bb.17:                               ;   in Loop: Header=BB9_16 Depth=1
	v_readlane_b32 s44, v167, 0
	s_mul_i32 s44, s10, s44
	s_add_i32 s44, s56, s44
	s_ashr_i32 s45, s44, 31
	s_lshl_b64 s[44:45], s[44:45], 2
	s_add_u32 s44, s26, s44
	s_addc_u32 s45, s27, s45
	global_load_dword v1, v130, s[44:45]
	s_waitcnt vmcnt(0)
	v_readfirstlane_b32 s44, v1
	s_ashr_i32 s45, s44, 31
	s_lshr_b32 s45, s45, 26
	s_add_i32 s44, s44, s45
	s_ashr_i32 s44, s44, 6
	s_min_i32 s82, s82, s44
.LBB9_18:                               ;   in Loop: Header=BB9_16 Depth=1
	v_readlane_b32 s48, v167, 4
	v_readlane_b32 s49, v167, 5
	s_mul_i32 s44, s11, s33
	s_lshl_b32 s85, s42, 1
	s_mul_i32 s42, s10, s49
	s_add_i32 s72, s85, s44
	s_ashr_i32 s44, s42, 31
	s_add_u32 s42, s16, s42
	s_addc_u32 s45, s17, s44
	s_mul_i32 s44, s72, s48
	s_ashr_i32 s48, s44, 31
	s_add_u32 s44, s42, s44
	s_addc_u32 s45, s45, s48
	s_ashr_i32 s48, s10, 31
	s_mul_i32 s42, s10, s41
	s_mul_hi_u32 s49, s10, s40
	s_add_i32 s42, s49, s42
	s_mul_i32 s49, s48, s40
	v_readlane_b32 s74, v167, 8
	s_add_i32 s63, s42, s49
	s_mul_i32 s64, s10, s40
	v_readlane_b32 s75, v167, 9
	s_add_u32 s49, s18, s64
	s_mul_i32 s65, s11, s75
	s_addc_u32 s59, s19, s63
	s_ashr_i32 s42, s65, 31
	s_add_u32 s62, s49, s65
	s_addc_u32 s49, s59, s42
	s_abs_i32 s59, s10
	v_mul_hi_u32 v1, s59, v77
	v_mul_lo_u32 v1, v1, s91
	v_sub_u32_e32 v1, s59, v1
	s_mul_i32 s59, s36, s37
	v_subrev_u32_e32 v2, s91, v1
	v_cmp_le_u32_e32 vcc, s91, v1
	s_mul_i32 s59, s59, s10
	v_cndmask_b32_e32 v1, v1, v2, vcc
	s_add_i32 s59, s72, s59
	v_subrev_u32_e32 v2, s91, v1
	v_cmp_le_u32_e32 vcc, s91, v1
	s_mul_i32 s60, s59, 40
	v_cndmask_b32_e32 v1, v1, v2, vcc
	s_lshl_b64 s[74:75], s[60:61], 3
	v_xor_b32_e32 v1, s48, v1
	s_add_u32 s83, s28, s74
	s_mul_i32 s59, s10, s47
	s_mul_hi_u32 s60, s10, s46
	v_subrev_u32_e32 v1, s48, v1
	s_addc_u32 s84, s29, s75
	s_add_i32 s59, s60, s59
	s_mul_i32 s48, s48, s46
	s_add_i32 s60, s59, s48
	s_mul_i32 s93, s10, s46
	s_add_u32 s10, s20, s93
	s_mul_i32 s94, s11, s43
	s_addc_u32 s48, s21, s60
	s_ashr_i32 s95, s94, 31
	s_add_u32 s92, s10, s94
	s_addc_u32 s48, s48, s95
	s_ashr_i32 s73, s72, 31
	s_lshl_b64 s[10:11], s[72:73], 2
	v_ashrrev_i32_e32 v2, 31, v1
	v_mul_lo_u32 v3, v1, s51
	v_mul_hi_u32 v4, v1, s50
	s_add_u32 s59, s24, s10
	v_add_u32_e32 v3, v4, v3
	v_mul_lo_u32 v2, v2, s50
	v_mul_lo_u32 v46, v1, s50
	s_addc_u32 s72, s25, s11
	v_readlane_b32 s10, v167, 12
	v_add_u32_e32 v47, v3, v2
	v_mov_b32_e32 v1, s23
	v_add_co_u32_e32 v43, vcc, s22, v46
	v_readlane_b32 s11, v167, 13
	v_addc_co_u32_e32 v138, vcc, v1, v47, vcc
	s_and_b64 s[10:11], s[10:11], exec
	v_or_b32_e32 v13, s85, v129
	s_cselect_b32 s73, 0, s72
	s_cselect_b32 s72, 0, s59
	s_cmp_lg_u32 s76, 0
	v_cmp_gt_i32_e32 vcc, s33, v13
	s_cbranch_scc0 .LBB9_26
; %bb.19:                               ;   in Loop: Header=BB9_16 Depth=1
	s_lshl_b32 s59, s56, 3
	v_add_u32_e32 v1, s59, v82
	s_xor_b64 s[10:11], vcc, -1
	v_cmp_le_i32_e32 vcc, s36, v1
	s_or_b64 s[74:75], vcc, s[10:11]
	s_and_saveexec_b64 s[78:79], s[74:75]
	s_xor_b64 s[74:75], exec, s[78:79]
	s_cbranch_execz .LBB9_21
; %bb.20:                               ;   in Loop: Header=BB9_16 Depth=1
	ds_write_b32 v83, v130
                                        ; implicit-def: $vgpr1
.LBB9_21:                               ;   in Loop: Header=BB9_16 Depth=1
	s_andn2_saveexec_b64 s[74:75], s[74:75]
	s_cbranch_execz .LBB9_23
; %bb.22:                               ;   in Loop: Header=BB9_16 Depth=1
	v_mad_u64_u32 v[2:3], s[78:79], v1, s55, v[42:43]
	v_ashrrev_i32_e32 v3, 31, v2
	v_lshlrev_b64 v[2:3], 3, v[2:3]
	v_mov_b32_e32 v1, s45
	v_add_co_u32_e32 v2, vcc, s44, v2
	v_addc_co_u32_e32 v3, vcc, v1, v3, vcc
	global_load_dwordx2 v[2:3], v[2:3], off
	s_waitcnt vmcnt(0)
	v_cvt_f16_f32_e32 v1, v2
	v_cvt_f16_f32_e32 v2, v3
	v_pack_b32_f16 v1, v1, v2
	v_pk_mul_f16 v1, v19, v1
	ds_write_b32 v83, v1
.LBB9_23:                               ;   in Loop: Header=BB9_16 Depth=1
	s_or_b64 exec, exec, s[74:75]
	v_add_u32_e32 v1, s59, v84
	v_cmp_le_i32_e32 vcc, s36, v1
	s_or_b64 s[10:11], vcc, s[10:11]
	s_and_saveexec_b64 s[74:75], s[10:11]
	s_xor_b64 s[10:11], exec, s[74:75]
	s_cbranch_execnz .LBB9_27
; %bb.24:                               ;   in Loop: Header=BB9_16 Depth=1
	s_andn2_saveexec_b64 s[10:11], s[10:11]
	s_cbranch_execnz .LBB9_28
.LBB9_25:                               ;   in Loop: Header=BB9_16 Depth=1
	s_or_b64 exec, exec, s[10:11]
	s_and_saveexec_b64 s[74:75], s[2:3]
	s_cbranch_execnz .LBB9_29
	s_branch .LBB9_33
.LBB9_26:                               ;   in Loop: Header=BB9_16 Depth=1
	s_cbranch_execz .LBB9_15
	s_branch .LBB9_102
.LBB9_27:                               ;   in Loop: Header=BB9_16 Depth=1
	ds_write_b32 v83, v130 offset:1408
                                        ; implicit-def: $vgpr1
	s_andn2_saveexec_b64 s[10:11], s[10:11]
	s_cbranch_execz .LBB9_25
.LBB9_28:                               ;   in Loop: Header=BB9_16 Depth=1
	v_mad_u64_u32 v[2:3], s[74:75], v1, s55, v[42:43]
	v_ashrrev_i32_e32 v3, 31, v2
	v_lshlrev_b64 v[2:3], 3, v[2:3]
	v_mov_b32_e32 v1, s45
	v_add_co_u32_e32 v2, vcc, s44, v2
	v_addc_co_u32_e32 v3, vcc, v1, v3, vcc
	global_load_dwordx2 v[2:3], v[2:3], off
	s_waitcnt vmcnt(0)
	v_cvt_f16_f32_e32 v1, v2
	v_cvt_f16_f32_e32 v2, v3
	v_pack_b32_f16 v1, v1, v2
	v_pk_mul_f16 v1, v19, v1
	ds_write_b32 v83, v1 offset:1408
	s_or_b64 exec, exec, s[10:11]
	s_and_saveexec_b64 s[74:75], s[2:3]
	s_cbranch_execz .LBB9_33
.LBB9_29:                               ;   in Loop: Header=BB9_16 Depth=1
	v_or_b32_e32 v1, s59, v78
	v_or_b32_e32 v2, s85, v36
	v_cmp_le_i32_e32 vcc, s36, v1
	v_cmp_le_i32_e64 s[10:11], s33, v2
	s_or_b64 s[10:11], vcc, s[10:11]
	s_and_saveexec_b64 s[78:79], s[10:11]
	s_xor_b64 s[10:11], exec, s[78:79]
	s_cbranch_execz .LBB9_31
; %bb.30:                               ;   in Loop: Header=BB9_16 Depth=1
	ds_write_b32 v79, v130 offset:128
                                        ; implicit-def: $vgpr1
.LBB9_31:                               ;   in Loop: Header=BB9_16 Depth=1
	s_andn2_saveexec_b64 s[10:11], s[10:11]
	s_cbranch_execz .LBB9_33
; %bb.32:                               ;   in Loop: Header=BB9_16 Depth=1
	v_mad_u64_u32 v[2:3], s[10:11], v1, s55, v[38:39]
	v_ashrrev_i32_e32 v3, 31, v2
	v_lshlrev_b64 v[2:3], 3, v[2:3]
	v_mov_b32_e32 v1, s45
	v_add_co_u32_e32 v2, vcc, s44, v2
	v_addc_co_u32_e32 v3, vcc, v1, v3, vcc
	global_load_dwordx2 v[2:3], v[2:3], off
	s_waitcnt vmcnt(0)
	v_cvt_f16_f32_e32 v1, v2
	v_cvt_f16_f32_e32 v2, v3
	v_pack_b32_f16 v1, v1, v2
	v_pk_mul_f16 v1, v19, v1
	ds_write_b32 v79, v1 offset:128
.LBB9_33:                               ;   in Loop: Header=BB9_16 Depth=1
	s_or_b64 exec, exec, s[74:75]
	v_add_u32_e32 v1, s59, v27
	v_readlane_b32 s10, v167, 6
	v_mul_hi_u32 v11, s10, v1
	s_waitcnt lgkmcnt(0)
	s_barrier
	ds_read2_b64 v[6:9], v37 offset1:4
	ds_read2_b64 v[2:5], v37 offset0:8 offset1:12
	ds_read_b64 v[48:49], v37 offset:128
	v_readlane_b32 s11, v167, 7
	v_add_u32_e32 v11, v1, v11
	v_lshrrev_b32_e32 v11, s11, v11
	v_mul_lo_u32 v11, v11, s36
	v_sub_u32_e32 v1, v1, v11
	s_add_i32 s77, s82, -1
	v_mad_i64_i32 v[50:51], s[10:11], v1, s38, 0
	s_cmp_le_i32 s77, s76
	v_mov_b32_e32 v1, 0
	v_lshlrev_b64 v[52:53], 1, v[50:51]
	s_waitcnt lgkmcnt(0)
	s_barrier
	s_cbranch_scc1 .LBB9_41
; %bb.34:                               ;   in Loop: Header=BB9_16 Depth=1
	v_add_co_u32_e32 v1, vcc, v43, v52
	v_addc_co_u32_e32 v11, vcc, v138, v53, vcc
	v_lshlrev_b32_e32 v15, 1, v10
	v_add_co_u32_e32 v66, vcc, v1, v15
	v_and_b32_e32 v1, 64, v136
	v_addc_co_u32_e32 v67, vcc, 0, v11, vcc
	v_add_u32_e32 v1, 64, v1
	v_xor_b32_e32 v15, 32, v136
	v_cmp_lt_i32_e32 vcc, v15, v1
	v_cndmask_b32_e32 v15, v136, v15, vcc
	v_lshlrev_b32_e32 v139, 2, v15
	v_xor_b32_e32 v15, 16, v136
	v_cmp_lt_i32_e32 vcc, v15, v1
	v_cndmask_b32_e32 v1, v136, v15, vcc
	v_mov_b32_e32 v11, 0
	v_lshlrev_b32_e32 v140, 2, v1
	s_lshl_b32 s10, s76, 6
	v_mov_b32_e32 v141, 0
	v_mov_b32_e32 v142, 0xfeffffff
	;; [unrolled: 1-line block ×11, first 2 shown]
.LBB9_35:                               ;   Parent Loop BB9_16 Depth=1
                                        ; =>  This Inner Loop Header: Depth=2
	s_ashr_i32 s11, s10, 31
	s_lshl_b64 s[74:75], s[10:11], 1
	v_mov_b32_e32 v50, s75
	v_add_co_u32_e32 v54, vcc, s74, v66
	v_addc_co_u32_e32 v55, vcc, v67, v50, vcc
	global_load_dword v50, v[54:55], off
	s_mul_hi_i32 s75, s10, s34
	s_mul_i32 s74, s10, s34
	s_lshl_b64 s[74:75], s[74:75], 2
	s_add_u32 s11, s62, s74
	s_addc_u32 s78, s49, s75
	s_waitcnt vmcnt(0)
	ds_write_b32 v39, v50 offset:11264
	s_and_saveexec_b64 s[74:75], s[0:1]
	s_cbranch_execz .LBB9_37
; %bb.36:                               ;   in Loop: Header=BB9_35 Depth=2
	v_mov_b32_e32 v50, s78
	v_add_co_u32_e32 v54, vcc, s11, v22
	v_addc_co_u32_e32 v50, vcc, v50, v23, vcc
	v_lshlrev_b32_e32 v55, 2, v12
	v_add_co_u32_e32 v54, vcc, v54, v55
	v_addc_co_u32_e32 v55, vcc, 0, v50, vcc
	global_load_dwordx4 v[54:57], v[54:55], off offset:128
	s_waitcnt vmcnt(0)
	ds_write_b128 v41, v[54:57]
.LBB9_37:                               ;   in Loop: Header=BB9_35 Depth=2
	s_or_b64 exec, exec, s[74:75]
	v_mov_b32_e32 v50, s78
	v_add_co_u32_e32 v54, vcc, s11, v32
	v_addc_co_u32_e32 v50, vcc, v50, v33, vcc
	v_lshlrev_b32_e32 v143, 2, v14
	v_add_co_u32_e32 v54, vcc, v54, v143
	v_addc_co_u32_e32 v55, vcc, 0, v50, vcc
	v_mov_b32_e32 v50, s78
	v_add_co_u32_e32 v56, vcc, s11, v34
	v_addc_co_u32_e32 v50, vcc, v50, v35, vcc
	v_add_co_u32_e32 v144, vcc, v56, v143
	v_addc_co_u32_e32 v145, vcc, 0, v50, vcc
	global_load_dwordx4 v[54:57], v[54:55], off
	s_nop 0
	global_load_dwordx4 v[144:147], v[144:145], off
	v_add_u32_e32 v50, 0x2c00, v71
	s_mul_hi_i32 s75, s10, s14
	s_mul_i32 s74, s10, s14
	s_lshl_b64 s[74:75], s[74:75], 2
	s_add_u32 s11, s92, s74
	s_addc_u32 s78, s48, s75
	s_waitcnt vmcnt(1)
	ds_write_b128 v75, v[54:57]
	s_waitcnt vmcnt(0)
	ds_write_b128 v135, v[144:147]
	s_waitcnt lgkmcnt(0)
	s_barrier
	ds_read2_b64 v[54:57], v70 offset1:4
	s_waitcnt lgkmcnt(0)
	v_mfma_f32_16x16x16f16 v[144:147], v[54:55], v[6:7], 0
	v_mfma_f32_16x16x16f16 v[54:57], v[56:57], v[8:9], v[144:147]
	s_nop 7
	s_nop 1
	ds_read2_b64 v[144:147], v70 offset0:8 offset1:12
	s_waitcnt lgkmcnt(0)
	v_mfma_f32_16x16x16f16 v[54:57], v[144:145], v[2:3], v[54:57]
	ds_read_b64 v[144:145], v70 offset:128
	s_waitcnt lgkmcnt(0)
	s_barrier
	v_mfma_f32_16x16x16f16 v[54:57], v[146:147], v[4:5], v[54:57]
	ds_read2_b32 v[146:147], v50 offset1:1
	s_waitcnt lgkmcnt(0)
	v_cvt_f32_f16_e32 v148, v147
	v_cvt_f32_f16_sdwa v149, v147 dst_sel:DWORD dst_unused:UNUSED_PAD src0_sel:WORD_1
	v_cvt_f32_f16_e32 v150, v146
	v_cvt_f32_f16_sdwa v151, v146 dst_sel:DWORD dst_unused:UNUSED_PAD src0_sel:WORD_1
	v_mfma_f32_16x16x16f16 v[144:147], v[144:145], v[48:49], v[54:57]
	s_nop 7
	s_nop 2
	v_pk_add_f32 v[56:57], v[144:145], v[150:151]
	v_pk_add_f32 v[54:55], v[146:147], v[148:149]
	v_add_f32_e32 v145, 0x40051340, v56
	v_add_f32_e32 v146, 0x40051340, v57
	;; [unrolled: 1-line block ×4, first 2 shown]
	v_max3_f32 v145, v142, v145, v146
	v_max3_f32 v50, v145, v50, v144
	ds_bpermute_b32 v144, v139, v50
	s_waitcnt lgkmcnt(0)
	v_max_f32_e32 v144, v144, v144
	v_max_f32_e32 v50, v50, v144
	ds_bpermute_b32 v144, v140, v50
	s_and_saveexec_b64 s[74:75], s[0:1]
	s_cbranch_execz .LBB9_39
; %bb.38:                               ;   in Loop: Header=BB9_35 Depth=2
	v_mov_b32_e32 v145, s78
	v_add_co_u32_e32 v146, vcc, s11, v20
	v_addc_co_u32_e32 v145, vcc, v145, v21, vcc
	v_lshlrev_b32_e32 v147, 2, v12
	v_add_co_u32_e32 v146, vcc, v146, v147
	v_addc_co_u32_e32 v147, vcc, 0, v145, vcc
	global_load_dwordx4 v[146:149], v[146:147], off offset:128
	s_waitcnt vmcnt(0)
	ds_write_b128 v41, v[146:149]
.LBB9_39:                               ;   in Loop: Header=BB9_35 Depth=2
	s_or_b64 exec, exec, s[74:75]
	s_waitcnt lgkmcnt(0)
	v_max_f32_e32 v144, v144, v144
	v_max_f32_e32 v50, v50, v50
	;; [unrolled: 1-line block ×3, first 2 shown]
	v_pk_add_f32 v[56:57], v[56:57], v[50:51] op_sel_hi:[1,0] neg_lo:[0,1] neg_hi:[0,1]
	v_mul_f32_e32 v144, 0x3fb8aa3b, v57
	v_fma_f32 v145, v57, s39, -v144
	v_rndne_f32_e32 v146, v144
	v_fmac_f32_e32 v145, 0x32a5705f, v57
	v_sub_f32_e32 v144, v144, v146
	v_add_f32_e32 v144, v144, v145
	v_exp_f32_e32 v152, v144
	v_mov_b32_e32 v144, s78
	v_add_co_u32_e32 v145, vcc, s11, v28
	v_cvt_i32_f32_e32 v153, v146
	v_addc_co_u32_e32 v146, vcc, v144, v29, vcc
	v_add_co_u32_e32 v144, vcc, v145, v143
	v_addc_co_u32_e32 v145, vcc, 0, v146, vcc
	v_mov_b32_e32 v146, s78
	v_add_co_u32_e32 v147, vcc, s11, v30
	v_addc_co_u32_e32 v146, vcc, v146, v31, vcc
	v_add_co_u32_e32 v148, vcc, v147, v143
	v_addc_co_u32_e32 v149, vcc, 0, v146, vcc
	global_load_dwordx4 v[144:147], v[144:145], off
	s_nop 0
	global_load_dwordx4 v[148:151], v[148:149], off
	v_ldexp_f32 v143, v152, v153
	v_mul_f32_e32 v152, 0x3fb8aa3b, v56
	v_fma_f32 v153, v56, s39, -v152
	v_rndne_f32_e32 v154, v152
	v_fmac_f32_e32 v153, 0x32a5705f, v56
	v_sub_f32_e32 v152, v152, v154
	v_add_f32_e32 v152, v152, v153
	v_exp_f32_e32 v152, v152
	v_cvt_i32_f32_e32 v153, v154
	v_cmp_ngt_f32_e32 vcc, s67, v57
	v_cndmask_b32_e32 v143, 0, v143, vcc
	v_cmp_nlt_f32_e32 vcc, s7, v57
	v_pk_add_f32 v[54:55], v[54:55], v[50:51] op_sel_hi:[1,0] neg_lo:[0,1] neg_hi:[0,1]
	v_cndmask_b32_e32 v57, v137, v143, vcc
	v_ldexp_f32 v143, v152, v153
	v_mul_f32_e32 v152, 0x3fb8aa3b, v55
	v_fma_f32 v153, v55, s39, -v152
	v_rndne_f32_e32 v154, v152
	v_fmac_f32_e32 v153, 0x32a5705f, v55
	v_sub_f32_e32 v152, v152, v154
	v_add_f32_e32 v152, v152, v153
	v_exp_f32_e32 v152, v152
	v_cvt_i32_f32_e32 v153, v154
	v_cmp_ngt_f32_e32 vcc, s67, v56
	v_cndmask_b32_e32 v143, 0, v143, vcc
	v_cmp_nlt_f32_e32 vcc, s7, v56
	v_cndmask_b32_e32 v56, v137, v143, vcc
	v_ldexp_f32 v143, v152, v153
	v_mul_f32_e32 v152, 0x3fb8aa3b, v54
	v_fma_f32 v153, v54, s39, -v152
	v_rndne_f32_e32 v154, v152
	v_fmac_f32_e32 v153, 0x32a5705f, v54
	v_sub_f32_e32 v152, v152, v154
	v_add_f32_e32 v152, v152, v153
	v_exp_f32_e32 v152, v152
	v_cvt_i32_f32_e32 v153, v154
	v_cmp_ngt_f32_e32 vcc, s67, v55
	v_cndmask_b32_e32 v143, 0, v143, vcc
	v_cmp_nlt_f32_e32 vcc, s7, v55
	v_sub_f32_e32 v142, v142, v50
	v_cndmask_b32_e32 v55, v137, v143, vcc
	v_ldexp_f32 v143, v152, v153
	v_mul_f32_e32 v152, 0x3fb8aa3b, v142
	v_fma_f32 v153, v142, s39, -v152
	v_rndne_f32_e32 v154, v152
	v_fmac_f32_e32 v153, 0x32a5705f, v142
	v_sub_f32_e32 v152, v152, v154
	v_add_f32_e32 v152, v152, v153
	v_exp_f32_e32 v152, v152
	v_cvt_i32_f32_e32 v153, v154
	v_cmp_ngt_f32_e32 vcc, s67, v54
	v_cndmask_b32_e32 v143, 0, v143, vcc
	v_cmp_nlt_f32_e32 vcc, s7, v54
	v_cndmask_b32_e32 v143, v137, v143, vcc
	v_ldexp_f32 v152, v152, v153
	v_cmp_ngt_f32_e32 vcc, s67, v142
	v_cndmask_b32_e32 v152, 0, v152, vcc
	v_cmp_nlt_f32_e32 vcc, s7, v142
	v_cndmask_b32_e32 v152, v137, v152, vcc
	v_cmp_le_f32_e32 vcc, s6, v142
	v_cndmask_b32_e32 v142, 0, v152, vcc
	v_cvt_f16_f32_e32 v152, v142
	v_add_f32_e32 v54, v56, v57
	v_add_f32_e32 v54, v143, v54
	;; [unrolled: 1-line block ×3, first 2 shown]
	v_fmac_f32_e32 v54, v141, v142
	v_pk_mul_f16 v141, v152, v59 op_sel_hi:[0,1]
	v_pk_mul_f16 v154, v152, v65 op_sel_hi:[0,1]
	;; [unrolled: 1-line block ×3, first 2 shown]
	s_waitcnt vmcnt(1)
	ds_write_b128 v75, v[144:147]
	s_waitcnt vmcnt(0)
	ds_write_b128 v135, v[148:151]
	s_waitcnt lgkmcnt(0)
	s_barrier
	ds_read_u16 v59, v73 offset:176
	ds_read_u16 v64, v73 offset:352
	ds_read_u16 v65, v74
	v_pk_mul_f16 v51, v152, v51 op_sel_hi:[0,1]
	v_cvt_f16_f32_e32 v142, v57
	v_cvt_f16_f32_e32 v156, v56
	v_cvt_f32_f16_e32 v56, v51
	v_cvt_f32_f16_sdwa v57, v51 dst_sel:DWORD dst_unused:UNUSED_PAD src0_sel:WORD_1
	ds_read_u16 v51, v72
	ds_read_u16 v144, v72 offset:32
	ds_read_u16 v145, v72 offset:64
	;; [unrolled: 1-line block ×4, first 2 shown]
	v_pk_mul_f16 v15, v152, v15 op_sel_hi:[0,1]
	v_cvt_f16_f32_e32 v55, v55
	v_cvt_f16_f32_e32 v143, v143
	s_waitcnt lgkmcnt(5)
	v_perm_b32 v65, v65, v64, s53
	s_waitcnt lgkmcnt(4)
	v_perm_b32 v64, v59, v51, s53
	v_pk_mul_f16 v153, v152, v58 op_sel_hi:[0,1]
	v_cvt_f32_f16_e32 v58, v15
	v_cvt_f32_f16_sdwa v59, v15 dst_sel:DWORD dst_unused:UNUSED_PAD src0_sel:WORD_1
	v_pack_b32_f16 v150, v156, v142
	v_pack_b32_f16 v151, v143, v55
	ds_read_u16 v15, v74 offset:32
	v_pk_mul_f16 v11, v152, v11 op_sel_hi:[0,1]
	v_mfma_f32_16x16x16f16 v[56:59], v[64:65], v[150:151], v[56:59]
	v_pk_mul_f16 v60, v152, v60 op_sel_hi:[0,1]
	v_pk_mul_f16 v62, v152, v62 op_sel_hi:[0,1]
	;; [unrolled: 1-line block ×3, first 2 shown]
	s_add_i32 s76, s76, 1
	s_add_i32 s10, s10, 64
	s_cmp_lt_i32 s76, s77
	s_nop 4
	v_cvt_f16_f32_e32 v51, v56
	v_cvt_f16_f32_e32 v55, v57
	;; [unrolled: 1-line block ×3, first 2 shown]
	v_cvt_f32_f16_e32 v56, v11
	v_cvt_f32_f16_sdwa v57, v11 dst_sel:DWORD dst_unused:UNUSED_PAD src0_sel:WORD_1
	ds_read_u16 v11, v131 offset:176
	ds_read_u16 v59, v131 offset:352
	;; [unrolled: 1-line block ×7, first 2 shown]
	s_waitcnt lgkmcnt(5)
	v_perm_b32 v65, v15, v59, s53
	v_perm_b32 v64, v11, v144, s53
	v_cvt_f16_f32_e32 v142, v58
	v_cvt_f32_f16_e32 v58, v60
	v_cvt_f32_f16_sdwa v59, v60 dst_sel:DWORD dst_unused:UNUSED_PAD src0_sel:WORD_1
	v_pack_b32_f16 v51, v51, v55
	v_pack_b32_f16 v15, v142, v143
	v_mfma_f32_16x16x16f16 v[56:59], v[64:65], v[150:151], v[56:59]
	v_cvt_f32_f16_e32 v142, v141
	v_cvt_f32_f16_sdwa v143, v141 dst_sel:DWORD dst_unused:UNUSED_PAD src0_sel:WORD_1
	v_cvt_f32_f16_e32 v144, v153
	s_nop 7
	v_cvt_f16_f32_e32 v11, v56
	v_cvt_f16_f32_e32 v55, v57
	s_waitcnt lgkmcnt(2)
	v_perm_b32 v57, v156, v148, s53
	v_perm_b32 v56, v147, v145, s53
	v_cvt_f32_f16_sdwa v145, v153 dst_sel:DWORD dst_unused:UNUSED_PAD src0_sel:WORD_1
	v_cvt_f16_f32_e32 v60, v58
	v_cvt_f16_f32_e32 v64, v59
	v_mfma_f32_16x16x16f16 v[56:59], v[56:57], v[150:151], v[142:145]
	v_pack_b32_f16 v11, v11, v55
	v_cvt_f32_f16_sdwa v147, v62 dst_sel:DWORD dst_unused:UNUSED_PAD src0_sel:WORD_1
	v_cvt_f32_f16_e32 v148, v1
	v_pack_b32_f16 v60, v60, v64
	s_nop 2
	v_cvt_f32_f16_e32 v142, v154
	v_cvt_f32_f16_sdwa v143, v154 dst_sel:DWORD dst_unused:UNUSED_PAD src0_sel:WORD_1
	v_cvt_f32_f16_e32 v144, v155
	s_nop 0
	v_cvt_f16_f32_e32 v55, v56
	v_cvt_f16_f32_e32 v65, v57
	ds_read_u16 v56, v133 offset:176
	ds_read_u16 v57, v133 offset:352
	v_cvt_f32_f16_sdwa v145, v155 dst_sel:DWORD dst_unused:UNUSED_PAD src0_sel:WORD_1
	ds_read_u16 v152, v134 offset:176
	ds_read_u16 v153, v134 offset:352
	v_cvt_f16_f32_e32 v141, v59
	s_waitcnt lgkmcnt(3)
	v_perm_b32 v56, v56, v146, s53
	s_waitcnt lgkmcnt(2)
	v_perm_b32 v57, v157, v57, s53
	v_cvt_f32_f16_e32 v146, v62
	v_pack_b32_f16 v59, v55, v65
	v_mfma_f32_16x16x16f16 v[142:145], v[56:57], v[150:151], v[142:145]
	s_waitcnt lgkmcnt(0)
	v_perm_b32 v57, v158, v153, s53
	v_perm_b32 v56, v152, v149, s53
	v_cvt_f32_f16_sdwa v149, v1 dst_sel:DWORD dst_unused:UNUSED_PAD src0_sel:WORD_1
	v_cvt_f16_f32_e32 v58, v58
	s_barrier
	s_nop 4
	v_cvt_f16_f32_e32 v55, v142
	v_cvt_f16_f32_e32 v1, v143
	;; [unrolled: 1-line block ×4, first 2 shown]
	v_mfma_f32_16x16x16f16 v[142:145], v[56:57], v[150:151], v[146:149]
	v_pack_b32_f16 v58, v58, v141
	v_pack_b32_f16 v65, v55, v1
	;; [unrolled: 1-line block ×3, first 2 shown]
	s_nop 7
	v_cvt_f16_f32_e32 v56, v142
	v_cvt_f16_f32_e32 v57, v143
	;; [unrolled: 1-line block ×4, first 2 shown]
	v_pack_b32_f16 v62, v56, v57
	v_pack_b32_f16 v1, v141, v142
	s_cbranch_scc0 .LBB9_42
; %bb.40:                               ;   in Loop: Header=BB9_35 Depth=2
	v_mov_b32_e32 v141, v54
	v_mov_b32_e32 v142, v50
	s_branch .LBB9_35
.LBB9_41:                               ;   in Loop: Header=BB9_16 Depth=1
	v_mov_b32_e32 v54, 0
	v_mov_b32_e32 v50, 0xfeffffff
	;; [unrolled: 1-line block ×11, first 2 shown]
.LBB9_42:                               ;   in Loop: Header=BB9_16 Depth=1
	s_lshl_b32 s10, s76, 6
	s_ashr_i32 s11, s10, 31
	s_lshl_b64 s[74:75], s[10:11], 1
	v_mov_b32_e32 v55, s75
	v_add_co_u32_e32 v56, vcc, s74, v43
	v_addc_co_u32_e32 v55, vcc, v138, v55, vcc
	v_add_co_u32_e32 v52, vcc, v56, v52
	v_addc_co_u32_e32 v53, vcc, v55, v53, vcc
	v_lshlrev_b32_e32 v55, 1, v10
	v_add_co_u32_e32 v52, vcc, v52, v55
	v_addc_co_u32_e32 v53, vcc, 0, v53, vcc
	global_load_dword v52, v[52:53], off
	s_mul_hi_i32 s75, s34, s10
	s_mul_i32 s74, s34, s10
	s_lshl_b64 s[74:75], s[74:75], 2
	s_add_u32 s11, s62, s74
	s_addc_u32 s76, s49, s75
	s_waitcnt vmcnt(0)
	ds_write_b32 v39, v52 offset:11264
	s_and_saveexec_b64 s[74:75], s[0:1]
	s_cbranch_execz .LBB9_44
; %bb.43:                               ;   in Loop: Header=BB9_16 Depth=1
	v_mov_b32_e32 v52, s76
	v_add_co_u32_e32 v53, vcc, s11, v22
	v_addc_co_u32_e32 v55, vcc, v52, v23, vcc
	v_lshlrev_b32_e32 v52, 2, v12
	v_add_co_u32_e32 v52, vcc, v53, v52
	v_addc_co_u32_e32 v53, vcc, 0, v55, vcc
	global_load_dwordx4 v[140:143], v[52:53], off offset:128
	s_waitcnt vmcnt(0)
	ds_write_b128 v76, v[140:143]
.LBB9_44:                               ;   in Loop: Header=BB9_16 Depth=1
	s_or_b64 exec, exec, s[74:75]
	v_mov_b32_e32 v52, s76
	v_add_co_u32_e32 v53, vcc, s11, v32
	v_addc_co_u32_e32 v55, vcc, v52, v33, vcc
	v_lshlrev_b32_e32 v52, 2, v14
	v_add_co_u32_e32 v56, vcc, v53, v52
	v_addc_co_u32_e32 v57, vcc, 0, v55, vcc
	v_mov_b32_e32 v53, s76
	v_add_co_u32_e32 v55, vcc, s11, v34
	v_addc_co_u32_e32 v53, vcc, v53, v35, vcc
	v_add_co_u32_e32 v66, vcc, v55, v52
	v_addc_co_u32_e32 v67, vcc, 0, v53, vcc
	global_load_dwordx4 v[140:143], v[56:57], off
	global_load_dwordx4 v[144:147], v[66:67], off
	v_xor_b32_e32 v53, 32, v136
	s_mul_hi_i32 s11, s10, s14
	s_mul_i32 s10, s10, s14
	s_lshl_b64 s[10:11], s[10:11], 2
	s_add_u32 s74, s92, s10
	s_addc_u32 s75, s48, s11
	s_waitcnt vmcnt(1)
	ds_write_b128 v75, v[140:143]
	s_waitcnt vmcnt(0)
	ds_write_b128 v135, v[144:147]
	s_waitcnt lgkmcnt(0)
	s_barrier
	ds_read2_b64 v[140:143], v70 offset1:4
	s_waitcnt lgkmcnt(0)
	v_mfma_f32_16x16x16f16 v[144:147], v[140:141], v[6:7], 0
	ds_read_b64 v[56:57], v70 offset:128
	v_mfma_f32_16x16x16f16 v[6:9], v[142:143], v[8:9], v[144:147]
	ds_read2_b64 v[140:143], v70 offset0:8 offset1:12
	s_waitcnt lgkmcnt(0)
	s_barrier
	v_mfma_f32_16x16x16f16 v[6:9], v[140:141], v[2:3], v[6:9]
	v_add_u32_e32 v2, 0x2c00, v71
	ds_read2_b32 v[66:67], v2 offset1:1
	v_mfma_f32_16x16x16f16 v[2:5], v[142:143], v[4:5], v[6:9]
	v_mfma_f32_16x16x16f16 v[2:5], v[56:57], v[48:49], v[2:5]
	s_nop 6
	v_and_b32_e32 v6, 64, v136
	v_add_u32_e32 v55, 64, v6
	s_waitcnt lgkmcnt(0)
	v_cvt_f32_f16_e32 v6, v67
	v_cvt_f32_f16_sdwa v7, v67 dst_sel:DWORD dst_unused:UNUSED_PAD src0_sel:WORD_1
	v_cvt_f32_f16_e32 v8, v66
	v_cvt_f32_f16_sdwa v9, v66 dst_sel:DWORD dst_unused:UNUSED_PAD src0_sel:WORD_1
	v_cmp_lt_i32_e32 vcc, v53, v55
	v_pk_add_f32 v[4:5], v[4:5], v[6:7]
	v_cndmask_b32_e32 v48, v136, v53, vcc
	v_pk_add_f32 v[6:7], v[2:3], v[8:9]
	v_add_f32_e32 v8, 0x40051340, v6
	v_add_f32_e32 v9, 0x40051340, v7
	;; [unrolled: 1-line block ×4, first 2 shown]
	v_max3_f32 v8, v50, v8, v9
	v_lshlrev_b32_e32 v49, 2, v48
	v_max3_f32 v2, v8, v2, v3
	ds_bpermute_b32 v3, v49, v2
	v_xor_b32_e32 v8, 16, v136
	v_cmp_lt_i32_e32 vcc, v8, v55
	v_cndmask_b32_e32 v8, v136, v8, vcc
	v_lshlrev_b32_e32 v53, 2, v8
	s_waitcnt lgkmcnt(0)
	v_max_f32_e32 v3, v3, v3
	v_max_f32_e32 v2, v2, v3
	ds_bpermute_b32 v3, v53, v2
	s_and_saveexec_b64 s[10:11], s[0:1]
	s_cbranch_execz .LBB9_46
; %bb.45:                               ;   in Loop: Header=BB9_16 Depth=1
	v_mov_b32_e32 v8, s75
	v_add_co_u32_e32 v9, vcc, s74, v20
	v_addc_co_u32_e32 v48, vcc, v8, v21, vcc
	v_lshlrev_b32_e32 v8, 2, v12
	v_add_co_u32_e32 v8, vcc, v9, v8
	v_addc_co_u32_e32 v9, vcc, 0, v48, vcc
	global_load_dwordx4 v[140:143], v[8:9], off offset:128
	s_waitcnt vmcnt(0)
	ds_write_b128 v41, v[140:143]
.LBB9_46:                               ;   in Loop: Header=BB9_16 Depth=1
	s_or_b64 exec, exec, s[10:11]
	s_waitcnt lgkmcnt(0)
	v_max_f32_e32 v3, v3, v3
	v_max_f32_e32 v2, v2, v2
	;; [unrolled: 1-line block ×3, first 2 shown]
	v_pk_add_f32 v[56:57], v[6:7], v[2:3] op_sel_hi:[1,0] neg_lo:[0,1] neg_hi:[0,1]
	v_mul_f32_e32 v3, 0x3fb8aa3b, v57
	v_fma_f32 v6, v57, s39, -v3
	v_rndne_f32_e32 v7, v3
	v_fmac_f32_e32 v6, 0x32a5705f, v57
	v_sub_f32_e32 v3, v3, v7
	v_add_f32_e32 v3, v3, v6
	v_cvt_i32_f32_e32 v48, v7
	v_mov_b32_e32 v6, s75
	v_add_co_u32_e32 v7, vcc, s74, v28
	v_addc_co_u32_e32 v8, vcc, v6, v29, vcc
	v_add_co_u32_e32 v6, vcc, v7, v52
	v_addc_co_u32_e32 v7, vcc, 0, v8, vcc
	v_mov_b32_e32 v8, s75
	v_add_co_u32_e32 v9, vcc, s74, v30
	v_addc_co_u32_e32 v8, vcc, v8, v31, vcc
	v_add_co_u32_e32 v66, vcc, v9, v52
	v_addc_co_u32_e32 v67, vcc, 0, v8, vcc
	global_load_dwordx4 v[6:9], v[6:7], off
	s_nop 0
	global_load_dwordx4 v[140:143], v[66:67], off
	v_exp_f32_e32 v3, v3
	v_cmp_ngt_f32_e32 vcc, s67, v57
	v_sub_f32_e32 v50, v50, v2
	s_cmp_eq_u64 s[72:73], 0
	v_ldexp_f32 v3, v3, v48
	v_mul_f32_e32 v48, 0x3fb8aa3b, v56
	v_fma_f32 v52, v56, s39, -v48
	v_rndne_f32_e32 v55, v48
	v_fmac_f32_e32 v52, 0x32a5705f, v56
	v_sub_f32_e32 v48, v48, v55
	v_add_f32_e32 v48, v48, v52
	v_exp_f32_e32 v48, v48
	v_cvt_i32_f32_e32 v52, v55
	v_cndmask_b32_e32 v3, 0, v3, vcc
	v_cmp_nlt_f32_e32 vcc, s7, v57
	v_cndmask_b32_e32 v3, v137, v3, vcc
	v_pk_add_f32 v[4:5], v[4:5], v[2:3] op_sel_hi:[1,0] neg_lo:[0,1] neg_hi:[0,1]
	v_ldexp_f32 v48, v48, v52
	v_mul_f32_e32 v52, 0x3fb8aa3b, v5
	v_fma_f32 v55, v5, s39, -v52
	v_rndne_f32_e32 v57, v52
	v_fmac_f32_e32 v55, 0x32a5705f, v5
	v_sub_f32_e32 v52, v52, v57
	v_add_f32_e32 v52, v52, v55
	v_exp_f32_e32 v52, v52
	v_cvt_i32_f32_e32 v55, v57
	v_cmp_ngt_f32_e32 vcc, s67, v56
	v_cndmask_b32_e32 v48, 0, v48, vcc
	v_cmp_nlt_f32_e32 vcc, s7, v56
	v_ldexp_f32 v52, v52, v55
	v_mul_f32_e32 v55, 0x3fb8aa3b, v4
	v_fma_f32 v56, v4, s39, -v55
	v_rndne_f32_e32 v57, v55
	v_fmac_f32_e32 v56, 0x32a5705f, v4
	v_sub_f32_e32 v55, v55, v57
	v_add_f32_e32 v55, v55, v56
	v_exp_f32_e32 v55, v55
	v_cvt_i32_f32_e32 v56, v57
	v_cndmask_b32_e32 v48, v137, v48, vcc
	v_cmp_ngt_f32_e32 vcc, s67, v5
	v_cndmask_b32_e32 v52, 0, v52, vcc
	v_cmp_nlt_f32_e32 vcc, s7, v5
	v_cndmask_b32_e32 v5, v137, v52, vcc
	v_ldexp_f32 v52, v55, v56
	v_mul_f32_e32 v55, 0x3fb8aa3b, v50
	v_fma_f32 v56, v50, s39, -v55
	v_rndne_f32_e32 v57, v55
	v_fmac_f32_e32 v56, 0x32a5705f, v50
	v_sub_f32_e32 v55, v55, v57
	v_add_f32_e32 v55, v55, v56
	v_exp_f32_e32 v55, v55
	v_cvt_i32_f32_e32 v56, v57
	v_cmp_ngt_f32_e32 vcc, s67, v4
	v_cndmask_b32_e32 v52, 0, v52, vcc
	v_cmp_nlt_f32_e32 vcc, s7, v4
	v_cndmask_b32_e32 v4, v137, v52, vcc
	v_ldexp_f32 v55, v55, v56
	v_cmp_ngt_f32_e32 vcc, s67, v50
	v_cndmask_b32_e32 v55, 0, v55, vcc
	v_cmp_nlt_f32_e32 vcc, s7, v50
	v_cndmask_b32_e32 v55, v137, v55, vcc
	v_cmp_le_f32_e32 vcc, s6, v50
	v_cndmask_b32_e32 v50, 0, v55, vcc
	s_waitcnt vmcnt(1)
	ds_write_b128 v75, v[6:9]
	s_waitcnt vmcnt(0)
	ds_write_b128 v135, v[140:143]
	s_waitcnt lgkmcnt(0)
	s_barrier
	ds_read_u16 v7, v73 offset:176
	ds_read_u16 v8, v73 offset:352
	ds_read_u16 v9, v74
	v_cvt_f16_f32_e32 v56, v50
	v_add_f32_e32 v52, v48, v3
	v_add_f32_e32 v52, v4, v52
	;; [unrolled: 1-line block ×3, first 2 shown]
	v_pk_mul_f16 v57, v56, v60 op_sel_hi:[0,1]
	v_pk_mul_f16 v60, v56, v58 op_sel_hi:[0,1]
	s_waitcnt lgkmcnt(0)
	v_perm_b32 v9, v9, v8, s53
	ds_read_u16 v8, v72
	ds_read_u16 v58, v72 offset:32
	ds_read_u16 v66, v72 offset:64
	;; [unrolled: 1-line block ×4, first 2 shown]
	v_fmac_f32_e32 v52, v54, v50
	v_pk_mul_f16 v50, v56, v51 op_sel_hi:[0,1]
	v_pk_mul_f16 v15, v56, v15 op_sel_hi:[0,1]
	v_cvt_f16_f32_e32 v3, v3
	v_cvt_f16_f32_e32 v48, v48
	;; [unrolled: 1-line block ×4, first 2 shown]
	s_waitcnt lgkmcnt(4)
	v_perm_b32 v8, v7, v8, s53
	v_cvt_f32_f16_e32 v4, v50
	v_cvt_f32_f16_sdwa v5, v50 dst_sel:DWORD dst_unused:UNUSED_PAD src0_sel:WORD_1
	v_cvt_f32_f16_e32 v6, v15
	v_cvt_f32_f16_sdwa v7, v15 dst_sel:DWORD dst_unused:UNUSED_PAD src0_sel:WORD_1
	v_pack_b32_f16 v50, v48, v3
	v_pack_b32_f16 v51, v54, v51
	ds_read_u16 v3, v74 offset:32
	v_pk_mul_f16 v11, v56, v11 op_sel_hi:[0,1]
	v_mfma_f32_16x16x16f16 v[4:7], v[8:9], v[50:51], v[4:7]
	v_cvt_f32_f16_e32 v8, v57
	v_pk_mul_f16 v59, v56, v59 op_sel_hi:[0,1]
	v_pk_mul_f16 v65, v56, v65 op_sel_hi:[0,1]
	;; [unrolled: 1-line block ×4, first 2 shown]
	s_cselect_b64 s[10:11], -1, 0
	s_xor_b64 s[74:75], s[4:5], -1
	s_nop 3
	v_cvt_f16_f32_e32 v15, v6
	v_cvt_f16_f32_e32 v48, v7
	v_cvt_f32_f16_e32 v6, v11
	v_cvt_f32_f16_sdwa v7, v11 dst_sel:DWORD dst_unused:UNUSED_PAD src0_sel:WORD_1
	ds_read_u16 v9, v131 offset:176
	ds_read_u16 v11, v131 offset:352
	;; [unrolled: 1-line block ×7, first 2 shown]
	s_waitcnt lgkmcnt(5)
	v_perm_b32 v55, v3, v11, s53
	v_perm_b32 v54, v9, v58, s53
	v_cvt_f32_f16_sdwa v9, v57 dst_sel:DWORD dst_unused:UNUSED_PAD src0_sel:WORD_1
	s_waitcnt lgkmcnt(4)
	v_perm_b32 v58, v140, v66, s53
	v_pk_mul_f16 v3, v56, v1 op_sel_hi:[0,1]
	v_mfma_f32_16x16x16f16 v[6:9], v[54:55], v[50:51], v[6:9]
	v_cvt_f32_f16_e32 v54, v59
	v_cvt_f32_f16_sdwa v55, v59 dst_sel:DWORD dst_unused:UNUSED_PAD src0_sel:WORD_1
	s_waitcnt lgkmcnt(2)
	v_perm_b32 v59, v142, v141, s53
	v_cvt_f32_f16_e32 v56, v60
	v_cvt_f32_f16_sdwa v57, v60 dst_sel:DWORD dst_unused:UNUSED_PAD src0_sel:WORD_1
	v_cvt_f16_f32_e32 v4, v4
	v_cvt_f16_f32_e32 v5, v5
	v_mfma_f32_16x16x16f16 v[54:57], v[58:59], v[50:51], v[54:57]
	v_pack_b32_f16 v1, v15, v48
	v_pack_b32_f16 v4, v4, v5
	v_cvt_f16_f32_e32 v5, v6
	v_cvt_f16_f32_e32 v6, v7
	v_cvt_f16_f32_e32 v7, v8
	v_cvt_f16_f32_e32 v8, v9
	v_cvt_f32_f16_e32 v66, v3
	v_pack_b32_f16 v6, v5, v6
	s_nop 2
	v_cvt_f16_f32_e32 v48, v57
	ds_read_u16 v5, v133 offset:176
	ds_read_u16 v57, v133 offset:352
	v_cvt_f16_f32_e32 v9, v54
	v_cvt_f16_f32_e32 v11, v55
	;; [unrolled: 1-line block ×3, first 2 shown]
	s_waitcnt lgkmcnt(1)
	v_perm_b32 v58, v5, v67, s53
	s_waitcnt lgkmcnt(0)
	v_perm_b32 v59, v143, v57, s53
	v_cvt_f32_f16_e32 v54, v65
	v_cvt_f32_f16_sdwa v55, v65 dst_sel:DWORD dst_unused:UNUSED_PAD src0_sel:WORD_1
	v_cvt_f32_f16_e32 v56, v64
	v_cvt_f32_f16_sdwa v57, v64 dst_sel:DWORD dst_unused:UNUSED_PAD src0_sel:WORD_1
	ds_read_u16 v60, v134 offset:176
	ds_read_u16 v140, v134 offset:352
	v_mfma_f32_16x16x16f16 v[54:57], v[58:59], v[50:51], v[54:57]
	v_pack_b32_f16 v5, v7, v8
	v_pack_b32_f16 v8, v9, v11
	v_cvt_f32_f16_e32 v64, v62
	v_cvt_f32_f16_sdwa v65, v62 dst_sel:DWORD dst_unused:UNUSED_PAD src0_sel:WORD_1
	v_cvt_f32_f16_sdwa v67, v3 dst_sel:DWORD dst_unused:UNUSED_PAD src0_sel:WORD_1
	v_pack_b32_f16 v7, v15, v48
	s_or_b64 s[10:11], s[74:75], s[10:11]
	s_nop 3
	v_cvt_f16_f32_e32 v9, v54
	v_cvt_f16_f32_e32 v11, v55
	s_waitcnt lgkmcnt(0)
	v_perm_b32 v55, v144, v140, s53
	v_perm_b32 v54, v60, v139, s53
	v_cvt_f16_f32_e32 v3, v56
	v_cvt_f16_f32_e32 v15, v57
	v_mfma_f32_16x16x16f16 v[54:57], v[54:55], v[50:51], v[64:67]
	ds_bpermute_b32 v51, v49, v52
	v_pack_b32_f16 v48, v9, v11
	v_pack_b32_f16 v9, v3, v15
	s_waitcnt lgkmcnt(0)
	s_barrier
	v_add_f32_e32 v51, v52, v51
	ds_bpermute_b32 v52, v53, v51
	s_nop 3
	v_cvt_f16_f32_e32 v11, v54
	v_cvt_f16_f32_e32 v50, v55
	;; [unrolled: 1-line block ×4, first 2 shown]
	s_waitcnt lgkmcnt(0)
	v_pack_b32_f16 v50, v11, v50
	v_pack_b32_f16 v11, v3, v15
	v_add_f32_e32 v3, v51, v52
	s_and_saveexec_b64 s[74:75], s[10:11]
	s_xor_b64 s[10:11], exec, s[74:75]
	s_andn2_saveexec_b64 s[10:11], s[10:11]
	s_cbranch_execz .LBB9_48
; %bb.47:                               ;   in Loop: Header=BB9_16 Depth=1
	v_lshlrev_b32_e32 v15, 2, v18
	global_load_dword v15, v15, s[72:73]
	v_max_f32_e32 v51, v2, v2
	s_waitcnt vmcnt(0)
	v_max_f32_e32 v52, v15, v15
	v_max_f32_e32 v54, v51, v52
	v_sub_f32_e32 v2, v2, v54
	v_sub_f32_e32 v15, v15, v54
	v_mul_f32_e32 v51, 0x3fb8aa3b, v2
	v_mul_f32_e32 v52, 0x3fb8aa3b, v15
	v_fma_f32 v55, v2, s39, -v51
	v_rndne_f32_e32 v56, v51
	v_fma_f32 v57, v15, s39, -v52
	v_rndne_f32_e32 v58, v52
	v_fmac_f32_e32 v55, 0x32a5705f, v2
	v_sub_f32_e32 v51, v51, v56
	v_fmac_f32_e32 v57, 0x32a5705f, v15
	v_sub_f32_e32 v52, v52, v58
	v_add_f32_e32 v51, v51, v55
	v_cvt_i32_f32_e32 v56, v56
	v_add_f32_e32 v52, v52, v57
	v_exp_f32_e32 v51, v51
	v_cvt_i32_f32_e32 v58, v58
	v_exp_f32_e32 v52, v52
	v_cmp_ngt_f32_e32 vcc, s67, v2
	v_ldexp_f32 v51, v51, v56
	v_cndmask_b32_e32 v51, 0, v51, vcc
	v_ldexp_f32 v52, v52, v58
	v_cmp_ngt_f32_e32 vcc, s67, v15
	v_cndmask_b32_e32 v52, 0, v52, vcc
	v_cmp_nlt_f32_e32 vcc, s7, v2
	v_cndmask_b32_e32 v51, v137, v51, vcc
	v_cmp_le_f32_e32 vcc, s6, v2
	v_cndmask_b32_e32 v2, 0, v51, vcc
	v_cvt_f16_f32_e32 v51, v2
	v_cmp_nlt_f32_e32 vcc, s7, v15
	v_cndmask_b32_e32 v55, v137, v52, vcc
	v_fmac_f32_e32 v55, v3, v2
	v_pk_mul_f16 v4, v51, v4 op_sel_hi:[0,1]
	v_pk_mul_f16 v1, v51, v1 op_sel_hi:[0,1]
	;; [unrolled: 1-line block ×10, first 2 shown]
	v_pk_mov_b32 v[2:3], v[54:55], v[54:55] op_sel:[0,1]
.LBB9_48:                               ;   in Loop: Header=BB9_16 Depth=1
	s_or_b64 exec, exec, s[10:11]
	s_and_saveexec_b64 s[10:11], s[8:9]
	s_cbranch_execz .LBB9_50
; %bb.49:                               ;   in Loop: Header=BB9_16 Depth=1
	v_add_u32_e32 v15, 0, v80
	ds_write2_b32 v15, v2, v3 offset0:40 offset1:41
.LBB9_50:                               ;   in Loop: Header=BB9_16 Depth=1
	s_or_b64 exec, exec, s[10:11]
	s_waitcnt lgkmcnt(0)
	s_barrier
	s_and_saveexec_b64 s[10:11], s[12:13]
	s_xor_b64 s[10:11], exec, s[10:11]
	s_cbranch_execz .LBB9_52
; %bb.51:                               ;   in Loop: Header=BB9_16 Depth=1
	s_barrier
	s_waitcnt lgkmcnt(0)
                                        ; implicit-def: $vgpr49
                                        ; implicit-def: $vgpr53
.LBB9_52:                               ;   in Loop: Header=BB9_16 Depth=1
	s_andn2_saveexec_b64 s[10:11], s[10:11]
	s_cbranch_execz .LBB9_56
; %bb.53:                               ;   in Loop: Header=BB9_16 Depth=1
	v_add_u32_e32 v3, 0, v80
	ds_read_b64 v[54:55], v3 offset:160
	s_waitcnt lgkmcnt(0)
	s_barrier
	ds_bpermute_b32 v2, v49, v54
	v_max_f32_e32 v15, v54, v54
	s_waitcnt lgkmcnt(0)
	v_max_f32_e32 v2, v2, v2
	v_max_f32_e32 v2, v15, v2
	ds_bpermute_b32 v15, v53, v2
	s_waitcnt lgkmcnt(0)
	v_max_f32_e32 v15, v15, v15
	v_max_f32_e32 v2, v2, v15
	v_sub_f32_e32 v15, v54, v2
	v_mul_f32_e32 v51, 0x3fb8aa3b, v15
	v_fma_f32 v52, v15, s39, -v51
	v_rndne_f32_e32 v54, v51
	v_fmac_f32_e32 v52, 0x32a5705f, v15
	v_sub_f32_e32 v51, v51, v54
	v_add_f32_e32 v51, v51, v52
	v_cvt_i32_f32_e32 v54, v54
	v_exp_f32_e32 v51, v51
	v_cmp_ngt_f32_e32 vcc, s67, v15
	v_ldexp_f32 v51, v51, v54
	v_cndmask_b32_e32 v51, 0, v51, vcc
	v_cmp_nlt_f32_e32 vcc, s7, v15
	v_cndmask_b32_e32 v52, v137, v51, vcc
	v_mul_f32_e32 v15, v55, v52
	ds_bpermute_b32 v15, v49, v15
	s_waitcnt lgkmcnt(0)
	v_fmac_f32_e32 v15, v55, v52
	ds_bpermute_b32 v49, v53, v15
	s_waitcnt lgkmcnt(0)
	v_add_f32_e32 v53, v15, v49
	ds_write_b64 v3, v[52:53] offset:160
	s_and_saveexec_b64 s[74:75], s[8:9]
	s_cbranch_execz .LBB9_55
; %bb.54:                               ;   in Loop: Header=BB9_16 Depth=1
	v_mov_b32_e32 v3, v53
	global_store_dwordx2 v[16:17], v[2:3], off
.LBB9_55:                               ;   in Loop: Header=BB9_16 Depth=1
	s_or_b64 exec, exec, s[74:75]
.LBB9_56:                               ;   in Loop: Header=BB9_16 Depth=1
	s_or_b64 exec, exec, s[10:11]
	ds_write2_b32 v81, v4, v1 offset1:1
	ds_write2_b32 v81, v6, v5 offset0:8 offset1:9
	ds_write2_b32 v81, v8, v7 offset0:16 offset1:17
	;; [unrolled: 1-line block ×4, first 2 shown]
	s_waitcnt lgkmcnt(0)
	s_barrier
	s_and_saveexec_b64 s[74:75], s[4:5]
	s_cbranch_execz .LBB9_101
; %bb.57:                               ;   in Loop: Header=BB9_16 Depth=1
	v_add_u32_e32 v2, s59, v85
	v_or_b32_e32 v1, s85, v40
	v_cmp_gt_i32_e64 s[10:11], s36, v2
	v_cmp_gt_i32_e32 vcc, s33, v1
	s_and_b64 s[10:11], s[10:11], vcc
	v_mov_b32_e32 v1, 0x47
	s_and_saveexec_b64 s[76:77], s[10:11]
	s_cbranch_execz .LBB9_59
; %bb.58:                               ;   in Loop: Header=BB9_16 Depth=1
	v_add_u32_e32 v1, 0, v86
	v_add_u32_e32 v1, 0xa0, v1
	ds_read2st64_b32 v[4:5], v1 offset1:11
	ds_read2st64_b32 v[6:7], v87 offset1:11
	ds_read2st64_b32 v[8:9], v1 offset0:22 offset1:33
	ds_read2st64_b32 v[48:49], v87 offset0:22 offset1:33
	v_mad_u64_u32 v[2:3], s[10:11], v2, s37, v[40:41]
	s_waitcnt lgkmcnt(2)
	v_cvt_f32_f16_sdwa v51, v6 dst_sel:DWORD dst_unused:UNUSED_PAD src0_sel:WORD_1
	v_cvt_f32_f16_e32 v50, v6
	v_cvt_f32_f16_sdwa v53, v7 dst_sel:DWORD dst_unused:UNUSED_PAD src0_sel:WORD_1
	v_cvt_f32_f16_e32 v52, v7
	s_waitcnt lgkmcnt(0)
	v_cvt_f32_f16_sdwa v7, v48 dst_sel:DWORD dst_unused:UNUSED_PAD src0_sel:WORD_1
	v_cvt_f32_f16_e32 v6, v48
	v_mad_u64_u32 v[2:3], s[10:11], v2, 40, v[26:27]
	v_cvt_f32_f16_sdwa v55, v49 dst_sel:DWORD dst_unused:UNUSED_PAD src0_sel:WORD_1
	v_cvt_f32_f16_e32 v54, v49
	v_ashrrev_i32_e32 v3, 31, v2
	v_pk_fma_f32 v[50:51], v[4:5], v[50:51], 0 op_sel_hi:[0,1,0]
	v_mov_b32_e32 v4, v5
	v_lshlrev_b64 v[2:3], 3, v[2:3]
	v_pk_fma_f32 v[4:5], v[4:5], v[52:53], v[50:51] op_sel_hi:[0,1,1]
	v_mov_b32_e32 v1, s84
	v_add_co_u32_e64 v2, s[10:11], s83, v2
	v_pk_fma_f32 v[4:5], v[8:9], v[6:7], v[4:5] op_sel_hi:[0,1,1]
	v_mov_b32_e32 v6, v9
	v_addc_co_u32_e64 v3, s[10:11], v1, v3, s[10:11]
	v_pk_fma_f32 v[4:5], v[6:7], v[54:55], v[4:5] op_sel_hi:[0,1,1]
	v_mov_b32_e32 v1, 0
	global_store_dwordx2 v[2:3], v[4:5], off
.LBB9_59:                               ;   in Loop: Header=BB9_16 Depth=1
	s_or_b64 exec, exec, s[76:77]
	s_movk_i32 s10, 0x47
	v_cmp_gt_i32_e64 s[10:11], s10, v1
	s_mov_b64 s[78:79], -1
	s_and_saveexec_b64 s[76:77], s[10:11]
; %bb.60:                               ;   in Loop: Header=BB9_16 Depth=1
	v_cmp_eq_u32_e64 s[10:11], 0, v1
	s_orn2_b64 s[78:79], s[10:11], exec
; %bb.61:                               ;   in Loop: Header=BB9_16 Depth=1
	s_or_b64 exec, exec, s[76:77]
	s_and_saveexec_b64 s[76:77], s[78:79]
	s_cbranch_execz .LBB9_94
; %bb.62:                               ;   in Loop: Header=BB9_16 Depth=1
	v_add_u32_e32 v2, s59, v88
	v_cmp_gt_i32_e64 s[10:11], s36, v2
	s_and_b64 s[10:11], s[10:11], vcc
	v_mov_b32_e32 v1, 0x47
	s_and_saveexec_b64 s[78:79], s[10:11]
	s_cbranch_execz .LBB9_64
; %bb.63:                               ;   in Loop: Header=BB9_16 Depth=1
	v_add_u32_e32 v1, 0, v89
	v_add_u32_e32 v1, 0xa0, v1
	ds_read2st64_b32 v[4:5], v1 offset1:11
	ds_read2st64_b32 v[6:7], v90 offset1:11
	ds_read2st64_b32 v[8:9], v1 offset0:22 offset1:33
	ds_read2st64_b32 v[48:49], v90 offset0:22 offset1:33
	v_mad_u64_u32 v[2:3], s[10:11], v2, s37, v[40:41]
	s_waitcnt lgkmcnt(2)
	v_cvt_f32_f16_sdwa v51, v6 dst_sel:DWORD dst_unused:UNUSED_PAD src0_sel:WORD_1
	v_cvt_f32_f16_e32 v50, v6
	v_cvt_f32_f16_sdwa v53, v7 dst_sel:DWORD dst_unused:UNUSED_PAD src0_sel:WORD_1
	v_cvt_f32_f16_e32 v52, v7
	s_waitcnt lgkmcnt(0)
	v_cvt_f32_f16_sdwa v7, v48 dst_sel:DWORD dst_unused:UNUSED_PAD src0_sel:WORD_1
	v_cvt_f32_f16_e32 v6, v48
	v_mad_u64_u32 v[2:3], s[10:11], v2, 40, v[26:27]
	v_cvt_f32_f16_sdwa v55, v49 dst_sel:DWORD dst_unused:UNUSED_PAD src0_sel:WORD_1
	v_cvt_f32_f16_e32 v54, v49
	v_ashrrev_i32_e32 v3, 31, v2
	v_pk_fma_f32 v[50:51], v[4:5], v[50:51], 0 op_sel_hi:[0,1,0]
	v_mov_b32_e32 v4, v5
	v_lshlrev_b64 v[2:3], 3, v[2:3]
	v_pk_fma_f32 v[4:5], v[4:5], v[52:53], v[50:51] op_sel_hi:[0,1,1]
	v_mov_b32_e32 v1, s84
	v_add_co_u32_e64 v2, s[10:11], s83, v2
	v_pk_fma_f32 v[4:5], v[8:9], v[6:7], v[4:5] op_sel_hi:[0,1,1]
	v_mov_b32_e32 v6, v9
	v_addc_co_u32_e64 v3, s[10:11], v1, v3, s[10:11]
	v_pk_fma_f32 v[4:5], v[6:7], v[54:55], v[4:5] op_sel_hi:[0,1,1]
	v_mov_b32_e32 v1, 0
	global_store_dwordx2 v[2:3], v[4:5], off
.LBB9_64:                               ;   in Loop: Header=BB9_16 Depth=1
	s_or_b64 exec, exec, s[78:79]
	s_movk_i32 s10, 0x47
	v_cmp_gt_i32_e64 s[10:11], s10, v1
	s_mov_b64 s[78:79], -1
	s_and_saveexec_b64 s[80:81], s[10:11]
; %bb.65:                               ;   in Loop: Header=BB9_16 Depth=1
	v_cmp_eq_u32_e64 s[10:11], 0, v1
	s_orn2_b64 s[78:79], s[10:11], exec
; %bb.66:                               ;   in Loop: Header=BB9_16 Depth=1
	s_or_b64 exec, exec, s[80:81]
	s_and_b64 exec, exec, s[78:79]
	s_cbranch_execz .LBB9_94
; %bb.67:                               ;   in Loop: Header=BB9_16 Depth=1
	v_add_u32_e32 v2, s59, v91
	v_cmp_gt_i32_e64 s[10:11], s36, v2
	s_and_b64 s[10:11], s[10:11], vcc
	v_mov_b32_e32 v1, 0x47
	s_and_saveexec_b64 s[78:79], s[10:11]
	s_cbranch_execz .LBB9_69
; %bb.68:                               ;   in Loop: Header=BB9_16 Depth=1
	v_add_u32_e32 v1, 0, v92
	v_add_u32_e32 v1, 0xa0, v1
	ds_read2st64_b32 v[4:5], v1 offset1:11
	ds_read2st64_b32 v[6:7], v93 offset1:11
	ds_read2st64_b32 v[8:9], v1 offset0:22 offset1:33
	ds_read2st64_b32 v[48:49], v93 offset0:22 offset1:33
	v_mad_u64_u32 v[2:3], s[10:11], v2, s37, v[40:41]
	s_waitcnt lgkmcnt(2)
	v_cvt_f32_f16_sdwa v51, v6 dst_sel:DWORD dst_unused:UNUSED_PAD src0_sel:WORD_1
	v_cvt_f32_f16_e32 v50, v6
	v_cvt_f32_f16_sdwa v53, v7 dst_sel:DWORD dst_unused:UNUSED_PAD src0_sel:WORD_1
	v_cvt_f32_f16_e32 v52, v7
	s_waitcnt lgkmcnt(0)
	v_cvt_f32_f16_sdwa v7, v48 dst_sel:DWORD dst_unused:UNUSED_PAD src0_sel:WORD_1
	v_cvt_f32_f16_e32 v6, v48
	v_mad_u64_u32 v[2:3], s[10:11], v2, 40, v[26:27]
	v_cvt_f32_f16_sdwa v55, v49 dst_sel:DWORD dst_unused:UNUSED_PAD src0_sel:WORD_1
	v_cvt_f32_f16_e32 v54, v49
	v_ashrrev_i32_e32 v3, 31, v2
	v_pk_fma_f32 v[50:51], v[4:5], v[50:51], 0 op_sel_hi:[0,1,0]
	v_mov_b32_e32 v4, v5
	v_lshlrev_b64 v[2:3], 3, v[2:3]
	v_pk_fma_f32 v[4:5], v[4:5], v[52:53], v[50:51] op_sel_hi:[0,1,1]
	v_mov_b32_e32 v1, s84
	v_add_co_u32_e64 v2, s[10:11], s83, v2
	v_pk_fma_f32 v[4:5], v[8:9], v[6:7], v[4:5] op_sel_hi:[0,1,1]
	v_mov_b32_e32 v6, v9
	v_addc_co_u32_e64 v3, s[10:11], v1, v3, s[10:11]
	v_pk_fma_f32 v[4:5], v[6:7], v[54:55], v[4:5] op_sel_hi:[0,1,1]
	v_mov_b32_e32 v1, 0
	global_store_dwordx2 v[2:3], v[4:5], off
.LBB9_69:                               ;   in Loop: Header=BB9_16 Depth=1
	s_or_b64 exec, exec, s[78:79]
	s_movk_i32 s10, 0x47
	v_cmp_gt_i32_e64 s[10:11], s10, v1
	s_mov_b64 s[78:79], -1
	s_and_saveexec_b64 s[80:81], s[10:11]
; %bb.70:                               ;   in Loop: Header=BB9_16 Depth=1
	v_cmp_eq_u32_e64 s[10:11], 0, v1
	s_orn2_b64 s[78:79], s[10:11], exec
; %bb.71:                               ;   in Loop: Header=BB9_16 Depth=1
	s_or_b64 exec, exec, s[80:81]
	s_and_b64 exec, exec, s[78:79]
	;; [unrolled: 52-line block ×6, first 2 shown]
	s_cbranch_execz .LBB9_94
; %bb.92:                               ;   in Loop: Header=BB9_16 Depth=1
	v_add_u32_e32 v1, s59, v106
	v_cmp_gt_i32_e64 s[10:11], s36, v1
	s_and_b64 s[10:11], s[10:11], vcc
	s_and_b64 exec, exec, s[10:11]
	s_cbranch_execz .LBB9_94
; %bb.93:                               ;   in Loop: Header=BB9_16 Depth=1
	v_mad_u64_u32 v[2:3], s[10:11], v1, s37, v[40:41]
	v_add_u32_e32 v1, 0, v107
	v_add_u32_e32 v1, 0xa0, v1
	ds_read2st64_b32 v[4:5], v1 offset1:11
	ds_read2st64_b32 v[6:7], v108 offset1:11
	ds_read2st64_b32 v[8:9], v1 offset0:22 offset1:33
	ds_read2st64_b32 v[48:49], v108 offset0:22 offset1:33
	v_mad_u64_u32 v[2:3], s[10:11], v2, 40, v[26:27]
	s_waitcnt lgkmcnt(2)
	v_cvt_f32_f16_sdwa v51, v6 dst_sel:DWORD dst_unused:UNUSED_PAD src0_sel:WORD_1
	v_cvt_f32_f16_e32 v50, v6
	v_cvt_f32_f16_sdwa v53, v7 dst_sel:DWORD dst_unused:UNUSED_PAD src0_sel:WORD_1
	v_cvt_f32_f16_e32 v52, v7
	s_waitcnt lgkmcnt(0)
	v_cvt_f32_f16_sdwa v7, v48 dst_sel:DWORD dst_unused:UNUSED_PAD src0_sel:WORD_1
	v_cvt_f32_f16_e32 v6, v48
	v_cvt_f32_f16_sdwa v55, v49 dst_sel:DWORD dst_unused:UNUSED_PAD src0_sel:WORD_1
	v_cvt_f32_f16_e32 v54, v49
	v_ashrrev_i32_e32 v3, 31, v2
	v_pk_fma_f32 v[50:51], v[4:5], v[50:51], 0 op_sel_hi:[0,1,0]
	v_mov_b32_e32 v4, v5
	v_lshlrev_b64 v[2:3], 3, v[2:3]
	v_pk_fma_f32 v[4:5], v[4:5], v[52:53], v[50:51] op_sel_hi:[0,1,1]
	v_mov_b32_e32 v1, s84
	v_add_co_u32_e32 v2, vcc, s83, v2
	v_pk_fma_f32 v[4:5], v[8:9], v[6:7], v[4:5] op_sel_hi:[0,1,1]
	v_mov_b32_e32 v6, v9
	v_addc_co_u32_e32 v3, vcc, v1, v3, vcc
	v_pk_fma_f32 v[4:5], v[6:7], v[54:55], v[4:5] op_sel_hi:[0,1,1]
	global_store_dwordx2 v[2:3], v[4:5], off
.LBB9_94:                               ;   in Loop: Header=BB9_16 Depth=1
	s_or_b64 exec, exec, s[76:77]
	v_or_b32_e32 v1, s85, v36
	v_add_u32_e32 v2, s59, v109
	v_cmp_gt_i32_e32 vcc, s33, v1
	v_cmp_gt_i32_e64 s[10:11], s36, v2
	s_and_b64 s[10:11], s[10:11], vcc
	v_mov_b32_e32 v1, 0x47
	s_and_saveexec_b64 s[76:77], s[10:11]
	s_cbranch_execz .LBB9_96
; %bb.95:                               ;   in Loop: Header=BB9_16 Depth=1
	v_mad_u64_u32 v[2:3], s[10:11], v2, s37, v[36:37]
	v_mul_lo_u32 v1, v2, 40
	v_add_u32_e32 v2, 0, v110
	v_add_u32_e32 v6, 0xa0, v2
	;; [unrolled: 1-line block ×3, first 2 shown]
	ds_read2st64_b32 v[2:3], v6 offset1:11
	ds_read2st64_b32 v[4:5], v8 offset1:11
	ds_read2st64_b32 v[6:7], v6 offset0:22 offset1:33
	ds_read2st64_b32 v[8:9], v8 offset0:22 offset1:33
	v_ashrrev_i32_e32 v11, 31, v1
	v_or_b32_e32 v49, 0, v11
	s_waitcnt lgkmcnt(2)
	v_cvt_f32_f16_sdwa v51, v4 dst_sel:DWORD dst_unused:UNUSED_PAD src0_sel:WORD_1
	v_cvt_f32_f16_e32 v50, v4
	v_cvt_f32_f16_sdwa v53, v5 dst_sel:DWORD dst_unused:UNUSED_PAD src0_sel:WORD_1
	v_cvt_f32_f16_e32 v52, v5
	s_waitcnt lgkmcnt(0)
	v_cvt_f32_f16_sdwa v5, v8 dst_sel:DWORD dst_unused:UNUSED_PAD src0_sel:WORD_1
	v_cvt_f32_f16_e32 v4, v8
	v_cvt_f32_f16_sdwa v55, v9 dst_sel:DWORD dst_unused:UNUSED_PAD src0_sel:WORD_1
	v_cvt_f32_f16_e32 v54, v9
	v_or_b32_e32 v48, v1, v24
	v_pk_fma_f32 v[50:51], v[2:3], v[50:51], 0 op_sel_hi:[0,1,0]
	v_mov_b32_e32 v2, v3
	v_lshlrev_b64 v[48:49], 3, v[48:49]
	v_pk_fma_f32 v[2:3], v[2:3], v[52:53], v[50:51] op_sel_hi:[0,1,1]
	v_mov_b32_e32 v1, s84
	v_add_co_u32_e64 v48, s[10:11], s83, v48
	v_pk_fma_f32 v[2:3], v[6:7], v[4:5], v[2:3] op_sel_hi:[0,1,1]
	v_mov_b32_e32 v4, v7
	v_addc_co_u32_e64 v49, s[10:11], v1, v49, s[10:11]
	v_pk_fma_f32 v[2:3], v[4:5], v[54:55], v[2:3] op_sel_hi:[0,1,1]
	v_mov_b32_e32 v1, 0
	global_store_dwordx2 v[48:49], v[2:3], off offset:256
.LBB9_96:                               ;   in Loop: Header=BB9_16 Depth=1
	s_or_b64 exec, exec, s[76:77]
	s_movk_i32 s10, 0x47
	v_cmp_gt_i32_e64 s[10:11], s10, v1
	s_mov_b64 s[76:77], -1
	s_and_saveexec_b64 s[78:79], s[10:11]
; %bb.97:                               ;   in Loop: Header=BB9_16 Depth=1
	v_cmp_eq_u32_e64 s[10:11], 0, v1
	s_orn2_b64 s[76:77], s[10:11], exec
; %bb.98:                               ;   in Loop: Header=BB9_16 Depth=1
	s_or_b64 exec, exec, s[78:79]
	s_and_b64 exec, exec, s[76:77]
	s_cbranch_execz .LBB9_101
; %bb.99:                               ;   in Loop: Header=BB9_16 Depth=1
	v_add_u32_e32 v1, s59, v112
	v_cmp_gt_i32_e64 s[10:11], s36, v1
	s_and_b64 s[10:11], s[10:11], vcc
	s_and_b64 exec, exec, s[10:11]
	s_cbranch_execz .LBB9_101
; %bb.100:                              ;   in Loop: Header=BB9_16 Depth=1
	v_mad_u64_u32 v[2:3], s[10:11], v1, s37, v[36:37]
	v_mul_lo_u32 v1, v2, 40
	v_add_u32_e32 v2, 0, v113
	v_add_u32_e32 v6, 0xa0, v2
	;; [unrolled: 1-line block ×3, first 2 shown]
	ds_read2st64_b32 v[2:3], v6 offset1:11
	ds_read2st64_b32 v[4:5], v8 offset1:11
	ds_read2st64_b32 v[6:7], v6 offset0:22 offset1:33
	ds_read2st64_b32 v[8:9], v8 offset0:22 offset1:33
	v_ashrrev_i32_e32 v11, 31, v1
	v_or_b32_e32 v49, 0, v11
	s_waitcnt lgkmcnt(2)
	v_cvt_f32_f16_sdwa v51, v4 dst_sel:DWORD dst_unused:UNUSED_PAD src0_sel:WORD_1
	v_cvt_f32_f16_e32 v50, v4
	v_cvt_f32_f16_sdwa v53, v5 dst_sel:DWORD dst_unused:UNUSED_PAD src0_sel:WORD_1
	v_cvt_f32_f16_e32 v52, v5
	s_waitcnt lgkmcnt(0)
	v_cvt_f32_f16_sdwa v5, v8 dst_sel:DWORD dst_unused:UNUSED_PAD src0_sel:WORD_1
	v_cvt_f32_f16_e32 v4, v8
	v_cvt_f32_f16_sdwa v55, v9 dst_sel:DWORD dst_unused:UNUSED_PAD src0_sel:WORD_1
	v_cvt_f32_f16_e32 v54, v9
	v_or_b32_e32 v48, v1, v24
	v_pk_fma_f32 v[50:51], v[2:3], v[50:51], 0 op_sel_hi:[0,1,0]
	v_mov_b32_e32 v2, v3
	v_lshlrev_b64 v[48:49], 3, v[48:49]
	v_pk_fma_f32 v[2:3], v[2:3], v[52:53], v[50:51] op_sel_hi:[0,1,1]
	v_mov_b32_e32 v1, s84
	v_add_co_u32_e32 v48, vcc, s83, v48
	v_pk_fma_f32 v[2:3], v[6:7], v[4:5], v[2:3] op_sel_hi:[0,1,1]
	v_mov_b32_e32 v4, v7
	v_addc_co_u32_e32 v49, vcc, v1, v49, vcc
	v_pk_fma_f32 v[2:3], v[4:5], v[54:55], v[2:3] op_sel_hi:[0,1,1]
	global_store_dwordx2 v[48:49], v[2:3], off offset:256
.LBB9_101:                              ;   in Loop: Header=BB9_16 Depth=1
	s_or_b64 exec, exec, s[74:75]
	s_barrier
	s_branch .LBB9_15
.LBB9_102:                              ;   in Loop: Header=BB9_16 Depth=1
	s_lshl_b32 s80, s56, 3
	v_cmp_gt_i32_e32 vcc, s33, v13
	v_add_u32_e32 v1, s80, v82
	s_xor_b64 s[10:11], vcc, -1
	v_cmp_le_i32_e32 vcc, s36, v1
	s_or_b64 s[74:75], vcc, s[10:11]
	s_and_saveexec_b64 s[76:77], s[74:75]
	s_xor_b64 s[74:75], exec, s[76:77]
	s_cbranch_execz .LBB9_104
; %bb.103:                              ;   in Loop: Header=BB9_16 Depth=1
	ds_write_b32 v83, v130
                                        ; implicit-def: $vgpr1
.LBB9_104:                              ;   in Loop: Header=BB9_16 Depth=1
	s_andn2_saveexec_b64 s[74:75], s[74:75]
	s_cbranch_execz .LBB9_106
; %bb.105:                              ;   in Loop: Header=BB9_16 Depth=1
	v_mad_u64_u32 v[2:3], s[76:77], v1, s55, v[42:43]
	v_ashrrev_i32_e32 v3, 31, v2
	v_lshlrev_b64 v[2:3], 3, v[2:3]
	v_mov_b32_e32 v1, s45
	v_add_co_u32_e32 v2, vcc, s44, v2
	v_addc_co_u32_e32 v3, vcc, v1, v3, vcc
	global_load_dwordx2 v[2:3], v[2:3], off
	s_waitcnt vmcnt(0)
	v_cvt_f16_f32_e32 v1, v2
	v_cvt_f16_f32_e32 v2, v3
	v_pack_b32_f16 v1, v1, v2
	v_pk_mul_f16 v1, v19, v1
	ds_write_b32 v83, v1
.LBB9_106:                              ;   in Loop: Header=BB9_16 Depth=1
	s_or_b64 exec, exec, s[74:75]
	v_add_u32_e32 v1, s80, v84
	v_cmp_le_i32_e32 vcc, s36, v1
	s_or_b64 s[10:11], vcc, s[10:11]
	s_and_saveexec_b64 s[74:75], s[10:11]
	s_xor_b64 s[10:11], exec, s[74:75]
	s_cbranch_execnz .LBB9_109
; %bb.107:                              ;   in Loop: Header=BB9_16 Depth=1
	s_andn2_saveexec_b64 s[10:11], s[10:11]
	s_cbranch_execnz .LBB9_110
.LBB9_108:                              ;   in Loop: Header=BB9_16 Depth=1
	s_or_b64 exec, exec, s[10:11]
	s_and_saveexec_b64 s[74:75], s[2:3]
	s_cbranch_execnz .LBB9_111
	s_branch .LBB9_115
.LBB9_109:                              ;   in Loop: Header=BB9_16 Depth=1
	ds_write_b32 v83, v130 offset:1408
                                        ; implicit-def: $vgpr1
	s_andn2_saveexec_b64 s[10:11], s[10:11]
	s_cbranch_execz .LBB9_108
.LBB9_110:                              ;   in Loop: Header=BB9_16 Depth=1
	v_mad_u64_u32 v[2:3], s[74:75], v1, s55, v[42:43]
	v_ashrrev_i32_e32 v3, 31, v2
	v_lshlrev_b64 v[2:3], 3, v[2:3]
	v_mov_b32_e32 v1, s45
	v_add_co_u32_e32 v2, vcc, s44, v2
	v_addc_co_u32_e32 v3, vcc, v1, v3, vcc
	global_load_dwordx2 v[2:3], v[2:3], off
	s_waitcnt vmcnt(0)
	v_cvt_f16_f32_e32 v1, v2
	v_cvt_f16_f32_e32 v2, v3
	v_pack_b32_f16 v1, v1, v2
	v_pk_mul_f16 v1, v19, v1
	ds_write_b32 v83, v1 offset:1408
	s_or_b64 exec, exec, s[10:11]
	s_and_saveexec_b64 s[74:75], s[2:3]
	s_cbranch_execz .LBB9_115
.LBB9_111:                              ;   in Loop: Header=BB9_16 Depth=1
	v_or_b32_e32 v1, s80, v78
	v_or_b32_e32 v2, s85, v36
	v_cmp_le_i32_e32 vcc, s36, v1
	v_cmp_le_i32_e64 s[10:11], s33, v2
	s_or_b64 s[10:11], vcc, s[10:11]
	s_and_saveexec_b64 s[76:77], s[10:11]
	s_xor_b64 s[10:11], exec, s[76:77]
	s_cbranch_execz .LBB9_113
; %bb.112:                              ;   in Loop: Header=BB9_16 Depth=1
	ds_write_b32 v79, v130 offset:128
                                        ; implicit-def: $vgpr1
.LBB9_113:                              ;   in Loop: Header=BB9_16 Depth=1
	s_andn2_saveexec_b64 s[10:11], s[10:11]
	s_cbranch_execz .LBB9_115
; %bb.114:                              ;   in Loop: Header=BB9_16 Depth=1
	v_mad_u64_u32 v[2:3], s[10:11], v1, s55, v[38:39]
	v_ashrrev_i32_e32 v3, 31, v2
	v_lshlrev_b64 v[2:3], 3, v[2:3]
	v_mov_b32_e32 v1, s45
	v_add_co_u32_e32 v2, vcc, s44, v2
	v_addc_co_u32_e32 v3, vcc, v1, v3, vcc
	global_load_dwordx2 v[2:3], v[2:3], off
	s_waitcnt vmcnt(0)
	v_cvt_f16_f32_e32 v1, v2
	v_cvt_f16_f32_e32 v2, v3
	v_pack_b32_f16 v1, v1, v2
	v_pk_mul_f16 v1, v19, v1
	ds_write_b32 v79, v1 offset:128
.LBB9_115:                              ;   in Loop: Header=BB9_16 Depth=1
	s_or_b64 exec, exec, s[74:75]
	s_waitcnt lgkmcnt(0)
	s_barrier
	ds_read2_b64 v[6:9], v37 offset1:4
	ds_read2_b64 v[2:5], v37 offset0:8 offset1:12
	ds_read_b64 v[48:49], v37 offset:128
	v_add_u32_e32 v1, s80, v27
	v_readlane_b32 s10, v167, 6
	v_mul_hi_u32 v11, s10, v1
	v_readlane_b32 s11, v167, 7
	v_add_u32_e32 v11, v1, v11
	v_lshrrev_b32_e32 v11, s11, v11
	v_mul_lo_u32 v11, v11, s36
	s_cmp_lt_i32 s82, 2
	v_sub_u32_e32 v146, v1, v11
	s_mov_b32 s44, 0
	v_mov_b32_e32 v55, 0
	s_waitcnt lgkmcnt(0)
	s_barrier
	s_cbranch_scc1 .LBB9_122
; %bb.116:                              ;   in Loop: Header=BB9_16 Depth=1
	v_and_b32_e32 v1, 64, v136
	v_add_u32_e32 v1, 64, v1
	v_xor_b32_e32 v11, 32, v136
	v_cmp_lt_i32_e32 vcc, v11, v1
	v_cndmask_b32_e32 v11, v136, v11, vcc
	v_readlane_b32 s10, v167, 24
	v_lshlrev_b32_e32 v147, 2, v11
	v_xor_b32_e32 v11, 16, v136
	v_readlane_b32 s11, v167, 25
	s_add_i32 s44, s82, -1
	v_cmp_lt_i32_e32 vcc, v11, v1
	v_mad_i64_i32 v[46:47], s[10:11], s10, v146, v[46:47]
	v_cndmask_b32_e32 v1, v136, v11, vcc
	v_add_co_u32_e32 v50, vcc, v115, v46
	s_add_u32 s10, s93, s94
	v_addc_co_u32_e32 v51, vcc, v116, v47, vcc
	s_addc_u32 s11, s60, s95
	v_lshlrev_b32_e32 v148, 2, v1
	v_mov_b32_e32 v1, s11
	v_add_co_u32_e32 v52, vcc, s10, v117
	v_addc_co_u32_e32 v53, vcc, v118, v1, vcc
	v_add_co_u32_e32 v54, vcc, s10, v119
	v_addc_co_u32_e32 v1, vcc, v120, v1, vcc
	v_mov_b32_e32 v11, s11
	v_add_co_u32_e32 v56, vcc, s10, v121
	s_add_u32 s10, s64, s65
	v_addc_co_u32_e32 v11, vcc, v122, v11, vcc
	s_addc_u32 s11, s63, s42
	v_mov_b32_e32 v13, s11
	v_add_co_u32_e32 v58, vcc, s10, v123
	v_addc_co_u32_e32 v59, vcc, v124, v13, vcc
	v_add_co_u32_e32 v60, vcc, s10, v125
	v_addc_co_u32_e32 v13, vcc, v126, v13, vcc
	v_mov_b32_e32 v15, s11
	v_add_co_u32_e32 v62, vcc, s10, v127
	v_mov_b32_e32 v57, 0
	v_addc_co_u32_e32 v15, vcc, v128, v15, vcc
	v_mov_b32_e32 v149, 0
	v_mov_b32_e32 v150, 0xfeffffff
	s_mov_b32 s42, s44
	v_mov_b32_e32 v142, 0
	v_mov_b32_e32 v139, 0
	;; [unrolled: 1-line block ×9, first 2 shown]
	global_load_dword v46, v[50:51], off
	s_waitcnt vmcnt(0)
	ds_write_b32 v39, v46 offset:11264
	s_and_saveexec_b64 s[10:11], s[0:1]
	s_cbranch_execz .LBB9_118
.LBB9_117:                              ;   in Loop: Header=BB9_16 Depth=1
	global_load_dwordx4 v[64:67], v[58:59], off
	s_waitcnt vmcnt(0)
	ds_write_b128 v41, v[64:67]
.LBB9_118:                              ;   Parent Loop BB9_16 Depth=1
                                        ; =>  This Inner Loop Header: Depth=2
	s_or_b64 exec, exec, s[10:11]
	v_add_co_u32_e32 v64, vcc, v60, v44
	v_addc_co_u32_e32 v65, vcc, 0, v13, vcc
	v_add_co_u32_e32 v152, vcc, v62, v44
	global_load_dwordx4 v[64:67], v[64:65], off
	v_addc_co_u32_e32 v153, vcc, 0, v15, vcc
	global_load_dwordx4 v[152:155], v[152:153], off
	v_add_u32_e32 v46, 0x2c00, v71
	s_waitcnt vmcnt(1)
	ds_write_b128 v75, v[64:67]
	s_waitcnt vmcnt(0)
	ds_write_b128 v135, v[152:155]
	s_waitcnt lgkmcnt(0)
	s_barrier
	ds_read2_b64 v[64:67], v70 offset1:4
	s_waitcnt lgkmcnt(0)
	v_mfma_f32_16x16x16f16 v[152:155], v[64:65], v[6:7], 0
	v_mfma_f32_16x16x16f16 v[64:67], v[66:67], v[8:9], v[152:155]
	s_nop 7
	s_nop 1
	ds_read2_b64 v[152:155], v70 offset0:8 offset1:12
	s_waitcnt lgkmcnt(0)
	v_mfma_f32_16x16x16f16 v[64:67], v[152:153], v[2:3], v[64:67]
	ds_read_b64 v[152:153], v70 offset:128
	s_waitcnt lgkmcnt(0)
	s_barrier
	v_mfma_f32_16x16x16f16 v[64:67], v[154:155], v[4:5], v[64:67]
	ds_read2_b32 v[154:155], v46 offset1:1
	s_waitcnt lgkmcnt(0)
	v_cvt_f32_f16_e32 v156, v155
	v_cvt_f32_f16_sdwa v157, v155 dst_sel:DWORD dst_unused:UNUSED_PAD src0_sel:WORD_1
	v_cvt_f32_f16_e32 v158, v154
	v_cvt_f32_f16_sdwa v159, v154 dst_sel:DWORD dst_unused:UNUSED_PAD src0_sel:WORD_1
	v_mfma_f32_16x16x16f16 v[152:155], v[152:153], v[48:49], v[64:67]
	s_nop 7
	s_nop 2
	v_pk_add_f32 v[66:67], v[152:153], v[158:159]
	v_pk_add_f32 v[64:65], v[154:155], v[156:157]
	v_add_f32_e32 v152, 0x40051340, v66
	v_add_f32_e32 v153, 0x40051340, v67
	;; [unrolled: 1-line block ×4, first 2 shown]
	v_max3_f32 v152, v150, v152, v153
	v_max3_f32 v46, v152, v46, v151
	ds_bpermute_b32 v151, v147, v46
	s_waitcnt lgkmcnt(0)
	v_max_f32_e32 v151, v151, v151
	v_max_f32_e32 v46, v46, v151
	ds_bpermute_b32 v151, v148, v46
	s_and_saveexec_b64 s[10:11], s[0:1]
	s_cbranch_execz .LBB9_120
; %bb.119:                              ;   in Loop: Header=BB9_118 Depth=2
	global_load_dwordx4 v[152:155], v[52:53], off
	s_waitcnt vmcnt(0)
	ds_write_b128 v41, v[152:155]
.LBB9_120:                              ;   in Loop: Header=BB9_118 Depth=2
	s_or_b64 exec, exec, s[10:11]
	s_waitcnt lgkmcnt(0)
	v_max_f32_e32 v151, v151, v151
	v_max_f32_e32 v46, v46, v46
	;; [unrolled: 1-line block ×3, first 2 shown]
	v_pk_add_f32 v[66:67], v[66:67], v[46:47] op_sel_hi:[1,0] neg_lo:[0,1] neg_hi:[0,1]
	v_mul_f32_e32 v151, 0x3fb8aa3b, v67
	v_fma_f32 v152, v67, s39, -v151
	v_rndne_f32_e32 v153, v151
	v_fmac_f32_e32 v152, 0x32a5705f, v67
	v_sub_f32_e32 v151, v151, v153
	v_add_f32_e32 v151, v151, v152
	v_add_co_u32_e32 v152, vcc, v54, v44
	v_cvt_i32_f32_e32 v160, v153
	v_addc_co_u32_e32 v153, vcc, 0, v1, vcc
	v_add_co_u32_e32 v156, vcc, v56, v44
	global_load_dwordx4 v[152:155], v[152:153], off
	v_addc_co_u32_e32 v157, vcc, 0, v11, vcc
	global_load_dwordx4 v[156:159], v[156:157], off
	v_exp_f32_e32 v151, v151
	v_cmp_ngt_f32_e32 vcc, s67, v67
	v_pk_add_f32 v[64:65], v[64:65], v[46:47] op_sel_hi:[1,0] neg_lo:[0,1] neg_hi:[0,1]
	v_sub_f32_e32 v150, v150, v46
	v_ldexp_f32 v151, v151, v160
	v_mul_f32_e32 v160, 0x3fb8aa3b, v66
	v_fma_f32 v161, v66, s39, -v160
	v_rndne_f32_e32 v162, v160
	v_fmac_f32_e32 v161, 0x32a5705f, v66
	v_sub_f32_e32 v160, v160, v162
	v_add_f32_e32 v160, v160, v161
	v_exp_f32_e32 v160, v160
	v_cvt_i32_f32_e32 v161, v162
	v_cndmask_b32_e32 v151, 0, v151, vcc
	v_cmp_nlt_f32_e32 vcc, s7, v67
	v_cndmask_b32_e32 v67, v137, v151, vcc
	v_ldexp_f32 v151, v160, v161
	v_mul_f32_e32 v160, 0x3fb8aa3b, v65
	v_fma_f32 v161, v65, s39, -v160
	v_rndne_f32_e32 v162, v160
	v_fmac_f32_e32 v161, 0x32a5705f, v65
	v_sub_f32_e32 v160, v160, v162
	v_add_f32_e32 v160, v160, v161
	v_exp_f32_e32 v160, v160
	v_cvt_i32_f32_e32 v161, v162
	v_cmp_ngt_f32_e32 vcc, s67, v66
	v_cndmask_b32_e32 v151, 0, v151, vcc
	v_cmp_nlt_f32_e32 vcc, s7, v66
	v_cndmask_b32_e32 v66, v137, v151, vcc
	v_ldexp_f32 v151, v160, v161
	v_mul_f32_e32 v160, 0x3fb8aa3b, v64
	v_fma_f32 v161, v64, s39, -v160
	v_rndne_f32_e32 v162, v160
	v_fmac_f32_e32 v161, 0x32a5705f, v64
	v_sub_f32_e32 v160, v160, v162
	v_add_f32_e32 v160, v160, v161
	v_exp_f32_e32 v160, v160
	v_cvt_i32_f32_e32 v161, v162
	v_cmp_ngt_f32_e32 vcc, s67, v65
	;; [unrolled: 13-line block ×3, first 2 shown]
	v_cndmask_b32_e32 v151, 0, v151, vcc
	v_cmp_nlt_f32_e32 vcc, s7, v64
	v_cndmask_b32_e32 v151, v137, v151, vcc
	v_ldexp_f32 v160, v160, v161
	v_cmp_ngt_f32_e32 vcc, s67, v150
	v_cndmask_b32_e32 v160, 0, v160, vcc
	v_cmp_nlt_f32_e32 vcc, s7, v150
	v_cndmask_b32_e32 v160, v137, v160, vcc
	v_cmp_le_f32_e32 vcc, s6, v150
	v_cndmask_b32_e32 v150, 0, v160, vcc
	v_cvt_f16_f32_e32 v160, v150
	v_add_f32_e32 v64, v66, v67
	v_add_f32_e32 v64, v151, v64
	;; [unrolled: 1-line block ×3, first 2 shown]
	v_pk_mul_f16 v163, v160, v145 op_sel_hi:[0,1]
	v_pk_mul_f16 v164, v160, v144 op_sel_hi:[0,1]
	;; [unrolled: 1-line block ×3, first 2 shown]
	v_cvt_f16_f32_e32 v144, v67
	v_cvt_f16_f32_e32 v145, v66
	s_waitcnt vmcnt(1)
	ds_write_b128 v75, v[152:155]
	s_waitcnt vmcnt(0)
	ds_write_b128 v135, v[156:159]
	s_waitcnt lgkmcnt(0)
	s_barrier
	ds_read_u16 v66, v73 offset:176
	ds_read_u16 v67, v73 offset:352
	ds_read_u16 v143, v74
	v_pk_mul_f16 v139, v160, v139 op_sel_hi:[0,1]
	v_fmac_f32_e32 v64, v149, v150
	v_pk_mul_f16 v161, v160, v141 op_sel_hi:[0,1]
	v_pk_mul_f16 v162, v160, v140 op_sel_hi:[0,1]
	v_cvt_f16_f32_e32 v150, v151
	v_cvt_f32_f16_e32 v140, v139
	v_cvt_f32_f16_sdwa v141, v139 dst_sel:DWORD dst_unused:UNUSED_PAD src0_sel:WORD_1
	ds_read_u16 v139, v72
	ds_read_u16 v151, v72 offset:32
	ds_read_u16 v153, v72 offset:64
	;; [unrolled: 1-line block ×4, first 2 shown]
	v_pk_mul_f16 v47, v160, v47 op_sel_hi:[0,1]
	v_cvt_f16_f32_e32 v65, v65
	s_waitcnt lgkmcnt(5)
	v_perm_b32 v67, v143, v67, s53
	s_waitcnt lgkmcnt(4)
	v_perm_b32 v66, v66, v139, s53
	v_pk_mul_f16 v149, v160, v142 op_sel_hi:[0,1]
	v_cvt_f32_f16_e32 v142, v47
	v_cvt_f32_f16_sdwa v143, v47 dst_sel:DWORD dst_unused:UNUSED_PAD src0_sel:WORD_1
	v_pack_b32_f16 v144, v145, v144
	v_pack_b32_f16 v145, v150, v65
	ds_read_u16 v47, v74 offset:32
	v_pk_mul_f16 v57, v160, v57 op_sel_hi:[0,1]
	v_mfma_f32_16x16x16f16 v[140:143], v[66:67], v[144:145], v[140:143]
	v_pk_mul_f16 v55, v160, v55 op_sel_hi:[0,1]
	v_add_co_u32_e32 v50, vcc, s57, v50
	v_addc_co_u32_e32 v51, vcc, 0, v51, vcc
	v_add_co_u32_e32 v52, vcc, s68, v52
	s_nop 6
	v_cvt_f16_f32_e32 v65, v140
	v_cvt_f16_f32_e32 v139, v141
	v_cvt_f32_f16_e32 v140, v57
	v_cvt_f32_f16_sdwa v141, v57 dst_sel:DWORD dst_unused:UNUSED_PAD src0_sel:WORD_1
	ds_read_u16 v57, v131 offset:176
	ds_read_u16 v66, v131 offset:352
	;; [unrolled: 1-line block ×7, first 2 shown]
	s_waitcnt lgkmcnt(5)
	v_perm_b32 v67, v47, v66, s53
	v_perm_b32 v66, v57, v151, s53
	v_cvt_f16_f32_e32 v150, v142
	v_cvt_f16_f32_e32 v152, v143
	v_cvt_f32_f16_e32 v142, v149
	v_cvt_f32_f16_sdwa v143, v149 dst_sel:DWORD dst_unused:UNUSED_PAD src0_sel:WORD_1
	v_cvt_f32_f16_sdwa v151, v161 dst_sel:DWORD dst_unused:UNUSED_PAD src0_sel:WORD_1
	v_pack_b32_f16 v47, v150, v152
	v_mfma_f32_16x16x16f16 v[140:143], v[66:67], v[144:145], v[140:143]
	s_waitcnt lgkmcnt(2)
	v_perm_b32 v67, v158, v156, s53
	v_perm_b32 v66, v155, v153, s53
	v_cvt_f32_f16_e32 v150, v161
	v_cvt_f32_f16_e32 v152, v162
	v_cvt_f32_f16_sdwa v153, v162 dst_sel:DWORD dst_unused:UNUSED_PAD src0_sel:WORD_1
	v_pack_b32_f16 v139, v65, v139
	s_add_i32 s42, s42, -1
	s_nop 2
	v_cvt_f16_f32_e32 v57, v140
	v_cvt_f16_f32_e32 v65, v141
	;; [unrolled: 1-line block ×4, first 2 shown]
	v_mfma_f32_16x16x16f16 v[140:143], v[66:67], v[144:145], v[150:153]
	ds_read_u16 v66, v133 offset:176
	ds_read_u16 v67, v133 offset:352
	;; [unrolled: 1-line block ×4, first 2 shown]
	v_pack_b32_f16 v57, v57, v65
	s_nop 1
	v_cvt_f32_f16_e32 v150, v163
	s_waitcnt lgkmcnt(3)
	v_perm_b32 v66, v66, v154, s53
	s_waitcnt lgkmcnt(2)
	v_perm_b32 v67, v159, v67, s53
	v_cvt_f32_f16_sdwa v151, v163 dst_sel:DWORD dst_unused:UNUSED_PAD src0_sel:WORD_1
	v_cvt_f32_f16_e32 v152, v164
	v_cvt_f32_f16_sdwa v153, v164 dst_sel:DWORD dst_unused:UNUSED_PAD src0_sel:WORD_1
	v_cvt_f16_f32_e32 v65, v140
	v_cvt_f16_f32_e32 v140, v141
	v_mfma_f32_16x16x16f16 v[150:153], v[66:67], v[144:145], v[150:153]
	v_cvt_f16_f32_e32 v156, v142
	v_cvt_f16_f32_e32 v143, v143
	s_waitcnt lgkmcnt(0)
	v_perm_b32 v67, v166, v160, s53
	v_perm_b32 v66, v158, v157, s53
	v_pack_b32_f16 v142, v149, v155
	v_pack_b32_f16 v141, v65, v140
	;; [unrolled: 1-line block ×3, first 2 shown]
	v_cvt_f32_f16_e32 v154, v165
	v_cvt_f32_f16_sdwa v155, v165 dst_sel:DWORD dst_unused:UNUSED_PAD src0_sel:WORD_1
	v_cvt_f32_f16_e32 v156, v55
	v_cvt_f32_f16_sdwa v157, v55 dst_sel:DWORD dst_unused:UNUSED_PAD src0_sel:WORD_1
	v_cvt_f16_f32_e32 v65, v150
	v_cvt_f16_f32_e32 v55, v151
	;; [unrolled: 1-line block ×4, first 2 shown]
	v_mfma_f32_16x16x16f16 v[150:153], v[66:67], v[144:145], v[154:157]
	v_pack_b32_f16 v145, v65, v55
	v_mov_b32_e32 v65, s69
	v_addc_co_u32_e32 v53, vcc, v53, v65, vcc
	v_add_co_u32_e32 v54, vcc, s68, v54
	v_addc_co_u32_e32 v1, vcc, v1, v65, vcc
	v_add_co_u32_e32 v56, vcc, s68, v56
	v_addc_co_u32_e32 v11, vcc, v11, v65, vcc
	v_mov_b32_e32 v65, s71
	v_add_co_u32_e32 v58, vcc, s70, v58
	s_nop 1
	v_cvt_f16_f32_e32 v66, v150
	v_cvt_f16_f32_e32 v67, v151
	;; [unrolled: 1-line block ×4, first 2 shown]
	v_addc_co_u32_e32 v59, vcc, v59, v65, vcc
	v_add_co_u32_e32 v60, vcc, s70, v60
	v_addc_co_u32_e32 v13, vcc, v13, v65, vcc
	v_add_co_u32_e32 v62, vcc, s70, v62
	v_pack_b32_f16 v144, v143, v149
	v_pack_b32_f16 v143, v66, v67
	;; [unrolled: 1-line block ×3, first 2 shown]
	s_cmp_lg_u32 s42, 0
	v_addc_co_u32_e32 v15, vcc, v15, v65, vcc
	s_barrier
	s_cbranch_scc0 .LBB9_123
; %bb.121:                              ;   in Loop: Header=BB9_118 Depth=2
	v_mov_b32_e32 v149, v64
	v_mov_b32_e32 v150, v46
	global_load_dword v46, v[50:51], off
	s_waitcnt vmcnt(0)
	ds_write_b32 v39, v46 offset:11264
	s_and_saveexec_b64 s[10:11], s[0:1]
	s_cbranch_execnz .LBB9_117
	s_branch .LBB9_118
.LBB9_122:                              ;   in Loop: Header=BB9_16 Depth=1
	v_mov_b32_e32 v64, 0
	v_mov_b32_e32 v46, 0xfeffffff
	;; [unrolled: 1-line block ×11, first 2 shown]
.LBB9_123:                              ;   in Loop: Header=BB9_16 Depth=1
	v_mad_i64_i32 v[50:51], s[10:11], v146, s38, 0
	s_lshl_b32 s60, s44, 6
	s_lshl_b64 s[10:11], s[60:61], 1
	v_mov_b32_e32 v1, s11
	v_add_co_u32_e32 v11, vcc, s10, v43
	v_addc_co_u32_e32 v1, vcc, v138, v1, vcc
	v_lshlrev_b64 v[50:51], 1, v[50:51]
	v_add_co_u32_e32 v11, vcc, v11, v50
	v_addc_co_u32_e32 v1, vcc, v1, v51, vcc
	v_lshlrev_b32_e32 v13, 1, v10
	v_add_co_u32_e32 v50, vcc, v11, v13
	v_addc_co_u32_e32 v51, vcc, 0, v1, vcc
	global_load_dword v1, v[50:51], off
	s_mul_i32 s11, s35, s60
	s_mul_hi_u32 s42, s34, s60
	s_mul_i32 s10, s34, s60
	s_add_i32 s11, s42, s11
	s_lshl_b64 s[10:11], s[10:11], 2
	s_add_u32 s42, s62, s10
	s_addc_u32 s44, s49, s11
	s_waitcnt vmcnt(0)
	ds_write_b32 v39, v1 offset:11264
	s_and_saveexec_b64 s[10:11], s[0:1]
	s_cbranch_execz .LBB9_125
; %bb.124:                              ;   in Loop: Header=BB9_16 Depth=1
	v_mov_b32_e32 v1, s44
	v_add_co_u32_e32 v11, vcc, s42, v22
	v_addc_co_u32_e32 v1, vcc, v1, v23, vcc
	v_lshlrev_b32_e32 v13, 2, v12
	v_add_co_u32_e32 v50, vcc, v11, v13
	v_addc_co_u32_e32 v51, vcc, 0, v1, vcc
	global_load_dwordx4 v[50:53], v[50:51], off offset:128
	s_waitcnt vmcnt(0)
	ds_write_b128 v76, v[50:53]
.LBB9_125:                              ;   in Loop: Header=BB9_16 Depth=1
	s_or_b64 exec, exec, s[10:11]
	v_mov_b32_e32 v1, s44
	v_add_co_u32_e32 v11, vcc, s42, v32
	v_addc_co_u32_e32 v13, vcc, v1, v33, vcc
	v_lshlrev_b32_e32 v1, 2, v14
	v_add_co_u32_e32 v50, vcc, v11, v1
	v_addc_co_u32_e32 v51, vcc, 0, v13, vcc
	v_mov_b32_e32 v11, s44
	v_add_co_u32_e32 v13, vcc, s42, v34
	v_addc_co_u32_e32 v11, vcc, v11, v35, vcc
	v_add_co_u32_e32 v58, vcc, v13, v1
	v_addc_co_u32_e32 v59, vcc, 0, v11, vcc
	global_load_dwordx4 v[50:53], v[50:51], off
	s_nop 0
	global_load_dwordx4 v[146:149], v[58:59], off
	v_add_u32_e32 v11, 0x2c00, v71
	v_and_b32_e32 v13, 64, v136
	v_xor_b32_e32 v15, 32, v136
	v_add_u32_e32 v43, 64, v13
	v_cmp_lt_i32_e32 vcc, v15, v43
	v_cndmask_b32_e32 v13, v136, v15, vcc
	v_lshlrev_b32_e32 v13, 2, v13
	s_mul_i32 s10, s60, s15
	s_mul_hi_u32 s11, s60, s14
	s_add_i32 s11, s11, s10
	s_mul_i32 s10, s60, s14
	s_lshl_b64 s[10:11], s[10:11], 2
	s_add_u32 s42, s92, s10
	s_addc_u32 s44, s48, s11
	s_waitcnt vmcnt(1)
	ds_write_b128 v75, v[50:53]
	s_waitcnt vmcnt(0)
	ds_write_b128 v135, v[146:149]
	s_waitcnt lgkmcnt(0)
	s_barrier
	ds_read2_b64 v[50:53], v70 offset1:4
	s_waitcnt lgkmcnt(0)
	v_mfma_f32_16x16x16f16 v[146:149], v[50:51], v[6:7], 0
	v_mfma_f32_16x16x16f16 v[6:9], v[52:53], v[8:9], v[146:149]
	ds_read2_b64 v[50:53], v70 offset0:8 offset1:12
	s_waitcnt lgkmcnt(0)
	v_mfma_f32_16x16x16f16 v[6:9], v[50:51], v[2:3], v[6:9]
	ds_read_b64 v[50:51], v70 offset:128
	s_waitcnt lgkmcnt(0)
	s_barrier
	ds_read2_b32 v[58:59], v11 offset1:1
	v_xor_b32_e32 v11, 16, v136
	v_cmp_lt_i32_e32 vcc, v11, v43
	v_mfma_f32_16x16x16f16 v[2:5], v[52:53], v[4:5], v[6:9]
	v_mfma_f32_16x16x16f16 v[2:5], v[50:51], v[48:49], v[2:5]
	s_waitcnt lgkmcnt(0)
	s_nop 4
	v_cvt_f32_f16_e32 v6, v59
	v_cvt_f32_f16_sdwa v7, v59 dst_sel:DWORD dst_unused:UNUSED_PAD src0_sel:WORD_1
	v_cvt_f32_f16_e32 v8, v58
	v_cvt_f32_f16_sdwa v9, v58 dst_sel:DWORD dst_unused:UNUSED_PAD src0_sel:WORD_1
	s_nop 0
	v_pk_add_f32 v[4:5], v[4:5], v[6:7]
	v_pk_add_f32 v[6:7], v[2:3], v[8:9]
	v_add_f32_e32 v8, 0x40051340, v6
	v_add_f32_e32 v9, 0x40051340, v7
	;; [unrolled: 1-line block ×4, first 2 shown]
	v_max3_f32 v8, v46, v8, v9
	v_max3_f32 v2, v8, v2, v3
	ds_bpermute_b32 v3, v13, v2
	v_cndmask_b32_e32 v8, v136, v11, vcc
	v_lshlrev_b32_e32 v15, 2, v8
	s_waitcnt lgkmcnt(0)
	v_max_f32_e32 v3, v3, v3
	v_max_f32_e32 v2, v2, v3
	ds_bpermute_b32 v3, v15, v2
	s_and_saveexec_b64 s[10:11], s[0:1]
	s_cbranch_execz .LBB9_127
; %bb.126:                              ;   in Loop: Header=BB9_16 Depth=1
	v_mov_b32_e32 v8, s44
	v_add_co_u32_e32 v9, vcc, s42, v20
	v_addc_co_u32_e32 v11, vcc, v8, v21, vcc
	v_lshlrev_b32_e32 v8, 2, v12
	v_add_co_u32_e32 v8, vcc, v9, v8
	v_addc_co_u32_e32 v9, vcc, 0, v11, vcc
	global_load_dwordx4 v[48:51], v[8:9], off offset:128
	s_waitcnt vmcnt(0)
	ds_write_b128 v41, v[48:51]
.LBB9_127:                              ;   in Loop: Header=BB9_16 Depth=1
	s_or_b64 exec, exec, s[10:11]
	s_waitcnt lgkmcnt(0)
	v_max_f32_e32 v3, v3, v3
	v_max_f32_e32 v2, v2, v2
	;; [unrolled: 1-line block ×3, first 2 shown]
	v_pk_add_f32 v[52:53], v[6:7], v[2:3] op_sel_hi:[1,0] neg_lo:[0,1] neg_hi:[0,1]
	v_mul_f32_e32 v3, 0x3fb8aa3b, v53
	v_fma_f32 v6, v53, s39, -v3
	v_rndne_f32_e32 v7, v3
	v_fmac_f32_e32 v6, 0x32a5705f, v53
	v_sub_f32_e32 v3, v3, v7
	v_add_f32_e32 v3, v3, v6
	v_cvt_i32_f32_e32 v11, v7
	v_mov_b32_e32 v6, s44
	v_add_co_u32_e32 v7, vcc, s42, v28
	v_addc_co_u32_e32 v8, vcc, v6, v29, vcc
	v_add_co_u32_e32 v6, vcc, v7, v1
	v_addc_co_u32_e32 v7, vcc, 0, v8, vcc
	v_mov_b32_e32 v8, s44
	v_add_co_u32_e32 v9, vcc, s42, v30
	v_addc_co_u32_e32 v8, vcc, v8, v31, vcc
	v_add_co_u32_e32 v48, vcc, v9, v1
	v_addc_co_u32_e32 v49, vcc, 0, v8, vcc
	global_load_dwordx4 v[6:9], v[6:7], off
	s_nop 0
	global_load_dwordx4 v[48:51], v[48:49], off
	v_exp_f32_e32 v3, v3
	v_cmp_ngt_f32_e32 vcc, s67, v53
	s_cmp_eq_u64 s[72:73], 0
	s_cselect_b64 s[10:11], -1, 0
	v_ldexp_f32 v1, v3, v11
	v_mul_f32_e32 v3, 0x3fb8aa3b, v52
	v_fma_f32 v11, v52, s39, -v3
	v_rndne_f32_e32 v43, v3
	v_fmac_f32_e32 v11, 0x32a5705f, v52
	v_sub_f32_e32 v3, v3, v43
	v_add_f32_e32 v3, v3, v11
	v_exp_f32_e32 v3, v3
	v_cvt_i32_f32_e32 v11, v43
	v_cndmask_b32_e32 v1, 0, v1, vcc
	v_cmp_nlt_f32_e32 vcc, s7, v53
	v_cndmask_b32_e32 v1, v137, v1, vcc
	v_ldexp_f32 v3, v3, v11
	v_pk_add_f32 v[4:5], v[4:5], v[2:3] op_sel_hi:[1,0] neg_lo:[0,1] neg_hi:[0,1]
	v_mul_f32_e32 v11, 0x3fb8aa3b, v5
	v_fma_f32 v43, v5, s39, -v11
	v_rndne_f32_e32 v53, v11
	v_fmac_f32_e32 v43, 0x32a5705f, v5
	v_sub_f32_e32 v11, v11, v53
	v_add_f32_e32 v11, v11, v43
	v_exp_f32_e32 v11, v11
	v_cvt_i32_f32_e32 v43, v53
	v_cmp_ngt_f32_e32 vcc, s67, v52
	v_cndmask_b32_e32 v3, 0, v3, vcc
	v_cmp_nlt_f32_e32 vcc, s7, v52
	v_ldexp_f32 v11, v11, v43
	v_mul_f32_e32 v43, 0x3fb8aa3b, v4
	v_fma_f32 v52, v4, s39, -v43
	v_rndne_f32_e32 v53, v43
	v_fmac_f32_e32 v52, 0x32a5705f, v4
	v_sub_f32_e32 v43, v43, v53
	v_add_f32_e32 v43, v43, v52
	v_exp_f32_e32 v43, v43
	v_cvt_i32_f32_e32 v52, v53
	v_cndmask_b32_e32 v3, v137, v3, vcc
	v_cmp_ngt_f32_e32 vcc, s67, v5
	v_cndmask_b32_e32 v11, 0, v11, vcc
	v_cmp_nlt_f32_e32 vcc, s7, v5
	v_cndmask_b32_e32 v5, v137, v11, vcc
	v_ldexp_f32 v11, v43, v52
	v_sub_f32_e32 v43, v46, v2
	v_mul_f32_e32 v46, 0x3fb8aa3b, v43
	v_fma_f32 v52, v43, s39, -v46
	v_rndne_f32_e32 v53, v46
	v_fmac_f32_e32 v52, 0x32a5705f, v43
	v_sub_f32_e32 v46, v46, v53
	v_add_f32_e32 v46, v46, v52
	v_exp_f32_e32 v46, v46
	v_cvt_i32_f32_e32 v52, v53
	v_cmp_ngt_f32_e32 vcc, s67, v4
	v_cndmask_b32_e32 v11, 0, v11, vcc
	v_cmp_nlt_f32_e32 vcc, s7, v4
	v_cndmask_b32_e32 v4, v137, v11, vcc
	v_ldexp_f32 v46, v46, v52
	v_cmp_ngt_f32_e32 vcc, s67, v43
	v_cndmask_b32_e32 v46, 0, v46, vcc
	v_cmp_nlt_f32_e32 vcc, s7, v43
	v_cndmask_b32_e32 v46, v137, v46, vcc
	v_cmp_le_f32_e32 vcc, s6, v43
	v_cndmask_b32_e32 v43, 0, v46, vcc
	v_cvt_f16_f32_e32 v52, v43
	s_waitcnt vmcnt(1)
	ds_write_b128 v75, v[6:9]
	s_waitcnt vmcnt(0)
	ds_write_b128 v135, v[48:51]
	s_waitcnt lgkmcnt(0)
	s_barrier
	ds_read_u16 v7, v73 offset:176
	ds_read_u16 v8, v73 offset:352
	ds_read_u16 v9, v74
	v_add_f32_e32 v11, v3, v1
	v_add_f32_e32 v11, v4, v11
	;; [unrolled: 1-line block ×3, first 2 shown]
	v_fmac_f32_e32 v11, v64, v43
	v_pk_mul_f16 v43, v52, v139 op_sel_hi:[0,1]
	v_pk_mul_f16 v46, v52, v47 op_sel_hi:[0,1]
	;; [unrolled: 1-line block ×3, first 2 shown]
	v_cvt_f16_f32_e32 v57, v5
	v_cvt_f16_f32_e32 v48, v4
	v_cvt_f32_f16_e32 v4, v43
	v_cvt_f32_f16_sdwa v5, v43 dst_sel:DWORD dst_unused:UNUSED_PAD src0_sel:WORD_1
	s_waitcnt lgkmcnt(0)
	v_perm_b32 v9, v9, v8, s53
	ds_read_u16 v8, v72
	ds_read_u16 v43, v72 offset:32
	ds_read_u16 v49, v72 offset:64
	;; [unrolled: 1-line block ×4, first 2 shown]
	v_cvt_f16_f32_e32 v1, v1
	v_cvt_f16_f32_e32 v3, v3
	s_waitcnt lgkmcnt(4)
	v_perm_b32 v8, v7, v8, s53
	v_cvt_f32_f16_e32 v6, v46
	v_cvt_f32_f16_sdwa v7, v46 dst_sel:DWORD dst_unused:UNUSED_PAD src0_sel:WORD_1
	v_pack_b32_f16 v56, v3, v1
	v_pack_b32_f16 v57, v48, v57
	ds_read_u16 v1, v74 offset:32
	v_pk_mul_f16 v53, v52, v142 op_sel_hi:[0,1]
	v_mfma_f32_16x16x16f16 v[4:7], v[8:9], v[56:57], v[4:7]
	ds_read_u16 v9, v131 offset:176
	ds_read_u16 v46, v131 offset:352
	;; [unrolled: 1-line block ×7, first 2 shown]
	v_cvt_f32_f16_e32 v8, v53
	v_pk_mul_f16 v54, v52, v141 op_sel_hi:[0,1]
	v_pk_mul_f16 v58, v52, v140 op_sel_hi:[0,1]
	s_waitcnt lgkmcnt(2)
	v_perm_b32 v51, v66, v51, s53
	v_perm_b32 v50, v50, v49, s53
	v_cvt_f32_f16_sdwa v49, v58 dst_sel:DWORD dst_unused:UNUSED_PAD src0_sel:WORD_1
	v_cvt_f16_f32_e32 v3, v4
	v_cvt_f16_f32_e32 v4, v5
	;; [unrolled: 1-line block ×4, first 2 shown]
	v_cvt_f32_f16_e32 v6, v47
	v_cvt_f32_f16_sdwa v7, v47 dst_sel:DWORD dst_unused:UNUSED_PAD src0_sel:WORD_1
	v_perm_b32 v47, v1, v46, s53
	v_perm_b32 v46, v9, v43, s53
	v_cvt_f32_f16_sdwa v9, v53 dst_sel:DWORD dst_unused:UNUSED_PAD src0_sel:WORD_1
	v_pack_b32_f16 v1, v5, v48
	v_cvt_f32_f16_e32 v48, v58
	v_mfma_f32_16x16x16f16 v[6:9], v[46:47], v[56:57], v[6:9]
	v_cvt_f32_f16_e32 v46, v54
	v_cvt_f32_f16_sdwa v47, v54 dst_sel:DWORD dst_unused:UNUSED_PAD src0_sel:WORD_1
	v_pack_b32_f16 v4, v3, v4
	v_pk_mul_f16 v59, v52, v145 op_sel_hi:[0,1]
	v_pk_mul_f16 v60, v52, v144 op_sel_hi:[0,1]
	v_pk_mul_f16 v62, v52, v143 op_sel_hi:[0,1]
	v_pk_mul_f16 v43, v52, v55 op_sel_hi:[0,1]
	v_mfma_f32_16x16x16f16 v[46:49], v[50:51], v[56:57], v[46:49]
	s_nop 2
	v_cvt_f16_f32_e32 v3, v6
	v_cvt_f16_f32_e32 v5, v7
	;; [unrolled: 1-line block ×4, first 2 shown]
	s_xor_b64 s[44:45], s[4:5], -1
	v_pack_b32_f16 v6, v3, v5
	s_or_b64 s[10:11], s[44:45], s[10:11]
	s_nop 0
	v_cvt_f16_f32_e32 v53, v49
	ds_read_u16 v5, v133 offset:176
	ds_read_u16 v49, v133 offset:352
	v_cvt_f16_f32_e32 v3, v46
	v_cvt_f16_f32_e32 v9, v47
	v_cvt_f16_f32_e32 v52, v48
	s_waitcnt lgkmcnt(1)
	v_perm_b32 v50, v5, v64, s53
	s_waitcnt lgkmcnt(0)
	v_perm_b32 v51, v67, v49, s53
	v_cvt_f32_f16_e32 v46, v59
	v_cvt_f32_f16_sdwa v47, v59 dst_sel:DWORD dst_unused:UNUSED_PAD src0_sel:WORD_1
	v_cvt_f32_f16_e32 v48, v60
	v_cvt_f32_f16_sdwa v49, v60 dst_sel:DWORD dst_unused:UNUSED_PAD src0_sel:WORD_1
	ds_read_u16 v54, v134 offset:176
	ds_read_u16 v55, v134 offset:352
	v_mfma_f32_16x16x16f16 v[46:49], v[50:51], v[56:57], v[46:49]
	s_waitcnt lgkmcnt(1)
	v_perm_b32 v54, v54, v65, s53
	s_waitcnt lgkmcnt(0)
	v_perm_b32 v55, v138, v55, s53
	v_pack_b32_f16 v5, v7, v8
	v_pack_b32_f16 v7, v52, v53
	v_cvt_f32_f16_e32 v50, v62
	v_cvt_f32_f16_sdwa v51, v62 dst_sel:DWORD dst_unused:UNUSED_PAD src0_sel:WORD_1
	v_cvt_f32_f16_e32 v52, v43
	v_cvt_f32_f16_sdwa v53, v43 dst_sel:DWORD dst_unused:UNUSED_PAD src0_sel:WORD_1
	v_pack_b32_f16 v8, v3, v9
	v_cvt_f16_f32_e32 v9, v47
	v_cvt_f16_f32_e32 v43, v48
	;; [unrolled: 1-line block ×3, first 2 shown]
	v_mfma_f32_16x16x16f16 v[48:51], v[54:55], v[56:57], v[50:53]
	v_cvt_f16_f32_e32 v3, v46
	s_barrier
	v_pack_b32_f16 v46, v3, v9
	v_pack_b32_f16 v9, v43, v47
	s_nop 6
	v_cvt_f16_f32_e32 v3, v48
	v_cvt_f16_f32_e32 v48, v49
	ds_bpermute_b32 v49, v13, v11
	v_cvt_f16_f32_e32 v43, v50
	v_cvt_f16_f32_e32 v47, v51
	v_pack_b32_f16 v48, v3, v48
	s_waitcnt lgkmcnt(0)
	v_add_f32_e32 v3, v11, v49
	ds_bpermute_b32 v49, v15, v3
	v_pack_b32_f16 v11, v43, v47
	s_waitcnt lgkmcnt(0)
	v_add_f32_e32 v3, v3, v49
	s_and_saveexec_b64 s[44:45], s[10:11]
	s_xor_b64 s[10:11], exec, s[44:45]
	s_andn2_saveexec_b64 s[10:11], s[10:11]
	s_cbranch_execz .LBB9_129
; %bb.128:                              ;   in Loop: Header=BB9_16 Depth=1
	v_lshlrev_b32_e32 v43, 2, v18
	global_load_dword v43, v43, s[72:73]
	v_max_f32_e32 v47, v2, v2
	s_waitcnt vmcnt(0)
	v_max_f32_e32 v49, v43, v43
	v_max_f32_e32 v50, v47, v49
	v_sub_f32_e32 v2, v2, v50
	v_sub_f32_e32 v43, v43, v50
	v_mul_f32_e32 v47, 0x3fb8aa3b, v2
	v_mul_f32_e32 v49, 0x3fb8aa3b, v43
	v_fma_f32 v51, v2, s39, -v47
	v_rndne_f32_e32 v52, v47
	v_fma_f32 v53, v43, s39, -v49
	v_rndne_f32_e32 v54, v49
	v_fmac_f32_e32 v51, 0x32a5705f, v2
	v_sub_f32_e32 v47, v47, v52
	v_fmac_f32_e32 v53, 0x32a5705f, v43
	v_sub_f32_e32 v49, v49, v54
	v_add_f32_e32 v47, v47, v51
	v_cvt_i32_f32_e32 v52, v52
	v_add_f32_e32 v49, v49, v53
	v_exp_f32_e32 v47, v47
	v_cvt_i32_f32_e32 v54, v54
	v_exp_f32_e32 v49, v49
	v_cmp_ngt_f32_e32 vcc, s67, v2
	v_ldexp_f32 v47, v47, v52
	v_cndmask_b32_e32 v47, 0, v47, vcc
	v_ldexp_f32 v49, v49, v54
	v_cmp_ngt_f32_e32 vcc, s67, v43
	v_cndmask_b32_e32 v49, 0, v49, vcc
	v_cmp_nlt_f32_e32 vcc, s7, v2
	v_cndmask_b32_e32 v47, v137, v47, vcc
	v_cmp_le_f32_e32 vcc, s6, v2
	v_cndmask_b32_e32 v2, 0, v47, vcc
	v_cvt_f16_f32_e32 v47, v2
	v_cmp_nlt_f32_e32 vcc, s7, v43
	v_cndmask_b32_e32 v51, v137, v49, vcc
	v_fmac_f32_e32 v51, v3, v2
	v_pk_mul_f16 v4, v47, v4 op_sel_hi:[0,1]
	v_pk_mul_f16 v1, v47, v1 op_sel_hi:[0,1]
	;; [unrolled: 1-line block ×10, first 2 shown]
	v_pk_mov_b32 v[2:3], v[50:51], v[50:51] op_sel:[0,1]
.LBB9_129:                              ;   in Loop: Header=BB9_16 Depth=1
	s_or_b64 exec, exec, s[10:11]
	s_and_saveexec_b64 s[10:11], s[8:9]
	s_cbranch_execz .LBB9_131
; %bb.130:                              ;   in Loop: Header=BB9_16 Depth=1
	v_add_u32_e32 v43, 0, v80
	ds_write2_b32 v43, v2, v3 offset0:40 offset1:41
.LBB9_131:                              ;   in Loop: Header=BB9_16 Depth=1
	s_or_b64 exec, exec, s[10:11]
	s_waitcnt lgkmcnt(0)
	s_barrier
	s_and_saveexec_b64 s[10:11], s[12:13]
	s_xor_b64 s[10:11], exec, s[10:11]
	s_cbranch_execz .LBB9_133
; %bb.132:                              ;   in Loop: Header=BB9_16 Depth=1
	s_barrier
	s_waitcnt lgkmcnt(0)
                                        ; implicit-def: $vgpr13
                                        ; implicit-def: $vgpr15
.LBB9_133:                              ;   in Loop: Header=BB9_16 Depth=1
	s_andn2_saveexec_b64 s[10:11], s[10:11]
	s_cbranch_execz .LBB9_135
; %bb.134:                              ;   in Loop: Header=BB9_16 Depth=1
	v_add_u32_e32 v43, 0, v80
	ds_read_b64 v[2:3], v43 offset:160
	s_waitcnt lgkmcnt(0)
	s_barrier
	ds_bpermute_b32 v47, v13, v2
	v_max_f32_e32 v49, v2, v2
	s_waitcnt lgkmcnt(0)
	v_max_f32_e32 v47, v47, v47
	v_max_f32_e32 v47, v49, v47
	ds_bpermute_b32 v49, v15, v47
	s_waitcnt lgkmcnt(0)
	v_max_f32_e32 v49, v49, v49
	v_max_f32_e32 v47, v47, v49
	v_sub_f32_e32 v2, v2, v47
	v_mul_f32_e32 v47, 0x3fb8aa3b, v2
	v_fma_f32 v49, v2, s39, -v47
	v_rndne_f32_e32 v50, v47
	v_fmac_f32_e32 v49, 0x32a5705f, v2
	v_sub_f32_e32 v47, v47, v50
	v_add_f32_e32 v47, v47, v49
	v_cvt_i32_f32_e32 v50, v50
	v_exp_f32_e32 v47, v47
	v_cmp_ngt_f32_e32 vcc, s67, v2
	v_ldexp_f32 v47, v47, v50
	v_cndmask_b32_e32 v47, 0, v47, vcc
	v_cmp_nlt_f32_e32 vcc, s7, v2
	v_cndmask_b32_e32 v2, v137, v47, vcc
	v_mul_f32_e32 v47, v3, v2
	ds_bpermute_b32 v13, v13, v47
	s_waitcnt lgkmcnt(0)
	v_fmac_f32_e32 v13, v3, v2
	ds_bpermute_b32 v3, v15, v13
	s_waitcnt lgkmcnt(0)
	v_add_f32_e32 v3, v13, v3
	ds_write_b64 v43, v[2:3] offset:160
.LBB9_135:                              ;   in Loop: Header=BB9_16 Depth=1
	s_or_b64 exec, exec, s[10:11]
	ds_write2_b32 v81, v4, v1 offset1:1
	ds_write2_b32 v81, v6, v5 offset0:8 offset1:9
	ds_write2_b32 v81, v8, v7 offset0:16 offset1:17
	;; [unrolled: 1-line block ×4, first 2 shown]
	s_waitcnt lgkmcnt(0)
	s_barrier
	s_and_saveexec_b64 s[72:73], s[4:5]
	s_cbranch_execz .LBB9_14
; %bb.136:                              ;   in Loop: Header=BB9_16 Depth=1
	v_add_u32_e32 v2, s80, v85
	v_or_b32_e32 v1, s85, v40
	v_cmp_gt_i32_e32 vcc, s36, v2
	v_cmp_gt_i32_e64 s[10:11], s33, v1
	s_and_b64 s[44:45], vcc, s[10:11]
	v_mov_b32_e32 v1, 0x47
	s_and_saveexec_b64 s[74:75], s[44:45]
	s_cbranch_execz .LBB9_138
; %bb.137:                              ;   in Loop: Header=BB9_16 Depth=1
	ds_read2st64_b32 v[4:5], v87 offset1:11
	v_add_u32_e32 v1, 0, v86
	v_mad_u64_u32 v[2:3], s[44:45], v2, s37, v[40:41]
	v_add_u32_e32 v3, 0xa0, v1
	ds_read2st64_b32 v[6:7], v3 offset0:11 offset1:22
	ds_read2st64_b32 v[8:9], v87 offset0:22 offset1:33
	ds_read2_b32 v[46:47], v1 offset0:40 offset1:41
	ds_read_b32 v48, v1 offset:8608
	s_waitcnt lgkmcnt(4)
	v_cvt_f32_f16_sdwa v51, v4 dst_sel:DWORD dst_unused:UNUSED_PAD src0_sel:WORD_1
	v_cvt_f32_f16_e32 v50, v4
	v_cvt_f32_f16_sdwa v53, v5 dst_sel:DWORD dst_unused:UNUSED_PAD src0_sel:WORD_1
	v_cvt_f32_f16_e32 v52, v5
	s_waitcnt lgkmcnt(2)
	v_cvt_f32_f16_sdwa v5, v8 dst_sel:DWORD dst_unused:UNUSED_PAD src0_sel:WORD_1
	v_cvt_f32_f16_e32 v4, v8
	v_cvt_f32_f16_sdwa v55, v9 dst_sel:DWORD dst_unused:UNUSED_PAD src0_sel:WORD_1
	v_cvt_f32_f16_e32 v54, v9
	s_waitcnt lgkmcnt(1)
	v_pk_fma_f32 v[50:51], v[46:47], v[50:51], 0 op_sel_hi:[0,1,0]
	v_pk_fma_f32 v[8:9], v[6:7], v[52:53], v[50:51] op_sel_hi:[0,1,1]
	v_mov_b32_e32 v6, v7
	v_pk_fma_f32 v[4:5], v[6:7], v[4:5], v[8:9] op_sel_hi:[0,1,1]
	s_waitcnt lgkmcnt(0)
	v_pk_fma_f32 v[4:5], v[48:49], v[54:55], v[4:5] op_sel_hi:[0,1,1]
	v_div_scale_f32 v6, s[44:45], v47, v47, v5
	v_mad_u64_u32 v[2:3], s[44:45], v2, 40, v[26:27]
	v_rcp_f32_e32 v7, v6
	v_ashrrev_i32_e32 v3, 31, v2
	v_lshlrev_b64 v[2:3], 3, v[2:3]
	v_mov_b32_e32 v1, s84
	v_add_co_u32_e32 v2, vcc, s83, v2
	v_addc_co_u32_e32 v3, vcc, v1, v3, vcc
	v_fma_f32 v1, -v6, v7, 1.0
	v_fmac_f32_e32 v7, v1, v7
	v_div_scale_f32 v1, vcc, v5, v47, v5
	v_mul_f32_e32 v8, v1, v7
	v_fma_f32 v9, -v6, v8, v1
	v_fmac_f32_e32 v8, v9, v7
	v_fma_f32 v1, -v6, v8, v1
	v_div_scale_f32 v6, s[44:45], v47, v47, v4
	v_rcp_f32_e32 v9, v6
	v_div_fmas_f32 v1, v1, v7, v8
	v_div_fixup_f32 v5, v1, v47, v5
	v_fma_f32 v1, -v6, v9, 1.0
	v_fmac_f32_e32 v9, v1, v9
	v_div_scale_f32 v1, vcc, v4, v47, v4
	v_mul_f32_e32 v7, v1, v9
	v_fma_f32 v8, -v6, v7, v1
	v_fmac_f32_e32 v7, v8, v9
	v_fma_f32 v1, -v6, v7, v1
	v_div_fmas_f32 v1, v1, v9, v7
	v_div_fixup_f32 v4, v1, v47, v4
	v_mov_b32_e32 v1, 0
	global_store_dwordx2 v[2:3], v[4:5], off
.LBB9_138:                              ;   in Loop: Header=BB9_16 Depth=1
	s_or_b64 exec, exec, s[74:75]
	s_movk_i32 s42, 0x47
	v_cmp_gt_i32_e32 vcc, s42, v1
	s_mov_b64 s[76:77], -1
	s_and_saveexec_b64 s[74:75], vcc
; %bb.139:                              ;   in Loop: Header=BB9_16 Depth=1
	v_cmp_eq_u32_e32 vcc, 0, v1
	s_orn2_b64 s[76:77], vcc, exec
; %bb.140:                              ;   in Loop: Header=BB9_16 Depth=1
	s_or_b64 exec, exec, s[74:75]
	s_and_saveexec_b64 s[74:75], s[76:77]
	s_cbranch_execz .LBB9_173
; %bb.141:                              ;   in Loop: Header=BB9_16 Depth=1
	v_add_u32_e32 v2, s80, v88
	v_cmp_gt_i32_e32 vcc, s36, v2
	s_and_b64 s[44:45], vcc, s[10:11]
	v_mov_b32_e32 v1, 0x47
	s_and_saveexec_b64 s[76:77], s[44:45]
	s_cbranch_execz .LBB9_143
; %bb.142:                              ;   in Loop: Header=BB9_16 Depth=1
	ds_read2st64_b32 v[4:5], v90 offset1:11
	v_add_u32_e32 v1, 0, v89
	v_mad_u64_u32 v[2:3], s[44:45], v2, s37, v[40:41]
	v_add_u32_e32 v3, 0xa0, v1
	ds_read2st64_b32 v[6:7], v3 offset0:11 offset1:22
	ds_read2st64_b32 v[8:9], v90 offset0:22 offset1:33
	ds_read2_b32 v[46:47], v1 offset0:40 offset1:41
	ds_read_b32 v48, v1 offset:8608
	s_waitcnt lgkmcnt(4)
	v_cvt_f32_f16_sdwa v51, v4 dst_sel:DWORD dst_unused:UNUSED_PAD src0_sel:WORD_1
	v_cvt_f32_f16_e32 v50, v4
	v_cvt_f32_f16_sdwa v53, v5 dst_sel:DWORD dst_unused:UNUSED_PAD src0_sel:WORD_1
	v_cvt_f32_f16_e32 v52, v5
	s_waitcnt lgkmcnt(2)
	v_cvt_f32_f16_sdwa v5, v8 dst_sel:DWORD dst_unused:UNUSED_PAD src0_sel:WORD_1
	v_cvt_f32_f16_e32 v4, v8
	v_cvt_f32_f16_sdwa v55, v9 dst_sel:DWORD dst_unused:UNUSED_PAD src0_sel:WORD_1
	v_cvt_f32_f16_e32 v54, v9
	s_waitcnt lgkmcnt(1)
	v_pk_fma_f32 v[50:51], v[46:47], v[50:51], 0 op_sel_hi:[0,1,0]
	v_pk_fma_f32 v[8:9], v[6:7], v[52:53], v[50:51] op_sel_hi:[0,1,1]
	v_mov_b32_e32 v6, v7
	v_pk_fma_f32 v[4:5], v[6:7], v[4:5], v[8:9] op_sel_hi:[0,1,1]
	s_waitcnt lgkmcnt(0)
	v_pk_fma_f32 v[4:5], v[48:49], v[54:55], v[4:5] op_sel_hi:[0,1,1]
	v_div_scale_f32 v6, s[44:45], v47, v47, v5
	v_mad_u64_u32 v[2:3], s[44:45], v2, 40, v[26:27]
	v_rcp_f32_e32 v7, v6
	v_ashrrev_i32_e32 v3, 31, v2
	v_lshlrev_b64 v[2:3], 3, v[2:3]
	v_mov_b32_e32 v1, s84
	v_add_co_u32_e32 v2, vcc, s83, v2
	v_addc_co_u32_e32 v3, vcc, v1, v3, vcc
	v_fma_f32 v1, -v6, v7, 1.0
	v_fmac_f32_e32 v7, v1, v7
	v_div_scale_f32 v1, vcc, v5, v47, v5
	v_mul_f32_e32 v8, v1, v7
	v_fma_f32 v9, -v6, v8, v1
	v_fmac_f32_e32 v8, v9, v7
	v_fma_f32 v1, -v6, v8, v1
	v_div_scale_f32 v6, s[44:45], v47, v47, v4
	v_rcp_f32_e32 v9, v6
	v_div_fmas_f32 v1, v1, v7, v8
	v_div_fixup_f32 v5, v1, v47, v5
	v_fma_f32 v1, -v6, v9, 1.0
	v_fmac_f32_e32 v9, v1, v9
	v_div_scale_f32 v1, vcc, v4, v47, v4
	v_mul_f32_e32 v7, v1, v9
	v_fma_f32 v8, -v6, v7, v1
	v_fmac_f32_e32 v7, v8, v9
	v_fma_f32 v1, -v6, v7, v1
	v_div_fmas_f32 v1, v1, v9, v7
	v_div_fixup_f32 v4, v1, v47, v4
	v_mov_b32_e32 v1, 0
	global_store_dwordx2 v[2:3], v[4:5], off
.LBB9_143:                              ;   in Loop: Header=BB9_16 Depth=1
	s_or_b64 exec, exec, s[76:77]
	v_cmp_gt_i32_e32 vcc, s42, v1
	s_mov_b64 s[76:77], -1
	s_and_saveexec_b64 s[78:79], vcc
; %bb.144:                              ;   in Loop: Header=BB9_16 Depth=1
	v_cmp_eq_u32_e32 vcc, 0, v1
	s_orn2_b64 s[76:77], vcc, exec
; %bb.145:                              ;   in Loop: Header=BB9_16 Depth=1
	s_or_b64 exec, exec, s[78:79]
	s_and_b64 exec, exec, s[76:77]
	s_cbranch_execz .LBB9_173
; %bb.146:                              ;   in Loop: Header=BB9_16 Depth=1
	v_add_u32_e32 v2, s80, v91
	v_cmp_gt_i32_e32 vcc, s36, v2
	s_and_b64 s[44:45], vcc, s[10:11]
	v_mov_b32_e32 v1, 0x47
	s_and_saveexec_b64 s[76:77], s[44:45]
	s_cbranch_execz .LBB9_148
; %bb.147:                              ;   in Loop: Header=BB9_16 Depth=1
	ds_read2st64_b32 v[4:5], v93 offset1:11
	v_add_u32_e32 v1, 0, v92
	v_mad_u64_u32 v[2:3], s[44:45], v2, s37, v[40:41]
	v_add_u32_e32 v3, 0xa0, v1
	ds_read2st64_b32 v[6:7], v3 offset0:11 offset1:22
	ds_read2st64_b32 v[8:9], v93 offset0:22 offset1:33
	ds_read2_b32 v[46:47], v1 offset0:40 offset1:41
	ds_read_b32 v48, v1 offset:8608
	s_waitcnt lgkmcnt(4)
	v_cvt_f32_f16_sdwa v51, v4 dst_sel:DWORD dst_unused:UNUSED_PAD src0_sel:WORD_1
	v_cvt_f32_f16_e32 v50, v4
	v_cvt_f32_f16_sdwa v53, v5 dst_sel:DWORD dst_unused:UNUSED_PAD src0_sel:WORD_1
	v_cvt_f32_f16_e32 v52, v5
	s_waitcnt lgkmcnt(2)
	v_cvt_f32_f16_sdwa v5, v8 dst_sel:DWORD dst_unused:UNUSED_PAD src0_sel:WORD_1
	v_cvt_f32_f16_e32 v4, v8
	v_cvt_f32_f16_sdwa v55, v9 dst_sel:DWORD dst_unused:UNUSED_PAD src0_sel:WORD_1
	v_cvt_f32_f16_e32 v54, v9
	s_waitcnt lgkmcnt(1)
	v_pk_fma_f32 v[50:51], v[46:47], v[50:51], 0 op_sel_hi:[0,1,0]
	v_pk_fma_f32 v[8:9], v[6:7], v[52:53], v[50:51] op_sel_hi:[0,1,1]
	v_mov_b32_e32 v6, v7
	v_pk_fma_f32 v[4:5], v[6:7], v[4:5], v[8:9] op_sel_hi:[0,1,1]
	s_waitcnt lgkmcnt(0)
	v_pk_fma_f32 v[4:5], v[48:49], v[54:55], v[4:5] op_sel_hi:[0,1,1]
	v_div_scale_f32 v6, s[44:45], v47, v47, v5
	v_mad_u64_u32 v[2:3], s[44:45], v2, 40, v[26:27]
	v_rcp_f32_e32 v7, v6
	v_ashrrev_i32_e32 v3, 31, v2
	v_lshlrev_b64 v[2:3], 3, v[2:3]
	v_mov_b32_e32 v1, s84
	v_add_co_u32_e32 v2, vcc, s83, v2
	v_addc_co_u32_e32 v3, vcc, v1, v3, vcc
	v_fma_f32 v1, -v6, v7, 1.0
	v_fmac_f32_e32 v7, v1, v7
	v_div_scale_f32 v1, vcc, v5, v47, v5
	v_mul_f32_e32 v8, v1, v7
	v_fma_f32 v9, -v6, v8, v1
	v_fmac_f32_e32 v8, v9, v7
	v_fma_f32 v1, -v6, v8, v1
	v_div_scale_f32 v6, s[44:45], v47, v47, v4
	v_rcp_f32_e32 v9, v6
	v_div_fmas_f32 v1, v1, v7, v8
	v_div_fixup_f32 v5, v1, v47, v5
	v_fma_f32 v1, -v6, v9, 1.0
	v_fmac_f32_e32 v9, v1, v9
	v_div_scale_f32 v1, vcc, v4, v47, v4
	v_mul_f32_e32 v7, v1, v9
	v_fma_f32 v8, -v6, v7, v1
	v_fmac_f32_e32 v7, v8, v9
	v_fma_f32 v1, -v6, v7, v1
	v_div_fmas_f32 v1, v1, v9, v7
	v_div_fixup_f32 v4, v1, v47, v4
	v_mov_b32_e32 v1, 0
	global_store_dwordx2 v[2:3], v[4:5], off
.LBB9_148:                              ;   in Loop: Header=BB9_16 Depth=1
	s_or_b64 exec, exec, s[76:77]
	v_cmp_gt_i32_e32 vcc, s42, v1
	s_mov_b64 s[76:77], -1
	s_and_saveexec_b64 s[78:79], vcc
; %bb.149:                              ;   in Loop: Header=BB9_16 Depth=1
	v_cmp_eq_u32_e32 vcc, 0, v1
	s_orn2_b64 s[76:77], vcc, exec
; %bb.150:                              ;   in Loop: Header=BB9_16 Depth=1
	s_or_b64 exec, exec, s[78:79]
	s_and_b64 exec, exec, s[76:77]
	s_cbranch_execz .LBB9_173
; %bb.151:                              ;   in Loop: Header=BB9_16 Depth=1
	v_add_u32_e32 v2, s80, v94
	v_cmp_gt_i32_e32 vcc, s36, v2
	s_and_b64 s[44:45], vcc, s[10:11]
	v_mov_b32_e32 v1, 0x47
	s_and_saveexec_b64 s[76:77], s[44:45]
	s_cbranch_execz .LBB9_153
; %bb.152:                              ;   in Loop: Header=BB9_16 Depth=1
	ds_read2st64_b32 v[4:5], v96 offset1:11
	v_add_u32_e32 v1, 0, v95
	v_mad_u64_u32 v[2:3], s[44:45], v2, s37, v[40:41]
	v_add_u32_e32 v3, 0xa0, v1
	ds_read2st64_b32 v[6:7], v3 offset0:11 offset1:22
	ds_read2st64_b32 v[8:9], v96 offset0:22 offset1:33
	ds_read2_b32 v[46:47], v1 offset0:40 offset1:41
	ds_read_b32 v48, v1 offset:8608
	s_waitcnt lgkmcnt(4)
	v_cvt_f32_f16_sdwa v51, v4 dst_sel:DWORD dst_unused:UNUSED_PAD src0_sel:WORD_1
	v_cvt_f32_f16_e32 v50, v4
	v_cvt_f32_f16_sdwa v53, v5 dst_sel:DWORD dst_unused:UNUSED_PAD src0_sel:WORD_1
	v_cvt_f32_f16_e32 v52, v5
	s_waitcnt lgkmcnt(2)
	v_cvt_f32_f16_sdwa v5, v8 dst_sel:DWORD dst_unused:UNUSED_PAD src0_sel:WORD_1
	v_cvt_f32_f16_e32 v4, v8
	v_cvt_f32_f16_sdwa v55, v9 dst_sel:DWORD dst_unused:UNUSED_PAD src0_sel:WORD_1
	v_cvt_f32_f16_e32 v54, v9
	s_waitcnt lgkmcnt(1)
	v_pk_fma_f32 v[50:51], v[46:47], v[50:51], 0 op_sel_hi:[0,1,0]
	v_pk_fma_f32 v[8:9], v[6:7], v[52:53], v[50:51] op_sel_hi:[0,1,1]
	v_mov_b32_e32 v6, v7
	v_pk_fma_f32 v[4:5], v[6:7], v[4:5], v[8:9] op_sel_hi:[0,1,1]
	s_waitcnt lgkmcnt(0)
	v_pk_fma_f32 v[4:5], v[48:49], v[54:55], v[4:5] op_sel_hi:[0,1,1]
	v_div_scale_f32 v6, s[44:45], v47, v47, v5
	v_mad_u64_u32 v[2:3], s[44:45], v2, 40, v[26:27]
	v_rcp_f32_e32 v7, v6
	v_ashrrev_i32_e32 v3, 31, v2
	v_lshlrev_b64 v[2:3], 3, v[2:3]
	v_mov_b32_e32 v1, s84
	v_add_co_u32_e32 v2, vcc, s83, v2
	v_addc_co_u32_e32 v3, vcc, v1, v3, vcc
	v_fma_f32 v1, -v6, v7, 1.0
	v_fmac_f32_e32 v7, v1, v7
	v_div_scale_f32 v1, vcc, v5, v47, v5
	v_mul_f32_e32 v8, v1, v7
	v_fma_f32 v9, -v6, v8, v1
	v_fmac_f32_e32 v8, v9, v7
	v_fma_f32 v1, -v6, v8, v1
	v_div_scale_f32 v6, s[44:45], v47, v47, v4
	v_rcp_f32_e32 v9, v6
	v_div_fmas_f32 v1, v1, v7, v8
	v_div_fixup_f32 v5, v1, v47, v5
	v_fma_f32 v1, -v6, v9, 1.0
	v_fmac_f32_e32 v9, v1, v9
	v_div_scale_f32 v1, vcc, v4, v47, v4
	v_mul_f32_e32 v7, v1, v9
	v_fma_f32 v8, -v6, v7, v1
	v_fmac_f32_e32 v7, v8, v9
	v_fma_f32 v1, -v6, v7, v1
	v_div_fmas_f32 v1, v1, v9, v7
	v_div_fixup_f32 v4, v1, v47, v4
	v_mov_b32_e32 v1, 0
	global_store_dwordx2 v[2:3], v[4:5], off
.LBB9_153:                              ;   in Loop: Header=BB9_16 Depth=1
	s_or_b64 exec, exec, s[76:77]
	v_cmp_gt_i32_e32 vcc, s42, v1
	s_mov_b64 s[76:77], -1
	s_and_saveexec_b64 s[78:79], vcc
; %bb.154:                              ;   in Loop: Header=BB9_16 Depth=1
	v_cmp_eq_u32_e32 vcc, 0, v1
	s_orn2_b64 s[76:77], vcc, exec
; %bb.155:                              ;   in Loop: Header=BB9_16 Depth=1
	s_or_b64 exec, exec, s[78:79]
	s_and_b64 exec, exec, s[76:77]
	s_cbranch_execz .LBB9_173
; %bb.156:                              ;   in Loop: Header=BB9_16 Depth=1
	v_add_u32_e32 v2, s80, v97
	v_cmp_gt_i32_e32 vcc, s36, v2
	s_and_b64 s[44:45], vcc, s[10:11]
	v_mov_b32_e32 v1, 0x47
	s_and_saveexec_b64 s[76:77], s[44:45]
	s_cbranch_execz .LBB9_158
; %bb.157:                              ;   in Loop: Header=BB9_16 Depth=1
	ds_read2st64_b32 v[4:5], v99 offset1:11
	v_add_u32_e32 v1, 0, v98
	v_mad_u64_u32 v[2:3], s[44:45], v2, s37, v[40:41]
	v_add_u32_e32 v3, 0xa0, v1
	ds_read2st64_b32 v[6:7], v3 offset0:11 offset1:22
	ds_read2st64_b32 v[8:9], v99 offset0:22 offset1:33
	ds_read2_b32 v[46:47], v1 offset0:40 offset1:41
	ds_read_b32 v48, v1 offset:8608
	s_waitcnt lgkmcnt(4)
	v_cvt_f32_f16_sdwa v51, v4 dst_sel:DWORD dst_unused:UNUSED_PAD src0_sel:WORD_1
	v_cvt_f32_f16_e32 v50, v4
	v_cvt_f32_f16_sdwa v53, v5 dst_sel:DWORD dst_unused:UNUSED_PAD src0_sel:WORD_1
	v_cvt_f32_f16_e32 v52, v5
	s_waitcnt lgkmcnt(2)
	v_cvt_f32_f16_sdwa v5, v8 dst_sel:DWORD dst_unused:UNUSED_PAD src0_sel:WORD_1
	v_cvt_f32_f16_e32 v4, v8
	v_cvt_f32_f16_sdwa v55, v9 dst_sel:DWORD dst_unused:UNUSED_PAD src0_sel:WORD_1
	v_cvt_f32_f16_e32 v54, v9
	s_waitcnt lgkmcnt(1)
	v_pk_fma_f32 v[50:51], v[46:47], v[50:51], 0 op_sel_hi:[0,1,0]
	v_pk_fma_f32 v[8:9], v[6:7], v[52:53], v[50:51] op_sel_hi:[0,1,1]
	v_mov_b32_e32 v6, v7
	v_pk_fma_f32 v[4:5], v[6:7], v[4:5], v[8:9] op_sel_hi:[0,1,1]
	s_waitcnt lgkmcnt(0)
	v_pk_fma_f32 v[4:5], v[48:49], v[54:55], v[4:5] op_sel_hi:[0,1,1]
	v_div_scale_f32 v6, s[44:45], v47, v47, v5
	v_mad_u64_u32 v[2:3], s[44:45], v2, 40, v[26:27]
	v_rcp_f32_e32 v7, v6
	v_ashrrev_i32_e32 v3, 31, v2
	v_lshlrev_b64 v[2:3], 3, v[2:3]
	v_mov_b32_e32 v1, s84
	v_add_co_u32_e32 v2, vcc, s83, v2
	v_addc_co_u32_e32 v3, vcc, v1, v3, vcc
	v_fma_f32 v1, -v6, v7, 1.0
	v_fmac_f32_e32 v7, v1, v7
	v_div_scale_f32 v1, vcc, v5, v47, v5
	v_mul_f32_e32 v8, v1, v7
	v_fma_f32 v9, -v6, v8, v1
	v_fmac_f32_e32 v8, v9, v7
	v_fma_f32 v1, -v6, v8, v1
	v_div_scale_f32 v6, s[44:45], v47, v47, v4
	v_rcp_f32_e32 v9, v6
	v_div_fmas_f32 v1, v1, v7, v8
	v_div_fixup_f32 v5, v1, v47, v5
	v_fma_f32 v1, -v6, v9, 1.0
	v_fmac_f32_e32 v9, v1, v9
	v_div_scale_f32 v1, vcc, v4, v47, v4
	v_mul_f32_e32 v7, v1, v9
	v_fma_f32 v8, -v6, v7, v1
	v_fmac_f32_e32 v7, v8, v9
	v_fma_f32 v1, -v6, v7, v1
	v_div_fmas_f32 v1, v1, v9, v7
	v_div_fixup_f32 v4, v1, v47, v4
	v_mov_b32_e32 v1, 0
	global_store_dwordx2 v[2:3], v[4:5], off
.LBB9_158:                              ;   in Loop: Header=BB9_16 Depth=1
	s_or_b64 exec, exec, s[76:77]
	v_cmp_gt_i32_e32 vcc, s42, v1
	s_mov_b64 s[76:77], -1
	s_and_saveexec_b64 s[78:79], vcc
; %bb.159:                              ;   in Loop: Header=BB9_16 Depth=1
	v_cmp_eq_u32_e32 vcc, 0, v1
	s_orn2_b64 s[76:77], vcc, exec
; %bb.160:                              ;   in Loop: Header=BB9_16 Depth=1
	s_or_b64 exec, exec, s[78:79]
	s_and_b64 exec, exec, s[76:77]
	s_cbranch_execz .LBB9_173
; %bb.161:                              ;   in Loop: Header=BB9_16 Depth=1
	v_add_u32_e32 v2, s80, v100
	v_cmp_gt_i32_e32 vcc, s36, v2
	s_and_b64 s[44:45], vcc, s[10:11]
	v_mov_b32_e32 v1, 0x47
	s_and_saveexec_b64 s[76:77], s[44:45]
	s_cbranch_execz .LBB9_163
; %bb.162:                              ;   in Loop: Header=BB9_16 Depth=1
	ds_read2st64_b32 v[4:5], v102 offset1:11
	v_add_u32_e32 v1, 0, v101
	v_mad_u64_u32 v[2:3], s[44:45], v2, s37, v[40:41]
	v_add_u32_e32 v3, 0xa0, v1
	ds_read2st64_b32 v[6:7], v3 offset0:11 offset1:22
	ds_read2st64_b32 v[8:9], v102 offset0:22 offset1:33
	ds_read2_b32 v[46:47], v1 offset0:40 offset1:41
	ds_read_b32 v48, v1 offset:8608
	s_waitcnt lgkmcnt(4)
	v_cvt_f32_f16_sdwa v51, v4 dst_sel:DWORD dst_unused:UNUSED_PAD src0_sel:WORD_1
	v_cvt_f32_f16_e32 v50, v4
	v_cvt_f32_f16_sdwa v53, v5 dst_sel:DWORD dst_unused:UNUSED_PAD src0_sel:WORD_1
	v_cvt_f32_f16_e32 v52, v5
	s_waitcnt lgkmcnt(2)
	v_cvt_f32_f16_sdwa v5, v8 dst_sel:DWORD dst_unused:UNUSED_PAD src0_sel:WORD_1
	v_cvt_f32_f16_e32 v4, v8
	v_cvt_f32_f16_sdwa v55, v9 dst_sel:DWORD dst_unused:UNUSED_PAD src0_sel:WORD_1
	v_cvt_f32_f16_e32 v54, v9
	s_waitcnt lgkmcnt(1)
	v_pk_fma_f32 v[50:51], v[46:47], v[50:51], 0 op_sel_hi:[0,1,0]
	v_pk_fma_f32 v[8:9], v[6:7], v[52:53], v[50:51] op_sel_hi:[0,1,1]
	v_mov_b32_e32 v6, v7
	v_pk_fma_f32 v[4:5], v[6:7], v[4:5], v[8:9] op_sel_hi:[0,1,1]
	s_waitcnt lgkmcnt(0)
	v_pk_fma_f32 v[4:5], v[48:49], v[54:55], v[4:5] op_sel_hi:[0,1,1]
	v_div_scale_f32 v6, s[44:45], v47, v47, v5
	v_mad_u64_u32 v[2:3], s[44:45], v2, 40, v[26:27]
	v_rcp_f32_e32 v7, v6
	v_ashrrev_i32_e32 v3, 31, v2
	v_lshlrev_b64 v[2:3], 3, v[2:3]
	v_mov_b32_e32 v1, s84
	v_add_co_u32_e32 v2, vcc, s83, v2
	v_addc_co_u32_e32 v3, vcc, v1, v3, vcc
	v_fma_f32 v1, -v6, v7, 1.0
	v_fmac_f32_e32 v7, v1, v7
	v_div_scale_f32 v1, vcc, v5, v47, v5
	v_mul_f32_e32 v8, v1, v7
	v_fma_f32 v9, -v6, v8, v1
	v_fmac_f32_e32 v8, v9, v7
	v_fma_f32 v1, -v6, v8, v1
	v_div_scale_f32 v6, s[44:45], v47, v47, v4
	v_rcp_f32_e32 v9, v6
	v_div_fmas_f32 v1, v1, v7, v8
	v_div_fixup_f32 v5, v1, v47, v5
	v_fma_f32 v1, -v6, v9, 1.0
	v_fmac_f32_e32 v9, v1, v9
	v_div_scale_f32 v1, vcc, v4, v47, v4
	v_mul_f32_e32 v7, v1, v9
	v_fma_f32 v8, -v6, v7, v1
	v_fmac_f32_e32 v7, v8, v9
	v_fma_f32 v1, -v6, v7, v1
	v_div_fmas_f32 v1, v1, v9, v7
	v_div_fixup_f32 v4, v1, v47, v4
	v_mov_b32_e32 v1, 0
	global_store_dwordx2 v[2:3], v[4:5], off
.LBB9_163:                              ;   in Loop: Header=BB9_16 Depth=1
	s_or_b64 exec, exec, s[76:77]
	v_cmp_gt_i32_e32 vcc, s42, v1
	s_mov_b64 s[76:77], -1
	s_and_saveexec_b64 s[78:79], vcc
; %bb.164:                              ;   in Loop: Header=BB9_16 Depth=1
	v_cmp_eq_u32_e32 vcc, 0, v1
	s_orn2_b64 s[76:77], vcc, exec
; %bb.165:                              ;   in Loop: Header=BB9_16 Depth=1
	s_or_b64 exec, exec, s[78:79]
	s_and_b64 exec, exec, s[76:77]
	s_cbranch_execz .LBB9_173
; %bb.166:                              ;   in Loop: Header=BB9_16 Depth=1
	v_add_u32_e32 v2, s80, v103
	v_cmp_gt_i32_e32 vcc, s36, v2
	s_and_b64 s[44:45], vcc, s[10:11]
	v_mov_b32_e32 v1, 0x47
	s_and_saveexec_b64 s[76:77], s[44:45]
	s_cbranch_execz .LBB9_168
; %bb.167:                              ;   in Loop: Header=BB9_16 Depth=1
	ds_read2st64_b32 v[4:5], v105 offset1:11
	v_add_u32_e32 v1, 0, v104
	v_mad_u64_u32 v[2:3], s[44:45], v2, s37, v[40:41]
	v_add_u32_e32 v3, 0xa0, v1
	ds_read2st64_b32 v[6:7], v3 offset0:11 offset1:22
	ds_read2st64_b32 v[8:9], v105 offset0:22 offset1:33
	ds_read2_b32 v[46:47], v1 offset0:40 offset1:41
	ds_read_b32 v48, v1 offset:8608
	s_waitcnt lgkmcnt(4)
	v_cvt_f32_f16_sdwa v51, v4 dst_sel:DWORD dst_unused:UNUSED_PAD src0_sel:WORD_1
	v_cvt_f32_f16_e32 v50, v4
	v_cvt_f32_f16_sdwa v53, v5 dst_sel:DWORD dst_unused:UNUSED_PAD src0_sel:WORD_1
	v_cvt_f32_f16_e32 v52, v5
	s_waitcnt lgkmcnt(2)
	v_cvt_f32_f16_sdwa v5, v8 dst_sel:DWORD dst_unused:UNUSED_PAD src0_sel:WORD_1
	v_cvt_f32_f16_e32 v4, v8
	v_cvt_f32_f16_sdwa v55, v9 dst_sel:DWORD dst_unused:UNUSED_PAD src0_sel:WORD_1
	v_cvt_f32_f16_e32 v54, v9
	s_waitcnt lgkmcnt(1)
	v_pk_fma_f32 v[50:51], v[46:47], v[50:51], 0 op_sel_hi:[0,1,0]
	v_pk_fma_f32 v[8:9], v[6:7], v[52:53], v[50:51] op_sel_hi:[0,1,1]
	v_mov_b32_e32 v6, v7
	v_pk_fma_f32 v[4:5], v[6:7], v[4:5], v[8:9] op_sel_hi:[0,1,1]
	s_waitcnt lgkmcnt(0)
	v_pk_fma_f32 v[4:5], v[48:49], v[54:55], v[4:5] op_sel_hi:[0,1,1]
	v_div_scale_f32 v6, s[44:45], v47, v47, v5
	v_mad_u64_u32 v[2:3], s[44:45], v2, 40, v[26:27]
	v_rcp_f32_e32 v7, v6
	v_ashrrev_i32_e32 v3, 31, v2
	v_lshlrev_b64 v[2:3], 3, v[2:3]
	v_mov_b32_e32 v1, s84
	v_add_co_u32_e32 v2, vcc, s83, v2
	v_addc_co_u32_e32 v3, vcc, v1, v3, vcc
	v_fma_f32 v1, -v6, v7, 1.0
	v_fmac_f32_e32 v7, v1, v7
	v_div_scale_f32 v1, vcc, v5, v47, v5
	v_mul_f32_e32 v8, v1, v7
	v_fma_f32 v9, -v6, v8, v1
	v_fmac_f32_e32 v8, v9, v7
	v_fma_f32 v1, -v6, v8, v1
	v_div_scale_f32 v6, s[44:45], v47, v47, v4
	v_rcp_f32_e32 v9, v6
	v_div_fmas_f32 v1, v1, v7, v8
	v_div_fixup_f32 v5, v1, v47, v5
	v_fma_f32 v1, -v6, v9, 1.0
	v_fmac_f32_e32 v9, v1, v9
	v_div_scale_f32 v1, vcc, v4, v47, v4
	v_mul_f32_e32 v7, v1, v9
	v_fma_f32 v8, -v6, v7, v1
	v_fmac_f32_e32 v7, v8, v9
	v_fma_f32 v1, -v6, v7, v1
	v_div_fmas_f32 v1, v1, v9, v7
	v_div_fixup_f32 v4, v1, v47, v4
	v_mov_b32_e32 v1, 0
	global_store_dwordx2 v[2:3], v[4:5], off
.LBB9_168:                              ;   in Loop: Header=BB9_16 Depth=1
	s_or_b64 exec, exec, s[76:77]
	v_cmp_gt_i32_e32 vcc, s42, v1
	s_mov_b64 s[76:77], -1
	s_and_saveexec_b64 s[78:79], vcc
; %bb.169:                              ;   in Loop: Header=BB9_16 Depth=1
	v_cmp_eq_u32_e32 vcc, 0, v1
	s_orn2_b64 s[76:77], vcc, exec
; %bb.170:                              ;   in Loop: Header=BB9_16 Depth=1
	s_or_b64 exec, exec, s[78:79]
	s_and_b64 exec, exec, s[76:77]
	s_cbranch_execz .LBB9_173
; %bb.171:                              ;   in Loop: Header=BB9_16 Depth=1
	v_add_u32_e32 v1, s80, v106
	v_cmp_gt_i32_e32 vcc, s36, v1
	s_and_b64 s[10:11], vcc, s[10:11]
	s_and_b64 exec, exec, s[10:11]
	s_cbranch_execz .LBB9_173
; %bb.172:                              ;   in Loop: Header=BB9_16 Depth=1
	ds_read2st64_b32 v[4:5], v108 offset1:11
	v_add_u32_e32 v11, 0, v107
	v_mad_u64_u32 v[2:3], s[10:11], v1, s37, v[40:41]
	v_add_u32_e32 v1, 0xa0, v11
	ds_read2st64_b32 v[6:7], v1 offset0:11 offset1:22
	ds_read2st64_b32 v[8:9], v108 offset0:22 offset1:33
	ds_read2_b32 v[46:47], v11 offset0:40 offset1:41
	ds_read_b32 v48, v11 offset:8608
	s_waitcnt lgkmcnt(4)
	v_cvt_f32_f16_sdwa v51, v4 dst_sel:DWORD dst_unused:UNUSED_PAD src0_sel:WORD_1
	v_cvt_f32_f16_e32 v50, v4
	v_cvt_f32_f16_sdwa v53, v5 dst_sel:DWORD dst_unused:UNUSED_PAD src0_sel:WORD_1
	v_cvt_f32_f16_e32 v52, v5
	s_waitcnt lgkmcnt(2)
	v_cvt_f32_f16_sdwa v5, v8 dst_sel:DWORD dst_unused:UNUSED_PAD src0_sel:WORD_1
	v_cvt_f32_f16_e32 v4, v8
	v_cvt_f32_f16_sdwa v55, v9 dst_sel:DWORD dst_unused:UNUSED_PAD src0_sel:WORD_1
	v_cvt_f32_f16_e32 v54, v9
	s_waitcnt lgkmcnt(1)
	v_pk_fma_f32 v[50:51], v[46:47], v[50:51], 0 op_sel_hi:[0,1,0]
	v_pk_fma_f32 v[8:9], v[6:7], v[52:53], v[50:51] op_sel_hi:[0,1,1]
	v_mov_b32_e32 v6, v7
	v_pk_fma_f32 v[4:5], v[6:7], v[4:5], v[8:9] op_sel_hi:[0,1,1]
	s_waitcnt lgkmcnt(0)
	v_pk_fma_f32 v[4:5], v[48:49], v[54:55], v[4:5] op_sel_hi:[0,1,1]
	v_div_scale_f32 v6, s[10:11], v47, v47, v5
	v_mad_u64_u32 v[2:3], s[10:11], v2, 40, v[26:27]
	v_rcp_f32_e32 v7, v6
	v_ashrrev_i32_e32 v3, 31, v2
	v_lshlrev_b64 v[2:3], 3, v[2:3]
	v_mov_b32_e32 v1, s84
	v_add_co_u32_e32 v2, vcc, s83, v2
	v_addc_co_u32_e32 v3, vcc, v1, v3, vcc
	v_fma_f32 v1, -v6, v7, 1.0
	v_fmac_f32_e32 v7, v1, v7
	v_div_scale_f32 v1, vcc, v5, v47, v5
	v_mul_f32_e32 v8, v1, v7
	v_fma_f32 v9, -v6, v8, v1
	v_fmac_f32_e32 v8, v9, v7
	v_fma_f32 v1, -v6, v8, v1
	v_div_scale_f32 v6, s[10:11], v47, v47, v4
	v_rcp_f32_e32 v9, v6
	v_div_fmas_f32 v1, v1, v7, v8
	v_div_fixup_f32 v5, v1, v47, v5
	v_fma_f32 v1, -v6, v9, 1.0
	v_fmac_f32_e32 v9, v1, v9
	v_div_scale_f32 v1, vcc, v4, v47, v4
	v_mul_f32_e32 v7, v1, v9
	v_fma_f32 v8, -v6, v7, v1
	v_fmac_f32_e32 v7, v8, v9
	v_fma_f32 v1, -v6, v7, v1
	v_div_fmas_f32 v1, v1, v9, v7
	v_div_fixup_f32 v4, v1, v47, v4
	global_store_dwordx2 v[2:3], v[4:5], off
.LBB9_173:                              ;   in Loop: Header=BB9_16 Depth=1
	s_or_b64 exec, exec, s[74:75]
	v_or_b32_e32 v1, s85, v36
	v_add_u32_e32 v2, s80, v109
	v_cmp_gt_i32_e64 s[10:11], s33, v1
	v_cmp_gt_i32_e32 vcc, s36, v2
	s_and_b64 s[44:45], vcc, s[10:11]
	v_mov_b32_e32 v1, 0x47
	s_and_saveexec_b64 s[74:75], s[44:45]
	s_cbranch_execz .LBB9_175
; %bb.174:                              ;   in Loop: Header=BB9_16 Depth=1
	v_mad_u64_u32 v[2:3], s[44:45], v2, s37, v[36:37]
	v_add_u32_e32 v6, 0x80, v111
	v_mul_lo_u32 v11, v2, 40
	ds_read2st64_b32 v[2:3], v6 offset1:11
	v_add_u32_e32 v1, 0, v110
	v_add_u32_e32 v4, 0xa0, v1
	ds_read2st64_b32 v[4:5], v4 offset0:11 offset1:22
	ds_read2st64_b32 v[6:7], v6 offset0:22 offset1:33
	ds_read2_b32 v[8:9], v1 offset0:40 offset1:41
	ds_read_b32 v46, v1 offset:8608
	v_ashrrev_i32_e32 v1, 31, v11
	s_waitcnt lgkmcnt(4)
	v_cvt_f32_f16_sdwa v51, v2 dst_sel:DWORD dst_unused:UNUSED_PAD src0_sel:WORD_1
	v_cvt_f32_f16_e32 v50, v2
	v_cvt_f32_f16_sdwa v53, v3 dst_sel:DWORD dst_unused:UNUSED_PAD src0_sel:WORD_1
	v_cvt_f32_f16_e32 v52, v3
	s_waitcnt lgkmcnt(2)
	v_cvt_f32_f16_sdwa v3, v6 dst_sel:DWORD dst_unused:UNUSED_PAD src0_sel:WORD_1
	v_cvt_f32_f16_e32 v2, v6
	v_cvt_f32_f16_sdwa v55, v7 dst_sel:DWORD dst_unused:UNUSED_PAD src0_sel:WORD_1
	v_cvt_f32_f16_e32 v54, v7
	s_waitcnt lgkmcnt(1)
	v_pk_fma_f32 v[50:51], v[8:9], v[50:51], 0 op_sel_hi:[0,1,0]
	v_pk_fma_f32 v[6:7], v[4:5], v[52:53], v[50:51] op_sel_hi:[0,1,1]
	v_mov_b32_e32 v4, v5
	v_pk_fma_f32 v[2:3], v[4:5], v[2:3], v[6:7] op_sel_hi:[0,1,1]
	s_waitcnt lgkmcnt(0)
	v_pk_fma_f32 v[2:3], v[46:47], v[54:55], v[2:3] op_sel_hi:[0,1,1]
	v_div_scale_f32 v6, s[44:45], v9, v9, v3
	v_rcp_f32_e32 v7, v6
	v_or_b32_e32 v49, 0, v1
	v_or_b32_e32 v48, v11, v24
	v_lshlrev_b64 v[48:49], 3, v[48:49]
	v_mov_b32_e32 v1, s84
	v_add_co_u32_e32 v4, vcc, s83, v48
	v_addc_co_u32_e32 v5, vcc, v1, v49, vcc
	v_fma_f32 v1, -v6, v7, 1.0
	v_fmac_f32_e32 v7, v1, v7
	v_div_scale_f32 v1, vcc, v3, v9, v3
	v_mul_f32_e32 v8, v1, v7
	v_fma_f32 v11, -v6, v8, v1
	v_fmac_f32_e32 v8, v11, v7
	v_fma_f32 v1, -v6, v8, v1
	v_div_scale_f32 v6, s[44:45], v9, v9, v2
	v_rcp_f32_e32 v11, v6
	v_div_fmas_f32 v1, v1, v7, v8
	v_div_fixup_f32 v3, v1, v9, v3
	v_fma_f32 v1, -v6, v11, 1.0
	v_fmac_f32_e32 v11, v1, v11
	v_div_scale_f32 v1, vcc, v2, v9, v2
	v_mul_f32_e32 v7, v1, v11
	v_fma_f32 v8, -v6, v7, v1
	v_fmac_f32_e32 v7, v8, v11
	v_fma_f32 v1, -v6, v7, v1
	v_div_fmas_f32 v1, v1, v11, v7
	v_div_fixup_f32 v2, v1, v9, v2
	v_mov_b32_e32 v1, 0
	global_store_dwordx2 v[4:5], v[2:3], off offset:256
.LBB9_175:                              ;   in Loop: Header=BB9_16 Depth=1
	s_or_b64 exec, exec, s[74:75]
	v_cmp_gt_i32_e32 vcc, s42, v1
	s_mov_b64 s[74:75], -1
	s_and_saveexec_b64 s[76:77], vcc
; %bb.176:                              ;   in Loop: Header=BB9_16 Depth=1
	v_cmp_eq_u32_e32 vcc, 0, v1
	s_orn2_b64 s[74:75], vcc, exec
; %bb.177:                              ;   in Loop: Header=BB9_16 Depth=1
	s_or_b64 exec, exec, s[76:77]
	s_and_b64 exec, exec, s[74:75]
	s_cbranch_execz .LBB9_14
; %bb.178:                              ;   in Loop: Header=BB9_16 Depth=1
	v_add_u32_e32 v1, s80, v112
	v_cmp_gt_i32_e32 vcc, s36, v1
	s_and_b64 s[10:11], vcc, s[10:11]
	s_and_b64 exec, exec, s[10:11]
	s_cbranch_execz .LBB9_14
; %bb.179:                              ;   in Loop: Header=BB9_16 Depth=1
	v_mad_u64_u32 v[2:3], s[10:11], v1, s37, v[36:37]
	v_add_u32_e32 v6, 0x80, v114
	v_mul_lo_u32 v1, v2, 40
	ds_read2st64_b32 v[2:3], v6 offset1:11
	v_add_u32_e32 v11, 0, v113
	v_add_u32_e32 v4, 0xa0, v11
	ds_read2st64_b32 v[4:5], v4 offset0:11 offset1:22
	ds_read2st64_b32 v[6:7], v6 offset0:22 offset1:33
	ds_read2_b32 v[8:9], v11 offset0:40 offset1:41
	ds_read_b32 v46, v11 offset:8608
	v_ashrrev_i32_e32 v11, 31, v1
	s_waitcnt lgkmcnt(4)
	v_cvt_f32_f16_sdwa v51, v2 dst_sel:DWORD dst_unused:UNUSED_PAD src0_sel:WORD_1
	v_cvt_f32_f16_e32 v50, v2
	v_cvt_f32_f16_sdwa v53, v3 dst_sel:DWORD dst_unused:UNUSED_PAD src0_sel:WORD_1
	v_cvt_f32_f16_e32 v52, v3
	s_waitcnt lgkmcnt(2)
	v_cvt_f32_f16_sdwa v3, v6 dst_sel:DWORD dst_unused:UNUSED_PAD src0_sel:WORD_1
	v_cvt_f32_f16_e32 v2, v6
	v_cvt_f32_f16_sdwa v55, v7 dst_sel:DWORD dst_unused:UNUSED_PAD src0_sel:WORD_1
	v_cvt_f32_f16_e32 v54, v7
	s_waitcnt lgkmcnt(1)
	v_pk_fma_f32 v[50:51], v[8:9], v[50:51], 0 op_sel_hi:[0,1,0]
	v_pk_fma_f32 v[6:7], v[4:5], v[52:53], v[50:51] op_sel_hi:[0,1,1]
	v_mov_b32_e32 v4, v5
	v_pk_fma_f32 v[2:3], v[4:5], v[2:3], v[6:7] op_sel_hi:[0,1,1]
	s_waitcnt lgkmcnt(0)
	v_pk_fma_f32 v[2:3], v[46:47], v[54:55], v[2:3] op_sel_hi:[0,1,1]
	v_div_scale_f32 v6, s[10:11], v9, v9, v3
	v_rcp_f32_e32 v7, v6
	v_or_b32_e32 v49, 0, v11
	v_or_b32_e32 v48, v1, v24
	v_lshlrev_b64 v[48:49], 3, v[48:49]
	v_mov_b32_e32 v1, s84
	v_add_co_u32_e32 v4, vcc, s83, v48
	v_addc_co_u32_e32 v5, vcc, v1, v49, vcc
	v_fma_f32 v1, -v6, v7, 1.0
	v_fmac_f32_e32 v7, v1, v7
	v_div_scale_f32 v1, vcc, v3, v9, v3
	v_mul_f32_e32 v8, v1, v7
	v_fma_f32 v11, -v6, v8, v1
	v_fmac_f32_e32 v8, v11, v7
	v_fma_f32 v1, -v6, v8, v1
	v_div_scale_f32 v6, s[10:11], v9, v9, v2
	v_rcp_f32_e32 v11, v6
	v_div_fmas_f32 v1, v1, v7, v8
	v_div_fixup_f32 v3, v1, v9, v3
	v_fma_f32 v1, -v6, v11, 1.0
	v_fmac_f32_e32 v11, v1, v11
	v_div_scale_f32 v1, vcc, v2, v9, v2
	v_mul_f32_e32 v7, v1, v11
	v_fma_f32 v8, -v6, v7, v1
	v_fmac_f32_e32 v7, v8, v11
	v_fma_f32 v1, -v6, v7, v1
	v_div_fmas_f32 v1, v1, v11, v7
	v_div_fixup_f32 v2, v1, v9, v2
	global_store_dwordx2 v[4:5], v[2:3], off offset:256
	s_branch .LBB9_14
.LBB9_180:
	v_readlane_b32 s44, v167, 16
	v_readlane_b32 s35, v167, 11
	;; [unrolled: 1-line block ×5, first 2 shown]
	s_andn2_b64 vcc, exec, s[10:11]
	s_cbranch_vccnz .LBB9_12
.LBB9_181:
	v_readlane_b32 s6, v167, 3
	s_abs_i32 s0, s6
	v_cvt_f32_u32_e32 v1, s0
	s_sub_i32 s3, 0, s0
	s_abs_i32 s2, s54
	s_xor_b32 s1, s54, s6
	v_rcp_iflag_f32_e32 v1, v1
	s_ashr_i32 s1, s1, 31
	v_readlane_b32 s8, v167, 2
	v_readlane_b32 s9, v167, 1
	v_mul_f32_e32 v1, 0x4f7ffffe, v1
	v_cvt_u32_f32_e32 v1, v1
	v_mov_b32_e32 v9, s82
	v_readfirstlane_b32 s4, v1
	s_mul_i32 s3, s3, s4
	s_mul_hi_u32 s3, s4, s3
	s_add_i32 s4, s4, s3
	s_mul_hi_u32 s3, s2, s4
	s_mul_i32 s4, s3, s0
	s_sub_i32 s2, s2, s4
	s_add_i32 s5, s3, 1
	s_sub_i32 s4, s2, s0
	s_cmp_ge_u32 s2, s0
	s_cselect_b32 s3, s5, s3
	s_cselect_b32 s2, s4, s2
	s_add_i32 s4, s3, 1
	s_cmp_ge_u32 s2, s0
	s_cselect_b32 s0, s4, s3
	s_abs_i32 s2, s8
	v_cvt_f32_u32_e32 v1, s2
	s_xor_b32 s0, s0, s1
	s_sub_i32 s4, s0, s1
	s_sub_i32 s3, 0, s2
	v_rcp_iflag_f32_e32 v1, v1
	s_mul_i32 s0, s4, s6
	s_sub_i32 s0, s54, s0
	s_abs_i32 s5, s0
	v_mul_f32_e32 v1, 0x4f7ffffe, v1
	v_cvt_u32_f32_e32 v1, v1
	s_xor_b32 s1, s0, s8
	s_ashr_i32 s1, s1, 31
	v_readfirstlane_b32 s6, v1
	s_mul_i32 s3, s3, s6
	s_mul_hi_u32 s3, s6, s3
	s_add_i32 s6, s6, s3
	s_mul_hi_u32 s3, s5, s6
	s_mul_i32 s6, s3, s2
	s_sub_i32 s5, s5, s6
	s_add_i32 s7, s3, 1
	s_sub_i32 s6, s5, s2
	s_cmp_ge_u32 s5, s2
	s_cselect_b32 s3, s7, s3
	s_cselect_b32 s5, s6, s5
	s_add_i32 s6, s3, 1
	s_cmp_ge_u32 s5, s2
	s_cselect_b32 s2, s6, s3
	s_abs_i32 s3, s9
	v_cvt_f32_u32_e32 v1, s3
	s_xor_b32 s2, s2, s1
	s_sub_i32 s6, 0, s3
	s_sub_i32 s5, s2, s1
	v_rcp_iflag_f32_e32 v1, v1
	s_mul_i32 s1, s5, s8
	s_sub_i32 s1, s0, s1
	s_abs_i32 s2, s1
	v_mul_f32_e32 v1, 0x4f7ffffe, v1
	v_cvt_u32_f32_e32 v1, v1
	s_xor_b32 s0, s1, s9
	s_ashr_i32 s0, s0, 31
	v_readfirstlane_b32 s7, v1
	s_mul_i32 s6, s6, s7
	s_mul_hi_u32 s6, s7, s6
	s_add_i32 s7, s7, s6
	s_mul_hi_u32 s6, s2, s7
	s_mul_i32 s7, s6, s3
	s_sub_i32 s2, s2, s7
	s_add_i32 s8, s6, 1
	s_sub_i32 s7, s2, s3
	s_cmp_ge_u32 s2, s3
	s_cselect_b32 s6, s8, s6
	s_cselect_b32 s2, s7, s2
	s_add_i32 s7, s6, 1
	s_cmp_ge_u32 s2, s3
	s_cselect_b32 s2, s7, s6
	s_xor_b32 s2, s2, s0
	s_sub_i32 s0, s2, s0
	s_mul_i32 s2, s0, s9
	s_sub_i32 s1, s1, s2
	s_ashr_i32 s2, s1, 31
	v_readlane_b32 s3, v167, 10
	s_abs_i32 s1, s1
	s_xor_b32 s2, s2, s3
	s_mul_hi_u32 s3, s1, s52
	s_mul_i32 s6, s3, s87
	s_sub_i32 s1, s1, s6
	s_add_i32 s6, s3, 1
	s_sub_i32 s7, s1, s87
	s_cmp_ge_u32 s1, s87
	s_cselect_b32 s3, s6, s3
	s_cselect_b32 s1, s7, s1
	s_add_i32 s6, s3, 1
	s_cmp_ge_u32 s1, s87
	s_cselect_b32 s1, s6, s3
	s_abs_i32 s6, s12
	v_cvt_f32_u32_e32 v1, s6
	s_xor_b32 s1, s1, s2
	s_sub_i32 s12, 0, s6
	s_sub_i32 s1, s1, s2
	v_rcp_iflag_f32_e32 v1, v1
	s_cmp_eq_u64 s[26:27], 0
	v_mul_f32_e32 v1, 0x4f7ffffe, v1
	v_cvt_u32_f32_e32 v1, v1
	v_readfirstlane_b32 s11, v1
	s_cbranch_scc1 .LBB9_183
; %bb.182:
	v_readlane_b32 s2, v167, 0
	s_mul_i32 s2, s4, s2
	s_add_i32 s2, s1, s2
	s_ashr_i32 s3, s2, 31
	s_lshl_b64 s[2:3], s[2:3], 2
	s_add_u32 s2, s26, s2
	s_addc_u32 s3, s27, s3
	v_mov_b32_e32 v1, 0
	global_load_dword v1, v1, s[2:3]
	s_waitcnt vmcnt(0)
	v_ashrrev_i32_e32 v2, 31, v1
	v_lshrrev_b32_e32 v2, 26, v2
	v_add_u32_e32 v1, v1, v2
	v_ashrrev_i32_e32 v1, 6, v1
	v_min_i32_e32 v9, s82, v1
.LBB9_183:
	v_readlane_b32 s8, v167, 4
	s_mul_i32 s2, s5, s33
	s_lshl_b32 s10, s0, 1
	v_readlane_b32 s9, v167, 5
	s_add_i32 s0, s10, s2
	s_mul_i32 s2, s4, s9
	s_ashr_i32 s3, s2, 31
	s_add_u32 s2, s16, s2
	s_mul_i32 s0, s0, s8
	v_and_b32_e32 v21, 0x3ff, v0
	s_addc_u32 s3, s17, s3
	s_ashr_i32 s8, s0, 31
	v_bfe_u32 v0, v21, 5, 1
	s_add_u32 s7, s2, s0
	v_and_b32_e32 v20, 31, v21
	v_or_b32_e32 v1, s10, v0
	s_addc_u32 s9, s3, s8
	v_lshrrev_b32_e32 v43, 5, v21
	v_cmp_gt_i32_e32 vcc, s33, v1
	v_mad_u64_u32 v[0:1], s[2:3], s45, v0, v[20:21]
	v_add_u16_e32 v1, v43, v45
	s_lshl_b32 s8, s1, 3
	v_lshrrev_b16_e32 v1, 1, v1
	v_add_u32_e32 v1, s8, v1
	s_xor_b64 s[0:1], vcc, -1
	v_cmp_le_i32_e32 vcc, s36, v1
	s_mul_i32 s12, s12, s11
	v_add_u32_e32 v8, v43, v45
	s_or_b64 s[2:3], vcc, s[0:1]
	s_and_saveexec_b64 s[16:17], s[2:3]
	s_xor_b64 s[2:3], exec, s[16:17]
	s_cbranch_execz .LBB9_185
; %bb.184:
	v_mad_u32_u24 v1, v8, 44, v20
	v_lshl_add_u32 v1, v1, 2, 0
	v_mov_b32_e32 v2, 0
	ds_write_b32 v1, v2
                                        ; implicit-def: $vgpr1
.LBB9_185:
	s_or_saveexec_b64 s[2:3], s[2:3]
	s_mul_hi_u32 s13, s11, s12
	s_xor_b64 exec, exec, s[2:3]
	s_cbranch_execz .LBB9_187
; %bb.186:
	v_mad_u64_u32 v[2:3], s[16:17], v1, s55, v[0:1]
	v_ashrrev_i32_e32 v3, 31, v2
	v_lshlrev_b64 v[2:3], 3, v[2:3]
	v_mov_b32_e32 v1, s9
	v_add_co_u32_e32 v2, vcc, s7, v2
	v_addc_co_u32_e32 v3, vcc, v1, v3, vcc
	global_load_dwordx2 v[2:3], v[2:3], off
	s_waitcnt vmcnt(0)
	v_cvt_f16_f32_e32 v1, v2
	v_cvt_f16_f32_e32 v2, v3
	v_mad_u32_u24 v3, v8, 44, v20
	v_pack_b32_f16 v1, v1, v2
	v_pk_mul_f16 v1, v19, v1
	v_lshl_add_u32 v2, v3, 2, 0
	ds_write_b32 v2, v1
.LBB9_187:
	s_or_b64 exec, exec, s[2:3]
	v_add_u32_e32 v1, 8, v8
	v_lshrrev_b32_e32 v2, 1, v1
	v_add_u32_e32 v2, s8, v2
	v_cmp_le_i32_e32 vcc, s36, v2
	s_abs_i32 s12, s4
	s_add_i32 s11, s11, s13
	s_or_b64 s[0:1], vcc, s[0:1]
	s_and_saveexec_b64 s[2:3], s[0:1]
	s_xor_b64 s[0:1], exec, s[2:3]
	s_cbranch_execz .LBB9_189
; %bb.188:
	v_mad_u32_u24 v0, v1, 44, v20
	v_lshl_add_u32 v0, v0, 2, 0
	v_mov_b32_e32 v1, 0
	ds_write_b32 v0, v1
                                        ; implicit-def: $vgpr0_vgpr1
                                        ; implicit-def: $vgpr2
                                        ; implicit-def: $vgpr1
.LBB9_189:
	s_or_saveexec_b64 s[0:1], s[0:1]
	s_mul_hi_u32 s13, s12, s11
	s_xor_b64 exec, exec, s[0:1]
	s_cbranch_execz .LBB9_191
; %bb.190:
	v_mad_u64_u32 v[2:3], s[2:3], v2, s55, v[0:1]
	v_ashrrev_i32_e32 v3, 31, v2
	v_lshlrev_b64 v[2:3], 3, v[2:3]
	v_mov_b32_e32 v0, s9
	v_add_co_u32_e32 v2, vcc, s7, v2
	v_addc_co_u32_e32 v3, vcc, v0, v3, vcc
	global_load_dwordx2 v[2:3], v[2:3], off
	v_mad_u32_u24 v1, v1, 44, v20
	v_lshl_add_u32 v1, v1, 2, 0
	s_waitcnt vmcnt(0)
	v_cvt_f16_f32_e32 v0, v2
	v_cvt_f16_f32_e32 v2, v3
	v_pack_b32_f16 v0, v0, v2
	v_pk_mul_f16 v0, v19, v0
	ds_write_b32 v1, v0
.LBB9_191:
	s_or_b64 exec, exec, s[0:1]
	v_lshrrev_b32_e32 v42, 3, v21
	v_lshl_add_u32 v50, v61, 3, v42
	s_ashr_i32 s15, s4, 31
	v_cmp_gt_u32_e32 vcc, 16, v50
	s_and_saveexec_b64 s[2:3], vcc
	s_cbranch_execz .LBB9_196
; %bb.192:
	v_lshrrev_b32_e32 v1, 1, v50
	v_and_b32_e32 v0, 1, v42
	v_or_b32_e32 v1, s8, v1
	v_or_b32_e32 v2, s10, v0
	v_cmp_le_i32_e32 vcc, s36, v1
	v_cmp_le_i32_e64 s[0:1], s33, v2
	s_or_b64 s[0:1], vcc, s[0:1]
	s_and_saveexec_b64 s[10:11], s[0:1]
	s_xor_b64 s[0:1], exec, s[10:11]
	s_cbranch_execz .LBB9_194
; %bb.193:
	v_and_b32_e32 v0, 7, v21
	v_mad_u32_u24 v0, v50, 44, v0
	v_lshl_add_u32 v0, v0, 2, 0
	v_mov_b32_e32 v1, 0
	ds_write_b32 v0, v1 offset:128
                                        ; implicit-def: $vgpr1
                                        ; implicit-def: $vgpr0
                                        ; implicit-def: $vgpr19
.LBB9_194:
	s_andn2_saveexec_b64 s[0:1], s[0:1]
	s_cbranch_execz .LBB9_196
; %bb.195:
	v_mul_lo_u32 v3, v1, s55
	v_and_b32_e32 v2, 7, v21
	v_mad_u64_u32 v[0:1], s[0:1], s45, v0, v[2:3]
	v_add3_u32 v0, v0, v3, 32
	v_ashrrev_i32_e32 v1, 31, v0
	v_lshlrev_b64 v[0:1], 3, v[0:1]
	v_mov_b32_e32 v3, s9
	v_add_co_u32_e32 v0, vcc, s7, v0
	v_addc_co_u32_e32 v1, vcc, v3, v1, vcc
	global_load_dwordx2 v[0:1], v[0:1], off
	v_mad_u32_u24 v2, v50, 44, v2
	s_waitcnt vmcnt(0)
	v_cvt_f16_f32_e32 v0, v0
	v_cvt_f16_f32_e32 v1, v1
	v_pack_b32_f16 v0, v0, v1
	v_pk_mul_f16 v0, v19, v0
	v_lshl_add_u32 v1, v2, 2, 0
	ds_write_b32 v1, v0 offset:128
.LBB9_196:
	s_or_b64 exec, exec, s[2:3]
	s_mul_i32 s0, s4, s41
	s_mul_hi_u32 s1, s4, s40
	s_add_i32 s0, s1, s0
	s_mul_i32 s1, s15, s40
	v_readlane_b32 s2, v167, 8
	s_add_i32 s0, s0, s1
	s_mul_i32 s1, s4, s40
	v_readlane_b32 s3, v167, 9
	s_add_u32 s1, s18, s1
	s_mul_i32 s2, s5, s3
	s_addc_u32 s0, s19, s0
	s_ashr_i32 s3, s2, 31
	s_add_u32 s10, s1, s2
	s_mul_i32 s13, s13, s6
	s_addc_u32 s11, s0, s3
	s_sub_i32 s0, s12, s13
	s_sub_i32 s1, s0, s6
	s_cmp_ge_u32 s0, s6
	s_cselect_b32 s0, s1, s0
	s_sub_i32 s1, s0, s6
	s_cmp_ge_u32 s0, s6
	s_cselect_b32 s0, s1, s0
	s_xor_b32 s0, s0, s15
	s_sub_i32 s0, s0, s15
	s_ashr_i32 s1, s0, 31
	s_mul_i32 s2, s0, s51
	s_mul_hi_u32 s3, s0, s50
	s_add_i32 s2, s3, s2
	s_mul_i32 s1, s1, s50
	s_add_i32 s2, s2, s1
	s_mul_i32 s0, s0, s50
	s_add_u32 s12, s22, s0
	s_mul_i32 s0, s4, s47
	s_mul_hi_u32 s1, s4, s46
	s_addc_u32 s13, s23, s2
	s_add_i32 s0, s1, s0
	s_mul_i32 s15, s15, s46
	s_add_i32 s0, s0, s15
	s_mul_i32 s4, s4, s46
	s_add_u32 s1, s20, s4
	s_mul_i32 s5, s5, s43
	s_addc_u32 s0, s21, s0
	s_ashr_i32 s2, s5, 31
	s_add_u32 s6, s1, s5
	s_addc_u32 s7, s0, s2
	v_and_b32_e32 v13, 0xff0, v68
	s_movk_i32 s0, 0xb0
	v_and_b32_e32 v44, 15, v21
	v_and_b32_e32 v46, 0x7e, v42
	v_mad_u32_u24 v0, v13, s0, 0
	v_mul_u32_u24_e32 v58, 0xb0, v44
	v_lshlrev_b32_e32 v59, 2, v46
	v_add3_u32 v10, v0, v58, v59
	s_waitcnt lgkmcnt(0)
	s_barrier
	ds_read2_b64 v[4:7], v10 offset1:4
	ds_read2_b64 v[0:3], v10 offset0:8 offset1:12
	ds_read_b64 v[10:11], v10 offset:128
	v_add_u32_e32 v66, -1, v9
	v_add_u32_e32 v9, s8, v8
	v_readlane_b32 s0, v167, 6
	v_mul_hi_u32 v12, s0, v9
	v_readlane_b32 s1, v167, 7
	v_add_u32_e32 v12, v9, v12
	v_lshrrev_b32_e32 v12, s1, v12
	v_cmp_lt_i32_e32 vcc, s76, v66
	v_mul_lo_u32 v12, v12, s36
	s_mov_b32 s4, 0
	v_sub_u32_e32 v15, v9, v12
	s_waitcnt lgkmcnt(0)
	s_barrier
	s_cbranch_vccnz .LBB9_198
; %bb.197:
	v_lshlrev_b32_e32 v9, 1, v21
	v_and_b32_e32 v18, 62, v9
	v_mad_i64_i32 v[22:23], s[0:1], v15, s38, 0
	v_lshrrev_b32_e32 v9, 1, v21
	v_mov_b32_e32 v19, 0
	s_ashr_i32 s3, s34, 31
	v_lshl_add_u32 v57, v61, 5, v9
	s_mov_b64 s[0:1], 0
	s_mov_b32 s8, 0xfeffffff
	s_mov_b32 s5, 0
	s_branch .LBB9_199
.LBB9_198:
	s_mov_b64 s[0:1], -1
                                        ; implicit-def: $sgpr5
                                        ; implicit-def: $sgpr4
                                        ; implicit-def: $sgpr8
                                        ; implicit-def: $vgpr18
                                        ; implicit-def: $vgpr22_vgpr23
                                        ; implicit-def: $vgpr57
                                        ; implicit-def: $sgpr2_sgpr3
.LBB9_199:
	v_mul_u32_u24_e32 v67, 0x90, v8
	v_mul_lo_u32 v16, s34, v50
	v_mul_lo_u32 v8, s14, v50
	s_andn2_b64 vcc, exec, s[0:1]
	v_mov_b32_e32 v48, s5
	v_mov_b32_e32 v38, s4
	;; [unrolled: 1-line block ×3, first 2 shown]
	v_ashrrev_i32_e32 v17, 31, v16
	v_add_u32_e32 v49, 32, v50
	v_lshl_add_u32 v14, s34, 5, v16
	v_lshrrev_b32_e32 v47, 2, v21
	v_and_or_b32 v65, v21, 14, v13
	v_ashrrev_i32_e32 v9, 31, v8
	v_lshlrev_b32_e32 v13, 1, v44
	v_mov_b32_e32 v53, s5
	v_mov_b32_e32 v54, s5
	;; [unrolled: 1-line block ×9, first 2 shown]
	s_cbranch_vccnz .LBB9_207
; %bb.200:
	v_mad_i64_i32 v[22:23], s[0:1], v15, s38, 0
	v_lshlrev_b32_e32 v12, 1, v21
	v_lshlrev_b64 v[26:27], 1, v[22:23]
	v_and_b32_e32 v18, 62, v12
	v_mov_b32_e32 v15, s13
	v_add_co_u32_e32 v24, vcc, s12, v26
	v_lshlrev_b32_e32 v12, 1, v18
	v_addc_co_u32_e32 v15, vcc, v15, v27, vcc
	v_add3_u32 v70, 0, v67, v12
	v_add_co_u32_e32 v71, vcc, v24, v12
	v_lshrrev_b32_e32 v12, 1, v21
	v_lshlrev_b32_e32 v28, 2, v21
	v_lshl_add_u32 v57, v61, 5, v12
	s_movk_i32 s2, 0xb0
	v_and_b32_e32 v24, 4, v28
	v_addc_co_u32_e32 v72, vcc, 0, v15, vcc
	v_mad_u32_u24 v12, v57, s2, 0
	v_lshlrev_b32_e32 v15, 2, v24
	s_movk_i32 s4, 0x80
	v_add3_u32 v73, v12, v15, s4
	v_and_b32_e32 v12, 48, v63
	v_and_b32_e32 v31, 0xfc, v47
	v_mad_u32_u24 v30, v12, s2, 0
	v_add_u16_e32 v12, v12, v31
	v_lshrrev_b32_e32 v32, 1, v65
	v_lshrrev_b16_e32 v12, 1, v12
	v_mul_u32_u24_e32 v32, 0x90, v32
	v_lshlrev_b32_e32 v12, 2, v12
	v_add3_u32 v34, 0, v32, v12
	v_mbcnt_hi_u32_b32 v12, -1, v69
	v_and_b32_e32 v32, 64, v12
	v_add_u32_e32 v32, 64, v32
	v_xor_b32_e32 v33, 32, v12
	v_cmp_lt_i32_e32 vcc, v33, v32
	v_cndmask_b32_e32 v33, v12, v33, vcc
	v_lshlrev_b32_e32 v75, 2, v33
	v_xor_b32_e32 v33, 16, v12
	v_cmp_lt_i32_e32 vcc, v33, v32
	v_cndmask_b32_e32 v12, v12, v33, vcc
	v_lshlrev_b32_e32 v76, 2, v12
	v_or_b32_e32 v12, 3, v47
	v_mul_u32_u24_e32 v12, 0xb0, v12
	v_add3_u32 v79, v30, v12, v13
	v_and_b32_e32 v12, 28, v28
	v_mul_lo_u32 v26, s34, v57
	v_mul_u32_u24_e32 v29, 0xb0, v50
	v_mul_lo_u32 v32, s14, v57
	v_mul_u32_u24_e32 v35, 0x58, v31
	v_mul_u32_u24_e32 v31, 0xb0, v31
	v_mul_lo_u32 v36, s14, v49
	v_lshlrev_b32_e32 v28, 2, v12
	v_mov_b32_e32 v19, 0
	v_ashrrev_i32_e32 v27, 31, v26
	v_ashrrev_i32_e32 v15, 31, v14
	;; [unrolled: 1-line block ×3, first 2 shown]
	v_or_b32_e32 v35, v35, v44
	v_ashrrev_i32_e32 v37, 31, v36
	v_add3_u32 v78, v30, v31, v13
	v_add3_u32 v84, 0, v29, v28
	s_ashr_i32 s3, s34, 31
	v_cmp_gt_u32_e64 s[0:1], 64, v57
	v_add3_u32 v74, v30, v58, v59
	v_lshl_add_u32 v77, v35, 1, v30
	v_add_u32_e32 v80, 32, v78
	v_add_u32_e32 v81, 64, v78
	;; [unrolled: 1-line block ×5, first 2 shown]
	s_lshl_b32 s4, s76, 6
	v_mov_b32_e32 v89, 0xfeffffff
	v_lshlrev_b64 v[26:27], 2, v[26:27]
	v_lshlrev_b64 v[28:29], 2, v[16:17]
	v_lshlrev_b32_e32 v86, 2, v12
	v_lshlrev_b64 v[30:31], 2, v[14:15]
	v_add_u32_e32 v15, 0x2c00, v34
	v_lshlrev_b64 v[32:33], 2, v[32:33]
	s_mov_b32 s2, 0x3fb8aa3b
	s_mov_b32 s15, 0xc2ce8ed0
	;; [unrolled: 1-line block ×4, first 2 shown]
	v_lshlrev_b64 v[34:35], 2, v[8:9]
	v_lshlrev_b64 v[36:37], 2, v[36:37]
	s_mov_b32 s18, 0x5040100
	v_mov_b32_e32 v87, 0x7f800000
	v_mov_b32_e32 v88, v19
	v_mov_b32_e32 v64, v19
	v_mov_b32_e32 v56, v19
	v_mov_b32_e32 v62, v19
	v_mov_b32_e32 v60, v19
	v_mov_b32_e32 v52, v19
	v_mov_b32_e32 v51, v19
	v_mov_b32_e32 v55, v19
	v_mov_b32_e32 v54, v19
	v_mov_b32_e32 v53, v19
	v_mov_b32_e32 v48, v19
.LBB9_201:                              ; =>This Inner Loop Header: Depth=1
	s_ashr_i32 s5, s4, 31
	s_lshl_b64 s[8:9], s[4:5], 1
	v_mov_b32_e32 v12, s9
	v_add_co_u32_e32 v38, vcc, s8, v71
	v_addc_co_u32_e32 v39, vcc, v72, v12, vcc
	global_load_dword v12, v[38:39], off
	s_mul_hi_i32 s9, s4, s34
	s_mul_i32 s8, s4, s34
	s_lshl_b64 s[8:9], s[8:9], 2
	s_add_u32 s5, s10, s8
	s_addc_u32 s19, s11, s9
	s_waitcnt vmcnt(0)
	ds_write_b32 v70, v12 offset:11264
	s_and_saveexec_b64 s[8:9], s[0:1]
	s_cbranch_execz .LBB9_203
; %bb.202:                              ;   in Loop: Header=BB9_201 Depth=1
	v_mov_b32_e32 v12, s19
	v_add_co_u32_e32 v38, vcc, s5, v26
	v_addc_co_u32_e32 v12, vcc, v12, v27, vcc
	v_lshlrev_b32_e32 v39, 2, v24
	v_add_co_u32_e32 v38, vcc, v38, v39
	v_addc_co_u32_e32 v39, vcc, 0, v12, vcc
	global_load_dwordx4 v[38:41], v[38:39], off offset:128
	s_waitcnt vmcnt(0)
	ds_write_b128 v73, v[38:41]
.LBB9_203:                              ;   in Loop: Header=BB9_201 Depth=1
	s_or_b64 exec, exec, s[8:9]
	v_mov_b32_e32 v12, s19
	v_add_co_u32_e32 v38, vcc, s5, v28
	v_addc_co_u32_e32 v12, vcc, v12, v29, vcc
	v_add_co_u32_e32 v94, vcc, v38, v86
	v_addc_co_u32_e32 v95, vcc, 0, v12, vcc
	v_mov_b32_e32 v12, s19
	v_add_co_u32_e32 v38, vcc, s5, v30
	v_addc_co_u32_e32 v12, vcc, v12, v31, vcc
	v_add_co_u32_e32 v96, vcc, v38, v86
	v_addc_co_u32_e32 v97, vcc, 0, v12, vcc
	global_load_dwordx4 v[38:41], v[94:95], off
	global_load_dwordx4 v[90:93], v[96:97], off
	s_mul_hi_i32 s9, s4, s14
	s_mul_i32 s8, s4, s14
	s_lshl_b64 s[8:9], s[8:9], 2
	s_add_u32 s5, s6, s8
	s_addc_u32 s19, s7, s9
	s_waitcnt vmcnt(1)
	ds_write_b128 v84, v[38:41]
	s_waitcnt vmcnt(0)
	ds_write_b128 v85, v[90:93]
	s_waitcnt lgkmcnt(0)
	s_barrier
	ds_read2_b64 v[38:41], v74 offset1:4
	s_waitcnt lgkmcnt(0)
	v_mfma_f32_16x16x16f16 v[90:93], v[38:39], v[4:5], 0
	v_mfma_f32_16x16x16f16 v[38:41], v[40:41], v[6:7], v[90:93]
	s_nop 7
	s_nop 1
	ds_read2_b64 v[90:93], v74 offset0:8 offset1:12
	s_waitcnt lgkmcnt(0)
	v_mfma_f32_16x16x16f16 v[38:41], v[90:91], v[0:1], v[38:41]
	ds_read_b64 v[90:91], v74 offset:128
	s_waitcnt lgkmcnt(0)
	s_barrier
	v_mfma_f32_16x16x16f16 v[38:41], v[92:93], v[2:3], v[38:41]
	ds_read2_b32 v[92:93], v15 offset1:1
	s_waitcnt lgkmcnt(0)
	v_cvt_f32_f16_e32 v94, v93
	v_cvt_f32_f16_sdwa v95, v93 dst_sel:DWORD dst_unused:UNUSED_PAD src0_sel:WORD_1
	v_cvt_f32_f16_e32 v96, v92
	v_cvt_f32_f16_sdwa v97, v92 dst_sel:DWORD dst_unused:UNUSED_PAD src0_sel:WORD_1
	v_mfma_f32_16x16x16f16 v[90:93], v[90:91], v[10:11], v[38:41]
	s_nop 7
	s_nop 2
	v_pk_add_f32 v[40:41], v[90:91], v[96:97]
	v_pk_add_f32 v[38:39], v[92:93], v[94:95]
	v_add_f32_e32 v91, 0x40051340, v40
	v_add_f32_e32 v92, 0x40051340, v41
	;; [unrolled: 1-line block ×4, first 2 shown]
	v_max3_f32 v91, v89, v91, v92
	v_max3_f32 v12, v91, v12, v90
	ds_bpermute_b32 v90, v75, v12
	s_waitcnt lgkmcnt(0)
	v_max_f32_e32 v90, v90, v90
	v_max_f32_e32 v12, v12, v90
	ds_bpermute_b32 v90, v76, v12
	s_and_saveexec_b64 s[8:9], s[0:1]
	s_cbranch_execz .LBB9_205
; %bb.204:                              ;   in Loop: Header=BB9_201 Depth=1
	v_mov_b32_e32 v91, s19
	v_add_co_u32_e32 v92, vcc, s5, v32
	v_addc_co_u32_e32 v91, vcc, v91, v33, vcc
	v_lshlrev_b32_e32 v93, 2, v24
	v_add_co_u32_e32 v92, vcc, v92, v93
	v_addc_co_u32_e32 v93, vcc, 0, v91, vcc
	global_load_dwordx4 v[92:95], v[92:93], off offset:128
	s_waitcnt vmcnt(0)
	ds_write_b128 v73, v[92:95]
.LBB9_205:                              ;   in Loop: Header=BB9_201 Depth=1
	s_or_b64 exec, exec, s[8:9]
	s_waitcnt lgkmcnt(0)
	v_max_f32_e32 v90, v90, v90
	v_max_f32_e32 v12, v12, v12
	;; [unrolled: 1-line block ×3, first 2 shown]
	v_pk_add_f32 v[40:41], v[40:41], v[12:13] op_sel_hi:[1,0] neg_lo:[0,1] neg_hi:[0,1]
	v_mul_f32_e32 v90, 0x3fb8aa3b, v41
	v_fma_f32 v91, v41, s2, -v90
	v_rndne_f32_e32 v92, v90
	v_fmac_f32_e32 v91, 0x32a5705f, v41
	v_sub_f32_e32 v90, v90, v92
	v_add_f32_e32 v90, v90, v91
	v_exp_f32_e32 v102, v90
	v_mov_b32_e32 v90, s19
	v_add_co_u32_e32 v91, vcc, s5, v34
	v_addc_co_u32_e32 v90, vcc, v90, v35, vcc
	v_add_co_u32_e32 v98, vcc, v91, v86
	v_addc_co_u32_e32 v99, vcc, 0, v90, vcc
	v_mov_b32_e32 v90, s19
	v_add_co_u32_e32 v91, vcc, s5, v36
	v_addc_co_u32_e32 v90, vcc, v90, v37, vcc
	v_add_co_u32_e32 v100, vcc, v91, v86
	v_cvt_i32_f32_e32 v103, v92
	v_addc_co_u32_e32 v101, vcc, 0, v90, vcc
	global_load_dwordx4 v[90:93], v[98:99], off
	global_load_dwordx4 v[94:97], v[100:101], off
	v_mul_f32_e32 v99, 0x3fb8aa3b, v40
	v_fma_f32 v100, v40, s2, -v99
	v_rndne_f32_e32 v101, v99
	v_fmac_f32_e32 v100, 0x32a5705f, v40
	v_sub_f32_e32 v99, v99, v101
	v_add_f32_e32 v99, v99, v100
	v_exp_f32_e32 v99, v99
	v_cvt_i32_f32_e32 v100, v101
	v_ldexp_f32 v98, v102, v103
	v_cmp_ngt_f32_e32 vcc, s15, v41
	v_cndmask_b32_e32 v98, 0, v98, vcc
	v_cmp_nlt_f32_e32 vcc, s16, v41
	v_pk_add_f32 v[38:39], v[38:39], v[12:13] op_sel_hi:[1,0] neg_lo:[0,1] neg_hi:[0,1]
	v_cndmask_b32_e32 v41, v87, v98, vcc
	v_ldexp_f32 v98, v99, v100
	v_mul_f32_e32 v99, 0x3fb8aa3b, v39
	v_fma_f32 v100, v39, s2, -v99
	v_rndne_f32_e32 v101, v99
	v_fmac_f32_e32 v100, 0x32a5705f, v39
	v_sub_f32_e32 v99, v99, v101
	v_add_f32_e32 v99, v99, v100
	v_exp_f32_e32 v99, v99
	v_cvt_i32_f32_e32 v100, v101
	v_cmp_ngt_f32_e32 vcc, s15, v40
	v_cndmask_b32_e32 v98, 0, v98, vcc
	v_cmp_nlt_f32_e32 vcc, s16, v40
	v_cndmask_b32_e32 v40, v87, v98, vcc
	v_ldexp_f32 v98, v99, v100
	v_mul_f32_e32 v99, 0x3fb8aa3b, v38
	v_fma_f32 v100, v38, s2, -v99
	v_rndne_f32_e32 v101, v99
	v_fmac_f32_e32 v100, 0x32a5705f, v38
	v_sub_f32_e32 v99, v99, v101
	v_add_f32_e32 v99, v99, v100
	v_exp_f32_e32 v99, v99
	v_cvt_i32_f32_e32 v100, v101
	v_cmp_ngt_f32_e32 vcc, s15, v39
	v_cndmask_b32_e32 v98, 0, v98, vcc
	v_cmp_nlt_f32_e32 vcc, s16, v39
	v_sub_f32_e32 v89, v89, v12
	v_cndmask_b32_e32 v39, v87, v98, vcc
	v_ldexp_f32 v98, v99, v100
	v_mul_f32_e32 v99, 0x3fb8aa3b, v89
	v_fma_f32 v100, v89, s2, -v99
	v_rndne_f32_e32 v101, v99
	v_fmac_f32_e32 v100, 0x32a5705f, v89
	v_sub_f32_e32 v99, v99, v101
	v_add_f32_e32 v99, v99, v100
	v_exp_f32_e32 v99, v99
	v_cvt_i32_f32_e32 v100, v101
	v_cmp_ngt_f32_e32 vcc, s15, v38
	v_cndmask_b32_e32 v98, 0, v98, vcc
	v_cmp_nlt_f32_e32 vcc, s16, v38
	v_cndmask_b32_e32 v98, v87, v98, vcc
	v_ldexp_f32 v99, v99, v100
	v_cmp_ngt_f32_e32 vcc, s15, v89
	v_cndmask_b32_e32 v99, 0, v99, vcc
	v_cmp_nlt_f32_e32 vcc, s16, v89
	v_cndmask_b32_e32 v99, v87, v99, vcc
	v_cmp_le_f32_e32 vcc, s17, v89
	v_cndmask_b32_e32 v89, 0, v99, vcc
	v_cvt_f16_f32_e32 v99, v89
	v_add_f32_e32 v38, v40, v41
	v_add_f32_e32 v38, v98, v38
	;; [unrolled: 1-line block ×3, first 2 shown]
	v_fmac_f32_e32 v38, v88, v89
	v_pk_mul_f16 v100, v99, v55 op_sel_hi:[0,1]
	v_cvt_f16_f32_e32 v88, v41
	v_cvt_f16_f32_e32 v103, v40
	s_waitcnt vmcnt(1)
	ds_write_b128 v84, v[90:93]
	s_waitcnt vmcnt(0)
	ds_write_b128 v85, v[94:97]
	s_waitcnt lgkmcnt(0)
	s_barrier
	ds_read_u16 v40, v78 offset:176
	ds_read_u16 v41, v78 offset:352
	ds_read_u16 v55, v79
	v_pk_mul_f16 v62, v99, v62 op_sel_hi:[0,1]
	v_pk_mul_f16 v89, v99, v52 op_sel_hi:[0,1]
	;; [unrolled: 1-line block ×3, first 2 shown]
	v_cvt_f32_f16_e32 v52, v62
	v_cvt_f32_f16_sdwa v53, v62 dst_sel:DWORD dst_unused:UNUSED_PAD src0_sel:WORD_1
	s_waitcnt lgkmcnt(0)
	v_perm_b32 v41, v55, v41, s18
	ds_read_u16 v55, v77
	ds_read_u16 v62, v77 offset:32
	ds_read_u16 v91, v77 offset:64
	;; [unrolled: 1-line block ×4, first 2 shown]
	v_pk_mul_f16 v60, v99, v60 op_sel_hi:[0,1]
	v_cvt_f16_f32_e32 v39, v39
	v_cvt_f16_f32_e32 v90, v98
	s_waitcnt lgkmcnt(4)
	v_perm_b32 v40, v40, v55, s18
	v_pk_mul_f16 v101, v99, v54 op_sel_hi:[0,1]
	v_cvt_f32_f16_e32 v54, v60
	v_cvt_f32_f16_sdwa v55, v60 dst_sel:DWORD dst_unused:UNUSED_PAD src0_sel:WORD_1
	v_pack_b32_f16 v96, v103, v88
	v_pack_b32_f16 v97, v90, v39
	ds_read_u16 v39, v79 offset:32
	v_pk_mul_f16 v64, v99, v64 op_sel_hi:[0,1]
	v_mfma_f32_16x16x16f16 v[52:55], v[40:41], v[96:97], v[52:55]
	v_pk_mul_f16 v56, v99, v56 op_sel_hi:[0,1]
	v_pk_mul_f16 v51, v99, v51 op_sel_hi:[0,1]
	s_add_i32 s76, s76, 1
	v_cmp_lt_i32_e32 vcc, s76, v66
	s_and_b64 vcc, exec, vcc
	s_add_i32 s4, s4, 64
	s_nop 4
	v_cvt_f16_f32_e32 v60, v52
	v_cvt_f16_f32_e32 v88, v53
	v_cvt_f32_f16_e32 v52, v64
	v_cvt_f32_f16_sdwa v53, v64 dst_sel:DWORD dst_unused:UNUSED_PAD src0_sel:WORD_1
	ds_read_u16 v40, v80 offset:176
	ds_read_u16 v41, v80 offset:352
	;; [unrolled: 1-line block ×7, first 2 shown]
	s_waitcnt lgkmcnt(5)
	v_perm_b32 v41, v39, v41, s18
	v_perm_b32 v40, v40, v62, s18
	v_cvt_f16_f32_e32 v90, v54
	v_cvt_f16_f32_e32 v93, v55
	v_cvt_f32_f16_e32 v54, v56
	v_cvt_f32_f16_sdwa v55, v56 dst_sel:DWORD dst_unused:UNUSED_PAD src0_sel:WORD_1
	v_pk_mul_f16 v39, v99, v48 op_sel_hi:[0,1]
	v_pack_b32_f16 v62, v60, v88
	v_mfma_f32_16x16x16f16 v[52:55], v[40:41], v[96:97], v[52:55]
	s_waitcnt lgkmcnt(2)
	v_perm_b32 v41, v98, v94, s18
	v_perm_b32 v40, v64, v91, s18
	v_pack_b32_f16 v60, v90, v93
	v_cvt_f32_f16_e32 v88, v89
	v_cvt_f32_f16_sdwa v89, v89 dst_sel:DWORD dst_unused:UNUSED_PAD src0_sel:WORD_1
	v_cvt_f32_f16_e32 v90, v51
	v_cvt_f32_f16_sdwa v91, v51 dst_sel:DWORD dst_unused:UNUSED_PAD src0_sel:WORD_1
	s_nop 2
	v_cvt_f16_f32_e32 v48, v52
	v_cvt_f16_f32_e32 v52, v53
	;; [unrolled: 1-line block ×4, first 2 shown]
	v_cvt_f32_f16_sdwa v93, v102 dst_sel:DWORD dst_unused:UNUSED_PAD src0_sel:WORD_1
	v_pack_b32_f16 v64, v48, v52
	v_mfma_f32_16x16x16f16 v[52:55], v[40:41], v[96:97], v[88:91]
	ds_read_u16 v40, v82 offset:176
	ds_read_u16 v41, v82 offset:352
	v_cvt_f32_f16_e32 v94, v39
	v_pack_b32_f16 v56, v51, v56
	s_waitcnt lgkmcnt(1)
	v_perm_b32 v40, v40, v92, s18
	s_waitcnt lgkmcnt(0)
	v_perm_b32 v41, v103, v41, s18
	v_cvt_f32_f16_e32 v88, v100
	v_cvt_f32_f16_sdwa v89, v100 dst_sel:DWORD dst_unused:UNUSED_PAD src0_sel:WORD_1
	v_cvt_f32_f16_e32 v90, v101
	v_cvt_f32_f16_sdwa v91, v101 dst_sel:DWORD dst_unused:UNUSED_PAD src0_sel:WORD_1
	v_cvt_f16_f32_e32 v48, v52
	v_cvt_f16_f32_e32 v52, v53
	v_cvt_f16_f32_e32 v53, v54
	v_cvt_f16_f32_e32 v54, v55
	ds_read_u16 v55, v83 offset:176
	ds_read_u16 v98, v83 offset:352
	v_mfma_f32_16x16x16f16 v[88:91], v[40:41], v[96:97], v[88:91]
	v_cvt_f32_f16_e32 v92, v102
	v_pack_b32_f16 v52, v48, v52
	s_waitcnt lgkmcnt(1)
	v_perm_b32 v40, v55, v95, s18
	s_waitcnt lgkmcnt(0)
	v_perm_b32 v41, v104, v98, s18
	v_cvt_f32_f16_sdwa v95, v39 dst_sel:DWORD dst_unused:UNUSED_PAD src0_sel:WORD_1
	v_pack_b32_f16 v51, v53, v54
	s_nop 2
	v_cvt_f16_f32_e32 v48, v88
	v_cvt_f16_f32_e32 v39, v89
	;; [unrolled: 1-line block ×4, first 2 shown]
	v_mfma_f32_16x16x16f16 v[88:91], v[40:41], v[96:97], v[92:95]
	v_pack_b32_f16 v55, v48, v39
	s_barrier
	v_pack_b32_f16 v54, v53, v54
	s_nop 7
	v_cvt_f16_f32_e32 v40, v88
	v_cvt_f16_f32_e32 v41, v89
	;; [unrolled: 1-line block ×4, first 2 shown]
	v_pack_b32_f16 v53, v40, v41
	v_pack_b32_f16 v48, v88, v89
	s_cbranch_vccz .LBB9_207
; %bb.206:                              ;   in Loop: Header=BB9_201 Depth=1
	v_mov_b32_e32 v88, v38
	v_mov_b32_e32 v89, v12
	s_branch .LBB9_201
.LBB9_207:
	s_lshl_b32 s4, s76, 6
	s_ashr_i32 s5, s4, 31
	s_lshl_b64 s[0:1], s[4:5], 1
	s_add_u32 s0, s12, s0
	s_addc_u32 s1, s13, s1
	v_lshlrev_b64 v[22:23], 1, v[22:23]
	v_mov_b32_e32 v15, s1
	v_add_co_u32_e32 v24, vcc, s0, v22
	v_addc_co_u32_e32 v15, vcc, v15, v23, vcc
	v_lshlrev_b64 v[22:23], 1, v[18:19]
	v_add_co_u32_e32 v22, vcc, v24, v22
	v_addc_co_u32_e32 v23, vcc, v15, v23, vcc
	global_load_dword v15, v[22:23], off
	s_mul_hi_u32 s1, s34, s4
	s_mul_i32 s2, s3, s4
	s_mul_i32 s3, s34, s5
	s_add_i32 s1, s1, s3
	s_mul_i32 s0, s34, s4
	s_add_i32 s1, s1, s2
	s_lshl_b64 s[0:1], s[0:1], 2
	v_lshlrev_b32_e32 v18, 1, v18
	s_add_u32 s5, s10, s0
	v_add3_u32 v18, 0, v67, v18
	s_addc_u32 s8, s11, s1
	v_cmp_gt_u32_e32 vcc, 64, v57
                                        ; implicit-def: $vgpr22
	s_waitcnt vmcnt(0)
	ds_write_b32 v18, v15 offset:11264
                                        ; implicit-def: $vgpr15
                                        ; implicit-def: $vgpr18
	s_and_saveexec_b64 s[0:1], vcc
	s_xor_b64 s[2:3], exec, s[0:1]
	s_cbranch_execz .LBB9_209
; %bb.208:
	v_mul_lo_u32 v18, v57, s34
	v_ashrrev_i32_e32 v19, 31, v18
	v_lshlrev_b64 v[18:19], 2, v[18:19]
	v_mov_b32_e32 v15, s8
	v_add_co_u32_e64 v18, s[0:1], s5, v18
	v_addc_co_u32_e64 v19, s[0:1], v15, v19, s[0:1]
	v_lshlrev_b32_e32 v15, 2, v21
	v_and_b32_e32 v23, 4, v15
	v_lshlrev_b32_e32 v24, 2, v23
	v_add_co_u32_e64 v18, s[0:1], v18, v24
	v_addc_co_u32_e64 v19, s[0:1], 0, v19, s[0:1]
	global_load_dwordx4 v[26:29], v[18:19], off offset:128
	v_mul_i32_i24_e32 v22, 0xb0, v57
	v_or_b32_e32 v18, 32, v23
	v_add3_u32 v23, 0, v22, v24
	v_mov_b32_e32 v19, 0
	s_waitcnt vmcnt(0)
	ds_write_b128 v23, v[26:29] offset:128
.LBB9_209:
	s_andn2_saveexec_b64 s[0:1], s[2:3]
; %bb.210:
	v_lshlrev_b32_e32 v15, 2, v21
	v_mul_i32_i24_e32 v22, 0xb0, v57
	v_and_or_b32 v18, v15, 4, 32
	v_mov_b32_e32 v19, 0
; %bb.211:
	s_or_b64 exec, exec, s[0:1]
	v_and_b32_e32 v15, 28, v15
	v_lshlrev_b64 v[16:17], 2, v[16:17]
	v_lshlrev_b32_e32 v24, 2, v15
	v_mov_b32_e32 v15, s8
	v_add_co_u32_e64 v16, s[0:1], s5, v16
	v_addc_co_u32_e64 v15, s[0:1], v15, v17, s[0:1]
	v_add_co_u32_e64 v16, s[0:1], v16, v24
	v_addc_co_u32_e64 v17, s[0:1], 0, v15, s[0:1]
	v_ashrrev_i32_e32 v15, 31, v14
	v_lshlrev_b64 v[14:15], 2, v[14:15]
	v_mov_b32_e32 v23, s8
	v_add_co_u32_e64 v14, s[0:1], s5, v14
	v_addc_co_u32_e64 v15, s[0:1], v23, v15, s[0:1]
	v_add_co_u32_e64 v14, s[0:1], v14, v24
	v_addc_co_u32_e64 v15, s[0:1], 0, v15, s[0:1]
	global_load_dwordx4 v[26:29], v[16:17], off
	global_load_dwordx4 v[30:33], v[14:15], off
	s_movk_i32 s0, 0xb0
	v_and_b32_e32 v16, 48, v63
	v_mul_u32_u24_e32 v15, 0xb0, v50
	v_mad_u32_u24 v14, v16, s0, 0
	v_add3_u32 v15, 0, v15, v24
	v_add3_u32 v17, v14, v58, v59
	s_movk_i32 s0, 0x90
	s_movk_i32 s1, 0x2c00
	v_mbcnt_hi_u32_b32 v39, -1, v69
	v_and_b32_e32 v23, 64, v39
	s_waitcnt vmcnt(1)
	ds_write_b128 v15, v[26:29]
	s_waitcnt vmcnt(0)
	ds_write_b128 v15, v[30:33] offset:5632
	s_waitcnt lgkmcnt(0)
	s_barrier
	ds_read2_b64 v[26:29], v17 offset1:4
	s_waitcnt lgkmcnt(0)
	v_mfma_f32_16x16x16f16 v[30:33], v[26:27], v[4:5], 0
	ds_read2_b64 v[34:37], v17 offset0:8 offset1:12
	v_and_b32_e32 v4, 0xfc, v47
	v_lshrrev_b32_e32 v5, 1, v65
	v_mad_u32_u24 v5, v5, s0, 0
	v_mfma_f32_16x16x16f16 v[26:29], v[28:29], v[6:7], v[30:33]
	v_add_u16_e32 v6, v16, v4
	v_lshrrev_b16_e32 v6, 1, v6
	s_waitcnt lgkmcnt(0)
	v_mfma_f32_16x16x16f16 v[26:29], v[34:35], v[0:1], v[26:29]
	v_lshlrev_b32_e32 v0, 2, v6
	v_add3_u32 v0, v5, v0, s1
	ds_read_b64 v[6:7], v17 offset:128
	s_waitcnt lgkmcnt(0)
	s_barrier
	ds_read2_b32 v[16:17], v0 offset1:1
	v_mfma_f32_16x16x16f16 v[0:3], v[36:37], v[2:3], v[26:29]
	v_xor_b32_e32 v5, 32, v39
	v_add_u32_e32 v35, 64, v23
	v_cmp_lt_i32_e64 s[0:1], v5, v35
	s_waitcnt lgkmcnt(0)
	v_cvt_f32_f16_e32 v32, v16
	v_cvt_f32_f16_sdwa v33, v16 dst_sel:DWORD dst_unused:UNUSED_PAD src0_sel:WORD_1
	v_cvt_f32_f16_e32 v30, v17
	v_cvt_f32_f16_sdwa v31, v17 dst_sel:DWORD dst_unused:UNUSED_PAD src0_sel:WORD_1
	v_mfma_f32_16x16x16f16 v[26:29], v[6:7], v[10:11], v[0:3]
	v_xor_b32_e32 v34, 16, v39
	s_nop 5
	v_cndmask_b32_e64 v0, v39, v5, s[0:1]
	s_nop 2
	v_pk_add_f32 v[2:3], v[26:27], v[32:33]
	v_lshlrev_b32_e32 v23, 2, v0
	v_pk_add_f32 v[0:1], v[28:29], v[30:31]
	v_add_f32_e32 v7, 0x40051340, v2
	v_add_f32_e32 v10, 0x40051340, v3
	;; [unrolled: 1-line block ×4, first 2 shown]
	v_max3_f32 v7, v12, v7, v10
	v_max3_f32 v6, v7, v5, v6
	ds_bpermute_b32 v7, v23, v6
	v_cmp_lt_i32_e64 s[0:1], v34, v35
	v_cndmask_b32_e64 v10, v39, v34, s[0:1]
	v_lshlrev_b32_e32 v26, 2, v10
	s_mul_hi_i32 s1, s4, s14
	s_waitcnt lgkmcnt(0)
	v_max_f32_e32 v7, v7, v7
	v_max_f32_e32 v6, v6, v7
	ds_bpermute_b32 v7, v26, v6
	s_mul_i32 s0, s4, s14
	s_lshl_b64 s[0:1], s[0:1], 2
	s_add_u32 s2, s6, s0
	v_add_u32_e32 v5, 0x1600, v15
	s_addc_u32 s3, s7, s1
	s_and_saveexec_b64 s[0:1], vcc
	s_cbranch_execz .LBB9_213
; %bb.212:
	v_mul_lo_u32 v10, v57, s14
	v_ashrrev_i32_e32 v11, 31, v10
	v_lshlrev_b64 v[10:11], 2, v[10:11]
	v_mov_b32_e32 v16, s3
	v_add_co_u32_e32 v17, vcc, s2, v10
	v_addc_co_u32_e32 v16, vcc, v16, v11, vcc
	v_lshlrev_b64 v[10:11], 2, v[18:19]
	v_add_co_u32_e32 v10, vcc, v17, v10
	v_addc_co_u32_e32 v11, vcc, v16, v11, vcc
	global_load_dwordx4 v[28:31], v[10:11], off
	v_lshlrev_b32_e32 v10, 2, v18
	v_add3_u32 v10, 0, v22, v10
	s_waitcnt vmcnt(0)
	ds_write_b128 v10, v[28:31]
.LBB9_213:
	s_or_b64 exec, exec, s[0:1]
	s_waitcnt lgkmcnt(0)
	v_max_f32_e32 v7, v7, v7
	v_max_f32_e32 v6, v6, v6
	;; [unrolled: 1-line block ×3, first 2 shown]
	v_pk_add_f32 v[2:3], v[2:3], v[22:23] op_sel_hi:[1,0] neg_lo:[0,1] neg_hi:[0,1]
	s_mov_b32 s0, 0x3fb8aa3b
	v_mul_f32_e32 v6, 0x3fb8aa3b, v3
	v_fma_f32 v7, v3, s0, -v6
	v_rndne_f32_e32 v10, v6
	v_fmac_f32_e32 v7, 0x32a5705f, v3
	v_sub_f32_e32 v6, v6, v10
	v_add_f32_e32 v6, v6, v7
	v_exp_f32_e32 v6, v6
	v_cvt_i32_f32_e32 v7, v10
	v_lshlrev_b64 v[8:9], 2, v[8:9]
	v_mov_b32_e32 v10, s3
	v_add_co_u32_e32 v8, vcc, s2, v8
	v_ldexp_f32 v27, v6, v7
	v_mul_lo_u32 v6, s14, v49
	v_addc_co_u32_e32 v9, vcc, v10, v9, vcc
	v_ashrrev_i32_e32 v7, 31, v6
	v_add_co_u32_e32 v10, vcc, v8, v24
	v_addc_co_u32_e32 v11, vcc, 0, v9, vcc
	v_lshlrev_b64 v[6:7], 2, v[6:7]
	v_mov_b32_e32 v8, s3
	v_add_co_u32_e32 v6, vcc, s2, v6
	v_addc_co_u32_e32 v7, vcc, v8, v7, vcc
	v_add_co_u32_e32 v28, vcc, v6, v24
	v_addc_co_u32_e32 v29, vcc, 0, v7, vcc
	global_load_dwordx4 v[6:9], v[10:11], off
	global_load_dwordx4 v[16:19], v[28:29], off
	s_mov_b32 s1, 0xc2ce8ed0
	v_cmp_ngt_f32_e32 vcc, s1, v3
	v_mul_f32_e32 v11, 0x3fb8aa3b, v2
	v_cndmask_b32_e32 v10, 0, v27, vcc
	v_fma_f32 v24, v2, s0, -v11
	v_rndne_f32_e32 v27, v11
	v_fmac_f32_e32 v24, 0x32a5705f, v2
	v_sub_f32_e32 v11, v11, v27
	v_add_f32_e32 v11, v11, v24
	v_exp_f32_e32 v11, v11
	v_cvt_i32_f32_e32 v24, v27
	s_mov_b32 s2, 0x42b17218
	v_mov_b32_e32 v27, 0x7f800000
	v_cmp_nlt_f32_e32 vcc, s2, v3
	v_pk_add_f32 v[0:1], v[0:1], v[22:23] op_sel_hi:[1,0] neg_lo:[0,1] neg_hi:[0,1]
	v_cndmask_b32_e32 v3, v27, v10, vcc
	v_ldexp_f32 v10, v11, v24
	v_mul_f32_e32 v11, 0x3fb8aa3b, v1
	v_fma_f32 v24, v1, s0, -v11
	v_rndne_f32_e32 v28, v11
	v_fmac_f32_e32 v24, 0x32a5705f, v1
	v_sub_f32_e32 v11, v11, v28
	v_add_f32_e32 v11, v11, v24
	v_exp_f32_e32 v11, v11
	v_cvt_i32_f32_e32 v24, v28
	v_cmp_ngt_f32_e32 vcc, s1, v2
	v_cndmask_b32_e32 v10, 0, v10, vcc
	v_cmp_nlt_f32_e32 vcc, s2, v2
	v_cndmask_b32_e32 v2, v27, v10, vcc
	v_ldexp_f32 v10, v11, v24
	v_cmp_ngt_f32_e32 vcc, s1, v1
	v_cndmask_b32_e32 v10, 0, v10, vcc
	v_cmp_nlt_f32_e32 vcc, s2, v1
	v_mul_f32_e32 v1, 0x3fb8aa3b, v0
	v_cndmask_b32_e32 v24, v27, v10, vcc
	v_fma_f32 v10, v0, s0, -v1
	v_rndne_f32_e32 v11, v1
	v_fmac_f32_e32 v10, 0x32a5705f, v0
	v_sub_f32_e32 v1, v1, v11
	v_add_f32_e32 v1, v1, v10
	v_cvt_i32_f32_e32 v10, v11
	v_sub_f32_e32 v11, v12, v22
	v_mul_f32_e32 v12, 0x3fb8aa3b, v11
	v_fma_f32 v28, v11, s0, -v12
	v_rndne_f32_e32 v29, v12
	v_fmac_f32_e32 v28, 0x32a5705f, v11
	v_sub_f32_e32 v12, v12, v29
	v_exp_f32_e32 v1, v1
	v_add_f32_e32 v12, v12, v28
	v_exp_f32_e32 v12, v12
	v_cvt_i32_f32_e32 v28, v29
	v_ldexp_f32 v1, v1, v10
	v_cmp_ngt_f32_e32 vcc, s1, v0
	v_cndmask_b32_e32 v1, 0, v1, vcc
	v_ldexp_f32 v10, v12, v28
	v_cmp_ngt_f32_e32 vcc, s1, v11
	v_cndmask_b32_e32 v10, 0, v10, vcc
	v_cmp_nlt_f32_e32 vcc, s2, v11
	s_mov_b32 s0, 0xc1a00000
	v_cndmask_b32_e32 v10, v27, v10, vcc
	v_cmp_le_f32_e32 vcc, s0, v11
	v_cndmask_b32_e32 v30, 0, v10, vcc
	v_cmp_nlt_f32_e32 vcc, s2, v0
	v_or_b32_e32 v0, 3, v47
	v_cvt_f16_f32_e32 v31, v30
	v_mul_u32_u24_e32 v0, 0xb0, v0
	v_mul_u32_u24_e32 v28, 0x58, v4
	;; [unrolled: 1-line block ×3, first 2 shown]
	s_waitcnt vmcnt(1)
	ds_write_b128 v15, v[6:9]
	s_waitcnt vmcnt(0)
	ds_write_b128 v5, v[16:19]
	v_add3_u32 v7, v14, v0, v13
	v_or_b32_e32 v28, v28, v44
	s_waitcnt lgkmcnt(0)
	s_barrier
	v_add3_u32 v4, v14, v4, v13
	s_mov_b32 s0, 0x5040100
	ds_read_u16 v5, v7
	ds_read_u16 v15, v4 offset:272
	ds_read_u16 v6, v4 offset:352
	;; [unrolled: 1-line block ×7, first 2 shown]
	v_cndmask_b32_e32 v10, v27, v1, vcc
	v_add_f32_e32 v11, v2, v3
	v_cvt_f16_f32_e32 v29, v3
	v_lshl_add_u32 v3, v28, 1, v14
	s_waitcnt lgkmcnt(5)
	v_perm_b32 v5, v5, v6, s0
	ds_read_u16 v6, v4 offset:176
	ds_read_u16 v14, v4 offset:208
	;; [unrolled: 1-line block ×3, first 2 shown]
	ds_read_u16 v4, v3
	ds_read_u16 v18, v3 offset:32
	ds_read_u16 v36, v3 offset:64
	;; [unrolled: 1-line block ×5, first 2 shown]
	v_pk_mul_f16 v1, v31, v62 op_sel_hi:[0,1]
	v_pk_mul_f16 v12, v31, v60 op_sel_hi:[0,1]
	v_cvt_f16_f32_e32 v32, v2
	v_cvt_f16_f32_e32 v33, v24
	;; [unrolled: 1-line block ×3, first 2 shown]
	s_waitcnt lgkmcnt(5)
	v_perm_b32 v4, v6, v4, s0
	v_cvt_f32_f16_e32 v0, v1
	v_cvt_f32_f16_sdwa v1, v1 dst_sel:DWORD dst_unused:UNUSED_PAD src0_sel:WORD_1
	v_cvt_f32_f16_e32 v2, v12
	v_cvt_f32_f16_sdwa v3, v12 dst_sel:DWORD dst_unused:UNUSED_PAD src0_sel:WORD_1
	v_pk_mul_f16 v27, v31, v64 op_sel_hi:[0,1]
	v_pk_mul_f16 v12, v31, v56 op_sel_hi:[0,1]
	v_pack_b32_f16 v28, v32, v29
	v_pack_b32_f16 v29, v34, v33
	s_waitcnt lgkmcnt(0)
	v_perm_b32 v9, v9, v8, s0
	v_perm_b32 v8, v14, v18, s0
	v_mfma_f32_16x16x16f16 v[0:3], v[4:5], v[28:29], v[0:3]
	v_cvt_f32_f16_e32 v4, v27
	v_cvt_f32_f16_sdwa v5, v27 dst_sel:DWORD dst_unused:UNUSED_PAD src0_sel:WORD_1
	v_cvt_f32_f16_e32 v6, v12
	ds_read_u16 v27, v7 offset:64
	ds_read_u16 v32, v7 offset:96
	;; [unrolled: 1-line block ×3, first 2 shown]
	v_cvt_f32_f16_sdwa v7, v12 dst_sel:DWORD dst_unused:UNUSED_PAD src0_sel:WORD_1
	v_add_f32_e32 v14, v10, v11
	v_pk_mul_f16 v10, v31, v52 op_sel_hi:[0,1]
	v_pk_mul_f16 v11, v31, v51 op_sel_hi:[0,1]
	s_waitcnt lgkmcnt(2)
	v_perm_b32 v13, v27, v13, s0
	v_perm_b32 v12, v17, v36, s0
	v_mfma_f32_16x16x16f16 v[4:7], v[8:9], v[28:29], v[4:7]
	v_cvt_f32_f16_e32 v8, v10
	v_cvt_f32_f16_sdwa v9, v10 dst_sel:DWORD dst_unused:UNUSED_PAD src0_sel:WORD_1
	v_cvt_f32_f16_e32 v10, v11
	v_cvt_f32_f16_sdwa v11, v11 dst_sel:DWORD dst_unused:UNUSED_PAD src0_sel:WORD_1
	v_add_f32_e32 v24, v24, v14
	v_pk_mul_f16 v14, v31, v55 op_sel_hi:[0,1]
	v_pk_mul_f16 v18, v31, v54 op_sel_hi:[0,1]
	s_waitcnt lgkmcnt(1)
	v_perm_b32 v17, v32, v16, s0
	v_perm_b32 v16, v15, v37, s0
	v_mfma_f32_16x16x16f16 v[8:11], v[12:13], v[28:29], v[8:11]
	v_cvt_f32_f16_e32 v12, v14
	v_cvt_f32_f16_sdwa v13, v14 dst_sel:DWORD dst_unused:UNUSED_PAD src0_sel:WORD_1
	v_cvt_f32_f16_e32 v14, v18
	v_cvt_f32_f16_sdwa v15, v18 dst_sel:DWORD dst_unused:UNUSED_PAD src0_sel:WORD_1
	v_fmac_f32_e32 v24, v38, v30
	v_pk_mul_f16 v18, v31, v53 op_sel_hi:[0,1]
	v_pk_mul_f16 v27, v31, v48 op_sel_hi:[0,1]
	s_waitcnt lgkmcnt(0)
	v_perm_b32 v31, v33, v19, s0
	v_perm_b32 v30, v35, v39, s0
	v_mfma_f32_16x16x16f16 v[12:15], v[16:17], v[28:29], v[12:15]
	v_cvt_f32_f16_e32 v16, v18
	v_cvt_f32_f16_sdwa v17, v18 dst_sel:DWORD dst_unused:UNUSED_PAD src0_sel:WORD_1
	v_cvt_f32_f16_e32 v18, v27
	v_cvt_f32_f16_sdwa v19, v27 dst_sel:DWORD dst_unused:UNUSED_PAD src0_sel:WORD_1
	ds_bpermute_b32 v27, v23, v24
	v_cmp_gt_u32_e64 s[0:1], 16, v21
	s_waitcnt lgkmcnt(0)
	v_mfma_f32_16x16x16f16 v[16:19], v[30:31], v[28:29], v[16:19]
	s_barrier
	v_add_f32_e32 v24, v24, v27
	ds_bpermute_b32 v27, v26, v24
	s_waitcnt lgkmcnt(0)
	s_and_saveexec_b64 s[2:3], s[0:1]
	s_cbranch_execz .LBB9_215
; %bb.214:
	v_add_f32_e32 v24, v24, v27
	v_or_b32_e32 v27, v63, v21
	s_movk_i32 s4, 0xb0
	v_mad_u32_u24 v27, v27, s4, 0
	ds_write2_b32 v27, v22, v24 offset0:40 offset1:41
.LBB9_215:
	s_or_b64 exec, exec, s[2:3]
	v_cmp_eq_u32_e32 vcc, 0, v25
	v_cmp_ne_u32_e64 s[2:3], 0, v25
	s_waitcnt lgkmcnt(0)
	s_barrier
	s_and_saveexec_b64 s[4:5], s[2:3]
	s_xor_b64 s[2:3], exec, s[4:5]
	s_cbranch_execz .LBB9_217
; %bb.216:
	s_barrier
	s_waitcnt lgkmcnt(0)
                                        ; implicit-def: $vgpr23
                                        ; implicit-def: $vgpr26
                                        ; implicit-def: $vgpr68
.LBB9_217:
	s_andn2_saveexec_b64 s[4:5], s[2:3]
	s_cbranch_execz .LBB9_221
; %bb.218:
	v_add_u32_e32 v22, v63, v21
	s_movk_i32 s2, 0xb0
	v_mad_u32_u24 v27, v22, s2, 0
	ds_read_b64 v[24:25], v27 offset:160
	s_mov_b32 s2, 0x3fb8aa3b
	s_mov_b32 s6, 0x42b17218
	s_mov_b32 s9, 0
	s_waitcnt lgkmcnt(0)
	ds_bpermute_b32 v22, v23, v24
	v_max_f32_e32 v28, v24, v24
	s_barrier
	s_waitcnt lgkmcnt(0)
	v_max_f32_e32 v22, v22, v22
	v_max_f32_e32 v22, v28, v22
	ds_bpermute_b32 v28, v26, v22
	s_waitcnt lgkmcnt(0)
	v_max_f32_e32 v28, v28, v28
	v_max_f32_e32 v22, v22, v28
	v_sub_f32_e32 v24, v24, v22
	v_mul_f32_e32 v28, 0x3fb8aa3b, v24
	v_fma_f32 v29, v24, s2, -v28
	v_rndne_f32_e32 v30, v28
	v_fmac_f32_e32 v29, 0x32a5705f, v24
	v_sub_f32_e32 v28, v28, v30
	v_add_f32_e32 v28, v28, v29
	v_cvt_i32_f32_e32 v30, v30
	v_exp_f32_e32 v28, v28
	s_mov_b32 s2, 0xc2ce8ed0
	v_cmp_ngt_f32_e64 s[2:3], s2, v24
	v_mov_b32_e32 v29, 0x7f800000
	v_ldexp_f32 v28, v28, v30
	v_cndmask_b32_e64 v28, 0, v28, s[2:3]
	v_cmp_nlt_f32_e64 s[2:3], s6, v24
	v_cndmask_b32_e64 v24, v29, v28, s[2:3]
	v_mul_f32_e32 v28, v25, v24
	ds_bpermute_b32 v23, v23, v28
	s_waitcnt lgkmcnt(0)
	v_fmac_f32_e32 v23, v25, v24
	ds_bpermute_b32 v25, v26, v23
	s_waitcnt lgkmcnt(0)
	v_add_f32_e32 v25, v23, v25
	ds_write_b64 v27, v[24:25] offset:160
	s_and_saveexec_b64 s[2:3], s[0:1]
	s_cbranch_execz .LBB9_220
; %bb.219:
	s_add_i32 s0, s35, s44
	s_lshl_b32 s8, s0, 4
	s_lshl_b64 s[0:1], s[8:9], 3
	s_add_u32 s0, s30, s0
	v_or_b32_e32 v23, v68, v21
	s_addc_u32 s1, s31, s1
	v_lshlrev_b32_e32 v24, 3, v23
	v_mov_b32_e32 v23, v25
	global_store_dwordx2 v24, v[22:23], s[0:1]
.LBB9_220:
	s_or_b64 exec, exec, s[2:3]
.LBB9_221:
	s_or_b64 exec, exec, s[4:5]
	v_cvt_f16_f32_e32 v0, v0
	v_cvt_f16_f32_e32 v2, v2
	;; [unrolled: 1-line block ×5, first 2 shown]
	s_mov_b32 s3, 0
	v_pack_b32_f16 v2, v2, v3
	v_pack_b32_f16 v0, v0, v1
	v_cvt_f16_f32_e32 v1, v4
	v_cvt_f16_f32_e32 v3, v5
	;; [unrolled: 1-line block ×7, first 2 shown]
	v_pack_b32_f16 v4, v4, v5
	v_pack_b32_f16 v1, v1, v3
	;; [unrolled: 1-line block ×4, first 2 shown]
	v_cvt_f16_f32_e32 v7, v13
	v_cvt_f16_f32_e32 v8, v14
	;; [unrolled: 1-line block ×8, first 2 shown]
	v_pack_b32_f16 v8, v8, v9
	v_pack_b32_f16 v9, v10, v13
	v_or_b32_e32 v10, v63, v44
	v_mad_u32_u24 v10, v10, 44, v46
	v_lshl_add_u32 v10, v10, 2, 0
	v_pack_b32_f16 v6, v6, v7
	v_pack_b32_f16 v7, v11, v12
	ds_write2_b32 v10, v0, v2 offset1:1
	ds_write2_b32 v10, v1, v4 offset0:8 offset1:9
	ds_write2_b32 v10, v5, v3 offset0:16 offset1:17
	ds_write2_b32 v10, v6, v8 offset0:24 offset1:25
	ds_write2_b32 v10, v9, v7 offset0:32 offset1:33
	s_waitcnt lgkmcnt(0)
	s_barrier
	s_and_saveexec_b64 s[0:1], vcc
	s_cbranch_execz .LBB9_223
; %bb.222:
	s_mul_i32 s2, s44, 0x280
	s_lshl_b64 s[4:5], s[2:3], 3
	s_add_u32 s4, s30, s4
	s_addc_u32 s5, s31, s5
	s_lshl_b32 s2, s35, 5
	v_lshrrev_b32_e32 v0, 1, v61
	s_lshl_b64 s[2:3], s[2:3], 3
	v_add_u32_e32 v12, v43, v0
	s_add_u32 s2, s4, s2
	v_lshlrev_b32_e32 v0, 2, v12
	v_and_b32_e32 v1, 15, v12
	s_movk_i32 s4, 0xfc0
	v_and_or_b32 v0, v0, s4, v1
	s_movk_i32 s4, 0xb0
	v_mad_u32_u24 v2, v0, s4, 0
	v_lshlrev_b32_e32 v14, 2, v20
	v_add_u32_e32 v6, v2, v14
	ds_read2st64_b32 v[0:1], v6 offset1:11
	v_add_u32_e32 v4, 0xa0, v2
	ds_read2st64_b32 v[2:3], v4 offset1:11
	ds_read2st64_b32 v[4:5], v4 offset0:22 offset1:33
	ds_read2st64_b32 v[6:7], v6 offset0:22 offset1:33
	s_addc_u32 s3, s5, s3
	s_movk_i32 s5, 0x1fc0
	s_waitcnt lgkmcnt(3)
	v_cvt_f32_f16_e32 v8, v0
	v_cvt_f32_f16_sdwa v9, v0 dst_sel:DWORD dst_unused:UNUSED_PAD src0_sel:WORD_1
	v_cvt_f32_f16_e32 v0, v1
	v_cvt_f32_f16_sdwa v1, v1 dst_sel:DWORD dst_unused:UNUSED_PAD src0_sel:WORD_1
	s_waitcnt lgkmcnt(0)
	v_cvt_f32_f16_e32 v10, v6
	v_cvt_f32_f16_sdwa v11, v6 dst_sel:DWORD dst_unused:UNUSED_PAD src0_sel:WORD_1
	v_pk_fma_f32 v[8:9], v[2:3], v[8:9], 0 op_sel_hi:[0,1,0]
	v_mov_b32_e32 v2, v3
	v_pk_fma_f32 v[0:1], v[2:3], v[0:1], v[8:9] op_sel_hi:[0,1,1]
	v_pk_fma_f32 v[0:1], v[4:5], v[10:11], v[0:1] op_sel_hi:[0,1,1]
	v_mov_b32_e32 v4, v5
	v_add_u32_e32 v5, 2, v12
	v_cvt_f32_f16_e32 v2, v7
	v_cvt_f32_f16_sdwa v3, v7 dst_sel:DWORD dst_unused:UNUSED_PAD src0_sel:WORD_1
	v_lshlrev_b32_e32 v6, 2, v5
	v_and_b32_e32 v5, 15, v5
	v_and_or_b32 v5, v6, s5, v5
	v_mad_u32_u24 v5, v5, s4, 0
	v_mul_u32_u24_e32 v13, 40, v12
	v_add_u32_e32 v8, v5, v14
	ds_read2st64_b32 v[6:7], v8 offset1:11
	v_pk_fma_f32 v[0:1], v[4:5], v[2:3], v[0:1] op_sel_hi:[0,1,1]
	v_add_lshl_u32 v13, v13, v20, 3
	v_add_u32_e32 v9, 0xa0, v5
	global_store_dwordx2 v13, v[0:1], s[2:3]
	ds_read2st64_b32 v[2:3], v9 offset1:11
	ds_read2st64_b32 v[0:1], v9 offset0:22 offset1:33
	ds_read2st64_b32 v[8:9], v8 offset0:22 offset1:33
	s_waitcnt lgkmcnt(3)
	v_cvt_f32_f16_e32 v4, v6
	v_cvt_f32_f16_sdwa v5, v6 dst_sel:DWORD dst_unused:UNUSED_PAD src0_sel:WORD_1
	v_cvt_f32_f16_e32 v6, v7
	v_cvt_f32_f16_sdwa v7, v7 dst_sel:DWORD dst_unused:UNUSED_PAD src0_sel:WORD_1
	s_waitcnt lgkmcnt(0)
	v_cvt_f32_f16_e32 v10, v8
	v_cvt_f32_f16_sdwa v11, v8 dst_sel:DWORD dst_unused:UNUSED_PAD src0_sel:WORD_1
	v_cvt_f32_f16_e32 v8, v9
	v_cvt_f32_f16_sdwa v9, v9 dst_sel:DWORD dst_unused:UNUSED_PAD src0_sel:WORD_1
	v_pk_fma_f32 v[4:5], v[2:3], v[4:5], 0 op_sel_hi:[0,1,0]
	v_mov_b32_e32 v2, v3
	v_pk_fma_f32 v[2:3], v[2:3], v[6:7], v[4:5] op_sel_hi:[0,1,1]
	v_pk_fma_f32 v[2:3], v[0:1], v[10:11], v[2:3] op_sel_hi:[0,1,1]
	v_mov_b32_e32 v0, v1
	v_pk_fma_f32 v[0:1], v[0:1], v[8:9], v[2:3] op_sel_hi:[0,1,1]
	global_store_dwordx2 v13, v[0:1], s[2:3] offset:640
	v_add_u32_e32 v0, 4, v12
	v_lshlrev_b32_e32 v1, 2, v0
	v_and_b32_e32 v0, 15, v0
	v_and_or_b32 v0, v1, s5, v0
	v_mad_u32_u24 v0, v0, s4, 0
	v_add_u32_e32 v4, 0xa0, v0
	v_add_u32_e32 v6, v0, v14
	ds_read2st64_b32 v[0:1], v6 offset1:11
	ds_read2st64_b32 v[2:3], v4 offset1:11
	ds_read2st64_b32 v[4:5], v4 offset0:22 offset1:33
	ds_read2st64_b32 v[6:7], v6 offset0:22 offset1:33
	v_add_u32_e32 v15, 0x500, v13
	s_waitcnt lgkmcnt(3)
	v_cvt_f32_f16_e32 v8, v0
	v_cvt_f32_f16_sdwa v9, v0 dst_sel:DWORD dst_unused:UNUSED_PAD src0_sel:WORD_1
	v_cvt_f32_f16_e32 v0, v1
	v_cvt_f32_f16_sdwa v1, v1 dst_sel:DWORD dst_unused:UNUSED_PAD src0_sel:WORD_1
	s_waitcnt lgkmcnt(0)
	v_cvt_f32_f16_e32 v10, v6
	v_cvt_f32_f16_sdwa v11, v6 dst_sel:DWORD dst_unused:UNUSED_PAD src0_sel:WORD_1
	v_pk_fma_f32 v[8:9], v[2:3], v[8:9], 0 op_sel_hi:[0,1,0]
	v_mov_b32_e32 v2, v3
	v_pk_fma_f32 v[0:1], v[2:3], v[0:1], v[8:9] op_sel_hi:[0,1,1]
	v_pk_fma_f32 v[0:1], v[4:5], v[10:11], v[0:1] op_sel_hi:[0,1,1]
	v_mov_b32_e32 v4, v5
	v_add_u32_e32 v5, 6, v12
	v_cvt_f32_f16_e32 v2, v7
	v_cvt_f32_f16_sdwa v3, v7 dst_sel:DWORD dst_unused:UNUSED_PAD src0_sel:WORD_1
	v_lshlrev_b32_e32 v6, 2, v5
	v_and_b32_e32 v5, 15, v5
	v_and_or_b32 v5, v6, s5, v5
	v_mad_u32_u24 v5, v5, s4, 0
	v_add_u32_e32 v8, v5, v14
	ds_read2st64_b32 v[6:7], v8 offset1:11
	v_pk_fma_f32 v[0:1], v[4:5], v[2:3], v[0:1] op_sel_hi:[0,1,1]
	global_store_dwordx2 v15, v[0:1], s[2:3]
	v_add_u32_e32 v4, 0xa0, v5
	ds_read2st64_b32 v[0:1], v4 offset1:11
	ds_read2st64_b32 v[4:5], v4 offset0:22 offset1:33
	ds_read2st64_b32 v[8:9], v8 offset0:22 offset1:33
	s_waitcnt lgkmcnt(3)
	v_cvt_f32_f16_e32 v2, v6
	v_cvt_f32_f16_sdwa v3, v6 dst_sel:DWORD dst_unused:UNUSED_PAD src0_sel:WORD_1
	v_cvt_f32_f16_e32 v6, v7
	v_cvt_f32_f16_sdwa v7, v7 dst_sel:DWORD dst_unused:UNUSED_PAD src0_sel:WORD_1
	s_waitcnt lgkmcnt(0)
	v_cvt_f32_f16_e32 v10, v8
	v_cvt_f32_f16_sdwa v11, v8 dst_sel:DWORD dst_unused:UNUSED_PAD src0_sel:WORD_1
	v_cvt_f32_f16_e32 v8, v9
	v_cvt_f32_f16_sdwa v9, v9 dst_sel:DWORD dst_unused:UNUSED_PAD src0_sel:WORD_1
	v_pk_fma_f32 v[2:3], v[0:1], v[2:3], 0 op_sel_hi:[0,1,0]
	v_mov_b32_e32 v0, v1
	v_pk_fma_f32 v[0:1], v[0:1], v[6:7], v[2:3] op_sel_hi:[0,1,1]
	v_pk_fma_f32 v[0:1], v[4:5], v[10:11], v[0:1] op_sel_hi:[0,1,1]
	v_mov_b32_e32 v2, v5
	v_add_u32_e32 v15, 0x780, v13
	v_pk_fma_f32 v[0:1], v[2:3], v[8:9], v[0:1] op_sel_hi:[0,1,1]
	global_store_dwordx2 v15, v[0:1], s[2:3]
	v_add_u32_e32 v0, 8, v12
	v_lshlrev_b32_e32 v1, 2, v0
	v_and_b32_e32 v0, 15, v0
	v_and_or_b32 v0, v1, s5, v0
	v_mad_u32_u24 v0, v0, s4, 0
	v_add_u32_e32 v4, 0xa0, v0
	v_add_u32_e32 v6, v0, v14
	ds_read2st64_b32 v[0:1], v6 offset1:11
	ds_read2st64_b32 v[2:3], v4 offset1:11
	ds_read2st64_b32 v[4:5], v4 offset0:22 offset1:33
	ds_read2st64_b32 v[6:7], v6 offset0:22 offset1:33
	v_add_u32_e32 v15, 0xa00, v13
	s_waitcnt lgkmcnt(3)
	v_cvt_f32_f16_e32 v8, v0
	v_cvt_f32_f16_sdwa v9, v0 dst_sel:DWORD dst_unused:UNUSED_PAD src0_sel:WORD_1
	v_cvt_f32_f16_e32 v0, v1
	v_cvt_f32_f16_sdwa v1, v1 dst_sel:DWORD dst_unused:UNUSED_PAD src0_sel:WORD_1
	s_waitcnt lgkmcnt(0)
	v_cvt_f32_f16_e32 v10, v6
	v_cvt_f32_f16_sdwa v11, v6 dst_sel:DWORD dst_unused:UNUSED_PAD src0_sel:WORD_1
	v_pk_fma_f32 v[8:9], v[2:3], v[8:9], 0 op_sel_hi:[0,1,0]
	v_mov_b32_e32 v2, v3
	v_pk_fma_f32 v[0:1], v[2:3], v[0:1], v[8:9] op_sel_hi:[0,1,1]
	v_pk_fma_f32 v[0:1], v[4:5], v[10:11], v[0:1] op_sel_hi:[0,1,1]
	v_mov_b32_e32 v4, v5
	v_add_u32_e32 v5, 10, v12
	v_cvt_f32_f16_e32 v2, v7
	v_cvt_f32_f16_sdwa v3, v7 dst_sel:DWORD dst_unused:UNUSED_PAD src0_sel:WORD_1
	v_lshlrev_b32_e32 v6, 2, v5
	v_and_b32_e32 v5, 15, v5
	v_and_or_b32 v5, v6, s5, v5
	v_mad_u32_u24 v5, v5, s4, 0
	v_add_u32_e32 v8, v5, v14
	ds_read2st64_b32 v[6:7], v8 offset1:11
	v_pk_fma_f32 v[0:1], v[4:5], v[2:3], v[0:1] op_sel_hi:[0,1,1]
	global_store_dwordx2 v15, v[0:1], s[2:3]
	v_add_u32_e32 v4, 0xa0, v5
	ds_read2st64_b32 v[0:1], v4 offset1:11
	ds_read2st64_b32 v[4:5], v4 offset0:22 offset1:33
	ds_read2st64_b32 v[8:9], v8 offset0:22 offset1:33
	s_waitcnt lgkmcnt(3)
	v_cvt_f32_f16_e32 v2, v6
	v_cvt_f32_f16_sdwa v3, v6 dst_sel:DWORD dst_unused:UNUSED_PAD src0_sel:WORD_1
	v_cvt_f32_f16_e32 v6, v7
	v_cvt_f32_f16_sdwa v7, v7 dst_sel:DWORD dst_unused:UNUSED_PAD src0_sel:WORD_1
	s_waitcnt lgkmcnt(0)
	v_cvt_f32_f16_e32 v10, v8
	v_cvt_f32_f16_sdwa v11, v8 dst_sel:DWORD dst_unused:UNUSED_PAD src0_sel:WORD_1
	v_cvt_f32_f16_e32 v8, v9
	v_cvt_f32_f16_sdwa v9, v9 dst_sel:DWORD dst_unused:UNUSED_PAD src0_sel:WORD_1
	v_pk_fma_f32 v[2:3], v[0:1], v[2:3], 0 op_sel_hi:[0,1,0]
	v_mov_b32_e32 v0, v1
	v_pk_fma_f32 v[0:1], v[0:1], v[6:7], v[2:3] op_sel_hi:[0,1,1]
	v_pk_fma_f32 v[0:1], v[4:5], v[10:11], v[0:1] op_sel_hi:[0,1,1]
	v_mov_b32_e32 v2, v5
	v_add_u32_e32 v15, 0xc80, v13
	v_pk_fma_f32 v[0:1], v[2:3], v[8:9], v[0:1] op_sel_hi:[0,1,1]
	global_store_dwordx2 v15, v[0:1], s[2:3]
	;; [unrolled: 58-line block ×3, first 2 shown]
	v_add_u32_e32 v12, v42, v45
	v_lshlrev_b32_e32 v0, 2, v12
	v_and_b32_e32 v1, 15, v12
	s_movk_i32 s5, 0x3fc0
	v_and_b32_e32 v8, 7, v21
	v_and_or_b32 v0, v0, s5, v1
	v_mad_u32_u24 v2, v0, s4, 0
	v_lshlrev_b32_e32 v13, 2, v8
	v_add_u32_e32 v4, 0xa0, v2
	v_add_u32_e32 v2, v2, v13
	;; [unrolled: 1-line block ×3, first 2 shown]
	ds_read2st64_b32 v[0:1], v4 offset1:11
	ds_read2st64_b32 v[2:3], v6 offset1:11
	ds_read2st64_b32 v[4:5], v4 offset0:22 offset1:33
	ds_read2st64_b32 v[6:7], v6 offset0:22 offset1:33
	v_mul_u32_u24_e32 v9, 40, v12
	v_or_b32_e32 v8, v9, v8
	v_lshlrev_b32_e32 v14, 3, v8
	s_waitcnt lgkmcnt(2)
	v_cvt_f32_f16_e32 v8, v2
	v_cvt_f32_f16_sdwa v9, v2 dst_sel:DWORD dst_unused:UNUSED_PAD src0_sel:WORD_1
	v_cvt_f32_f16_e32 v2, v3
	v_cvt_f32_f16_sdwa v3, v3 dst_sel:DWORD dst_unused:UNUSED_PAD src0_sel:WORD_1
	s_waitcnt lgkmcnt(0)
	v_cvt_f32_f16_e32 v10, v6
	v_cvt_f32_f16_sdwa v11, v6 dst_sel:DWORD dst_unused:UNUSED_PAD src0_sel:WORD_1
	v_pk_fma_f32 v[8:9], v[0:1], v[8:9], 0 op_sel_hi:[0,1,0]
	v_mov_b32_e32 v0, v1
	v_pk_fma_f32 v[0:1], v[0:1], v[2:3], v[8:9] op_sel_hi:[0,1,1]
	v_pk_fma_f32 v[0:1], v[4:5], v[10:11], v[0:1] op_sel_hi:[0,1,1]
	v_mov_b32_e32 v4, v5
	v_add_u32_e32 v5, 8, v12
	v_lshlrev_b32_e32 v6, 2, v5
	v_and_b32_e32 v5, 15, v5
	s_movk_i32 s5, 0x7fc0
	v_cvt_f32_f16_e32 v2, v7
	v_cvt_f32_f16_sdwa v3, v7 dst_sel:DWORD dst_unused:UNUSED_PAD src0_sel:WORD_1
	v_and_or_b32 v5, v6, s5, v5
	v_mad_u32_u24 v5, v5, s4, 0
	v_add_u32_e32 v6, v5, v13
	v_add_u32_e32 v8, 0x80, v6
	ds_read2st64_b32 v[6:7], v8 offset1:11
	v_pk_fma_f32 v[0:1], v[4:5], v[2:3], v[0:1] op_sel_hi:[0,1,1]
	global_store_dwordx2 v14, v[0:1], s[2:3] offset:256
	v_add_u32_e32 v4, 0xa0, v5
	ds_read2st64_b32 v[0:1], v4 offset1:11
	ds_read2st64_b32 v[4:5], v4 offset0:22 offset1:33
	ds_read2st64_b32 v[8:9], v8 offset0:22 offset1:33
	s_waitcnt lgkmcnt(3)
	v_cvt_f32_f16_e32 v2, v6
	v_cvt_f32_f16_sdwa v3, v6 dst_sel:DWORD dst_unused:UNUSED_PAD src0_sel:WORD_1
	v_cvt_f32_f16_e32 v6, v7
	v_cvt_f32_f16_sdwa v7, v7 dst_sel:DWORD dst_unused:UNUSED_PAD src0_sel:WORD_1
	s_waitcnt lgkmcnt(0)
	v_cvt_f32_f16_e32 v10, v8
	v_cvt_f32_f16_sdwa v11, v8 dst_sel:DWORD dst_unused:UNUSED_PAD src0_sel:WORD_1
	v_cvt_f32_f16_e32 v8, v9
	v_cvt_f32_f16_sdwa v9, v9 dst_sel:DWORD dst_unused:UNUSED_PAD src0_sel:WORD_1
	v_pk_fma_f32 v[2:3], v[0:1], v[2:3], 0 op_sel_hi:[0,1,0]
	v_mov_b32_e32 v0, v1
	v_pk_fma_f32 v[0:1], v[0:1], v[6:7], v[2:3] op_sel_hi:[0,1,1]
	v_pk_fma_f32 v[0:1], v[4:5], v[10:11], v[0:1] op_sel_hi:[0,1,1]
	v_mov_b32_e32 v2, v5
	v_add_u32_e32 v12, 0xa00, v14
	v_pk_fma_f32 v[0:1], v[2:3], v[8:9], v[0:1] op_sel_hi:[0,1,1]
	global_store_dwordx2 v12, v[0:1], s[2:3] offset:256
.LBB9_223:
	s_or_b64 exec, exec, s[0:1]
	s_barrier
	s_endpgm
	.section	.rodata,"a",@progbits
	.p2align	6, 0x0
	.amdhsa_kernel _ZL18flash_attn_ext_f16ILi80ELi80ELi8ELi2ELb0ELb0EEvPKcS1_S1_S1_S1_PKiPfP15HIP_vector_typeIfLj2EEffffjfiS5_IjLj3EEiiiiiiiiiiiliiliiiiil
		.amdhsa_group_segment_fixed_size 0
		.amdhsa_private_segment_fixed_size 0
		.amdhsa_kernarg_size 464
		.amdhsa_user_sgpr_count 6
		.amdhsa_user_sgpr_private_segment_buffer 1
		.amdhsa_user_sgpr_dispatch_ptr 0
		.amdhsa_user_sgpr_queue_ptr 0
		.amdhsa_user_sgpr_kernarg_segment_ptr 1
		.amdhsa_user_sgpr_dispatch_id 0
		.amdhsa_user_sgpr_flat_scratch_init 0
		.amdhsa_user_sgpr_kernarg_preload_length 0
		.amdhsa_user_sgpr_kernarg_preload_offset 0
		.amdhsa_user_sgpr_private_segment_size 0
		.amdhsa_uses_dynamic_stack 0
		.amdhsa_system_sgpr_private_segment_wavefront_offset 0
		.amdhsa_system_sgpr_workgroup_id_x 1
		.amdhsa_system_sgpr_workgroup_id_y 0
		.amdhsa_system_sgpr_workgroup_id_z 0
		.amdhsa_system_sgpr_workgroup_info 0
		.amdhsa_system_vgpr_workitem_id 1
		.amdhsa_next_free_vgpr 168
		.amdhsa_next_free_sgpr 96
		.amdhsa_accum_offset 168
		.amdhsa_reserve_vcc 1
		.amdhsa_reserve_flat_scratch 0
		.amdhsa_float_round_mode_32 0
		.amdhsa_float_round_mode_16_64 0
		.amdhsa_float_denorm_mode_32 3
		.amdhsa_float_denorm_mode_16_64 3
		.amdhsa_dx10_clamp 1
		.amdhsa_ieee_mode 1
		.amdhsa_fp16_overflow 0
		.amdhsa_tg_split 0
		.amdhsa_exception_fp_ieee_invalid_op 0
		.amdhsa_exception_fp_denorm_src 0
		.amdhsa_exception_fp_ieee_div_zero 0
		.amdhsa_exception_fp_ieee_overflow 0
		.amdhsa_exception_fp_ieee_underflow 0
		.amdhsa_exception_fp_ieee_inexact 0
		.amdhsa_exception_int_div_zero 0
	.end_amdhsa_kernel
	.section	.text._ZL18flash_attn_ext_f16ILi80ELi80ELi8ELi2ELb0ELb0EEvPKcS1_S1_S1_S1_PKiPfP15HIP_vector_typeIfLj2EEffffjfiS5_IjLj3EEiiiiiiiiiiiliiliiiiil,"axG",@progbits,_ZL18flash_attn_ext_f16ILi80ELi80ELi8ELi2ELb0ELb0EEvPKcS1_S1_S1_S1_PKiPfP15HIP_vector_typeIfLj2EEffffjfiS5_IjLj3EEiiiiiiiiiiiliiliiiiil,comdat
.Lfunc_end9:
	.size	_ZL18flash_attn_ext_f16ILi80ELi80ELi8ELi2ELb0ELb0EEvPKcS1_S1_S1_S1_PKiPfP15HIP_vector_typeIfLj2EEffffjfiS5_IjLj3EEiiiiiiiiiiiliiliiiiil, .Lfunc_end9-_ZL18flash_attn_ext_f16ILi80ELi80ELi8ELi2ELb0ELb0EEvPKcS1_S1_S1_S1_PKiPfP15HIP_vector_typeIfLj2EEffffjfiS5_IjLj3EEiiiiiiiiiiiliiliiiiil
                                        ; -- End function
	.section	.AMDGPU.csdata,"",@progbits
; Kernel info:
; codeLenInByte = 30024
; NumSgprs: 100
; NumVgprs: 168
; NumAgprs: 0
; TotalNumVgprs: 168
; ScratchSize: 0
; MemoryBound: 0
; FloatMode: 240
; IeeeMode: 1
; LDSByteSize: 0 bytes/workgroup (compile time only)
; SGPRBlocks: 12
; VGPRBlocks: 20
; NumSGPRsForWavesPerEU: 100
; NumVGPRsForWavesPerEU: 168
; AccumOffset: 168
; Occupancy: 3
; WaveLimiterHint : 1
; COMPUTE_PGM_RSRC2:SCRATCH_EN: 0
; COMPUTE_PGM_RSRC2:USER_SGPR: 6
; COMPUTE_PGM_RSRC2:TRAP_HANDLER: 0
; COMPUTE_PGM_RSRC2:TGID_X_EN: 1
; COMPUTE_PGM_RSRC2:TGID_Y_EN: 0
; COMPUTE_PGM_RSRC2:TGID_Z_EN: 0
; COMPUTE_PGM_RSRC2:TIDIG_COMP_CNT: 1
; COMPUTE_PGM_RSRC3_GFX90A:ACCUM_OFFSET: 41
; COMPUTE_PGM_RSRC3_GFX90A:TG_SPLIT: 0
	.section	.text._ZL18flash_attn_ext_f16ILi80ELi80ELi8ELi2ELb1ELb0EEvPKcS1_S1_S1_S1_PKiPfP15HIP_vector_typeIfLj2EEffffjfiS5_IjLj3EEiiiiiiiiiiiliiliiiiil,"axG",@progbits,_ZL18flash_attn_ext_f16ILi80ELi80ELi8ELi2ELb1ELb0EEvPKcS1_S1_S1_S1_PKiPfP15HIP_vector_typeIfLj2EEffffjfiS5_IjLj3EEiiiiiiiiiiiliiliiiiil,comdat
	.globl	_ZL18flash_attn_ext_f16ILi80ELi80ELi8ELi2ELb1ELb0EEvPKcS1_S1_S1_S1_PKiPfP15HIP_vector_typeIfLj2EEffffjfiS5_IjLj3EEiiiiiiiiiiiliiliiiiil ; -- Begin function _ZL18flash_attn_ext_f16ILi80ELi80ELi8ELi2ELb1ELb0EEvPKcS1_S1_S1_S1_PKiPfP15HIP_vector_typeIfLj2EEffffjfiS5_IjLj3EEiiiiiiiiiiiliiliiiiil
	.p2align	8
	.type	_ZL18flash_attn_ext_f16ILi80ELi80ELi8ELi2ELb1ELb0EEvPKcS1_S1_S1_S1_PKiPfP15HIP_vector_typeIfLj2EEffffjfiS5_IjLj3EEiiiiiiiiiiiliiliiiiil,@function
_ZL18flash_attn_ext_f16ILi80ELi80ELi8ELi2ELb1ELb0EEvPKcS1_S1_S1_S1_PKiPfP15HIP_vector_typeIfLj2EEffffjfiS5_IjLj3EEiiiiiiiiiiiliiliiiiil: ; @_ZL18flash_attn_ext_f16ILi80ELi80ELi8ELi2ELb1ELb0EEvPKcS1_S1_S1_S1_PKiPfP15HIP_vector_typeIfLj2EEffffjfiS5_IjLj3EEiiiiiiiiiiiliiliiiiil
; %bb.0:
	s_add_u32 flat_scratch_lo, s6, s9
	s_addc_u32 flat_scratch_hi, s7, 0
	s_add_u32 s0, s0, s9
	s_addc_u32 s1, s1, 0
	s_add_u32 s8, s4, 0xd0
	s_addc_u32 s9, s5, 0
	s_mov_b32 s32, 0
	s_getpc_b64 s[4:5]
	s_add_u32 s4, s4, _ZL14no_device_codePKciS0_iS0_@rel32@lo+4
	s_addc_u32 s5, s5, _ZL14no_device_codePKciS0_iS0_@rel32@hi+12
	s_swappc_b64 s[30:31], s[4:5]
	.section	.rodata,"a",@progbits
	.p2align	6, 0x0
	.amdhsa_kernel _ZL18flash_attn_ext_f16ILi80ELi80ELi8ELi2ELb1ELb0EEvPKcS1_S1_S1_S1_PKiPfP15HIP_vector_typeIfLj2EEffffjfiS5_IjLj3EEiiiiiiiiiiiliiliiiiil
		.amdhsa_group_segment_fixed_size 0
		.amdhsa_private_segment_fixed_size 16
		.amdhsa_kernarg_size 464
		.amdhsa_user_sgpr_count 8
		.amdhsa_user_sgpr_private_segment_buffer 1
		.amdhsa_user_sgpr_dispatch_ptr 0
		.amdhsa_user_sgpr_queue_ptr 0
		.amdhsa_user_sgpr_kernarg_segment_ptr 1
		.amdhsa_user_sgpr_dispatch_id 0
		.amdhsa_user_sgpr_flat_scratch_init 1
		.amdhsa_user_sgpr_kernarg_preload_length 0
		.amdhsa_user_sgpr_kernarg_preload_offset 0
		.amdhsa_user_sgpr_private_segment_size 0
		.amdhsa_uses_dynamic_stack 0
		.amdhsa_system_sgpr_private_segment_wavefront_offset 1
		.amdhsa_system_sgpr_workgroup_id_x 1
		.amdhsa_system_sgpr_workgroup_id_y 0
		.amdhsa_system_sgpr_workgroup_id_z 0
		.amdhsa_system_sgpr_workgroup_info 0
		.amdhsa_system_vgpr_workitem_id 0
		.amdhsa_next_free_vgpr 39
		.amdhsa_next_free_sgpr 34
		.amdhsa_accum_offset 40
		.amdhsa_reserve_vcc 1
		.amdhsa_reserve_flat_scratch 1
		.amdhsa_float_round_mode_32 0
		.amdhsa_float_round_mode_16_64 0
		.amdhsa_float_denorm_mode_32 3
		.amdhsa_float_denorm_mode_16_64 3
		.amdhsa_dx10_clamp 1
		.amdhsa_ieee_mode 1
		.amdhsa_fp16_overflow 0
		.amdhsa_tg_split 0
		.amdhsa_exception_fp_ieee_invalid_op 0
		.amdhsa_exception_fp_denorm_src 0
		.amdhsa_exception_fp_ieee_div_zero 0
		.amdhsa_exception_fp_ieee_overflow 0
		.amdhsa_exception_fp_ieee_underflow 0
		.amdhsa_exception_fp_ieee_inexact 0
		.amdhsa_exception_int_div_zero 0
	.end_amdhsa_kernel
	.section	.text._ZL18flash_attn_ext_f16ILi80ELi80ELi8ELi2ELb1ELb0EEvPKcS1_S1_S1_S1_PKiPfP15HIP_vector_typeIfLj2EEffffjfiS5_IjLj3EEiiiiiiiiiiiliiliiiiil,"axG",@progbits,_ZL18flash_attn_ext_f16ILi80ELi80ELi8ELi2ELb1ELb0EEvPKcS1_S1_S1_S1_PKiPfP15HIP_vector_typeIfLj2EEffffjfiS5_IjLj3EEiiiiiiiiiiiliiliiiiil,comdat
.Lfunc_end10:
	.size	_ZL18flash_attn_ext_f16ILi80ELi80ELi8ELi2ELb1ELb0EEvPKcS1_S1_S1_S1_PKiPfP15HIP_vector_typeIfLj2EEffffjfiS5_IjLj3EEiiiiiiiiiiiliiliiiiil, .Lfunc_end10-_ZL18flash_attn_ext_f16ILi80ELi80ELi8ELi2ELb1ELb0EEvPKcS1_S1_S1_S1_PKiPfP15HIP_vector_typeIfLj2EEffffjfiS5_IjLj3EEiiiiiiiiiiiliiliiiiil
                                        ; -- End function
	.section	.AMDGPU.csdata,"",@progbits
; Kernel info:
; codeLenInByte = 56
; NumSgprs: 40
; NumVgprs: 39
; NumAgprs: 0
; TotalNumVgprs: 39
; ScratchSize: 16
; MemoryBound: 0
; FloatMode: 240
; IeeeMode: 1
; LDSByteSize: 0 bytes/workgroup (compile time only)
; SGPRBlocks: 4
; VGPRBlocks: 4
; NumSGPRsForWavesPerEU: 40
; NumVGPRsForWavesPerEU: 39
; AccumOffset: 40
; Occupancy: 8
; WaveLimiterHint : 1
; COMPUTE_PGM_RSRC2:SCRATCH_EN: 1
; COMPUTE_PGM_RSRC2:USER_SGPR: 8
; COMPUTE_PGM_RSRC2:TRAP_HANDLER: 0
; COMPUTE_PGM_RSRC2:TGID_X_EN: 1
; COMPUTE_PGM_RSRC2:TGID_Y_EN: 0
; COMPUTE_PGM_RSRC2:TGID_Z_EN: 0
; COMPUTE_PGM_RSRC2:TIDIG_COMP_CNT: 0
; COMPUTE_PGM_RSRC3_GFX90A:ACCUM_OFFSET: 9
; COMPUTE_PGM_RSRC3_GFX90A:TG_SPLIT: 0
	.section	.text._ZL33flash_attn_stream_k_fixup_uniformILi80ELi8ELi2EEvPfPK15HIP_vector_typeIfLj2EEiiiiiiS1_IjLj3EES5_S5_,"axG",@progbits,_ZL33flash_attn_stream_k_fixup_uniformILi80ELi8ELi2EEvPfPK15HIP_vector_typeIfLj2EEiiiiiiS1_IjLj3EES5_S5_,comdat
	.globl	_ZL33flash_attn_stream_k_fixup_uniformILi80ELi8ELi2EEvPfPK15HIP_vector_typeIfLj2EEiiiiiiS1_IjLj3EES5_S5_ ; -- Begin function _ZL33flash_attn_stream_k_fixup_uniformILi80ELi8ELi2EEvPfPK15HIP_vector_typeIfLj2EEiiiiiiS1_IjLj3EES5_S5_
	.p2align	8
	.type	_ZL33flash_attn_stream_k_fixup_uniformILi80ELi8ELi2EEvPfPK15HIP_vector_typeIfLj2EEiiiiiiS1_IjLj3EES5_S5_,@function
_ZL33flash_attn_stream_k_fixup_uniformILi80ELi8ELi2EEvPfPK15HIP_vector_typeIfLj2EEiiiiiiS1_IjLj3EES5_S5_: ; @_ZL33flash_attn_stream_k_fixup_uniformILi80ELi8ELi2EEvPfPK15HIP_vector_typeIfLj2EEiiiiiiS1_IjLj3EES5_S5_
; %bb.0:
	s_load_dwordx8 s[12:19], s[4:5], 0x1c
	s_load_dwordx2 s[10:11], s[4:5], 0x10
	s_load_dwordx4 s[0:3], s[4:5], 0x3c
	s_waitcnt lgkmcnt(0)
	s_mul_hi_u32 s9, s15, s6
	s_add_i32 s9, s6, s9
	s_lshr_b32 s9, s9, s16
	s_mul_i32 s15, s9, s17
	s_sub_i32 s16, s6, s15
	s_mul_hi_u32 s15, s16, s18
	s_add_i32 s15, s16, s15
	s_lshr_b32 s15, s15, s19
	s_mul_i32 s0, s15, s0
	s_sub_i32 s0, s16, s0
	;; [unrolled: 5-line block ×3, first 2 shown]
	s_lshl_b32 s0, s16, 3
	s_lshl_b32 s17, s1, 1
	s_add_i32 s0, s0, s7
	s_cmp_lt_i32 s0, s10
	s_cselect_b64 s[0:1], -1, 0
	s_add_i32 s17, s17, s8
	s_cmp_lt_i32 s17, s13
	s_cselect_b64 s[2:3], -1, 0
	s_and_b64 s[0:1], s[0:1], s[2:3]
	s_andn2_b64 vcc, exec, s[0:1]
	s_cbranch_vccnz .LBB11_6
; %bb.1:
	s_load_dwordx4 s[0:3], s[4:5], 0x0
	s_mul_i32 s4, s9, s10
	s_mul_i32 s15, s15, s13
	s_add_i32 s4, s4, s7
	s_mul_i32 s4, s4, s11
	s_add_i32 s9, s17, s15
	;; [unrolled: 2-line block ×3, first 2 shown]
	s_mulk_i32 s5, 0x280
	s_mulk_i32 s4, 0x50
	s_add_i32 s4, s4, s5
	v_add_u32_e32 v2, s4, v0
	v_ashrrev_i32_e32 v3, 31, v2
	v_lshlrev_b64 v[2:3], 2, v[2:3]
	s_waitcnt lgkmcnt(0)
	v_mov_b32_e32 v1, s1
	v_add_co_u32_e32 v2, vcc, s0, v2
	v_addc_co_u32_e32 v3, vcc, v1, v3, vcc
	global_load_dword v8, v[2:3], off
	s_mul_i32 s9, s6, s14
	s_lshl_b32 s4, s7, 1
	s_add_i32 s11, s9, s14
	s_add_i32 s0, s4, s8
	s_lshl_b32 s1, s11, 4
	s_add_i32 s0, s0, s1
	s_add_i32 s0, s0, -16
	s_ashr_i32 s1, s0, 31
	s_lshl_b64 s[0:1], s[0:1], 3
	s_add_u32 s0, s2, s0
	s_addc_u32 s1, s3, s1
	s_load_dword s5, s[0:1], 0x4
	s_add_i32 s10, s11, -2
	s_cmp_lt_i32 s10, s9
	s_cbranch_scc1 .LBB11_4
; %bb.2:
	s_lshl_b32 s16, s12, 6
	s_ashr_i32 s17, s16, 31
	s_lshl_b64 s[16:17], s[16:17], 2
	s_add_u32 s10, s2, s16
	s_addc_u32 s13, s3, s17
	s_add_i32 s6, s6, 1
	s_load_dword s0, s[0:1], 0x0
	s_mul_i32 s1, s14, s6
	s_lshl_b32 s6, s1, 4
	s_add_i32 s6, s8, s6
	s_lshl_b32 s12, s12, 4
	s_add_i32 s6, s6, s12
	s_add_i32 s6, s6, s4
	s_sub_i32 s4, s6, 32
	s_mulk_i32 s7, 0xa0
	s_mul_i32 s6, s8, 0x50
	s_mulk_i32 s1, 0x500
	s_add_i32 s6, s6, s7
	s_add_i32 s6, s6, s1
	v_add_u32_e32 v0, s6, v0
	s_add_i32 s11, s11, -1
	v_add_u32_e32 v0, 0xfffff600, v0
	s_waitcnt lgkmcnt(0)
	v_mov_b32_e32 v7, s5
	v_mov_b32_e32 v6, s0
	v_mov_b32_e32 v4, s13
	s_mov_b32 s6, 0x3fb8aa3b
	s_mov_b32 s7, 0xc2ce8ed0
	;; [unrolled: 1-line block ×3, first 2 shown]
	v_mov_b32_e32 v5, 0x7f800000
	s_mov_b32 s12, 0xc1a00000
.LBB11_3:                               ; =>This Inner Loop Header: Depth=1
	v_ashrrev_i32_e32 v1, 31, v0
	v_lshlrev_b64 v[10:11], 2, v[0:1]
	v_add_co_u32_e32 v10, vcc, s10, v10
	v_addc_co_u32_e32 v11, vcc, v4, v11, vcc
	global_load_dword v1, v[10:11], off
	s_ashr_i32 s5, s4, 31
	s_lshl_b64 s[0:1], s[4:5], 3
	s_add_u32 s0, s2, s0
	s_addc_u32 s1, s3, s1
	s_load_dwordx2 s[14:15], s[0:1], 0x0
	s_waitcnt vmcnt(1)
	v_mov_b32_e32 v9, v8
	v_max_f32_e32 v8, v6, v6
	v_mov_b32_e32 v10, v7
	s_add_i32 s11, s11, -1
	s_waitcnt lgkmcnt(0)
	v_max_f32_e64 v7, s14, s14
	v_max_f32_e32 v7, v8, v7
	v_sub_f32_e32 v11, s14, v7
	v_sub_f32_e32 v8, v6, v7
	v_mul_f32_e32 v12, 0x3fb8aa3b, v11
	v_mov_b32_e32 v6, v7
	v_mul_f32_e32 v7, 0x3fb8aa3b, v8
	v_fma_f32 v15, v11, s6, -v12
	v_rndne_f32_e32 v16, v12
	v_fma_f32 v13, v8, s6, -v7
	v_rndne_f32_e32 v14, v7
	v_fmac_f32_e32 v15, 0x32a5705f, v11
	v_sub_f32_e32 v12, v12, v16
	v_fmac_f32_e32 v13, 0x32a5705f, v8
	v_sub_f32_e32 v7, v7, v14
	v_add_f32_e32 v12, v12, v15
	v_cvt_i32_f32_e32 v16, v16
	v_add_f32_e32 v7, v7, v13
	v_exp_f32_e32 v12, v12
	v_cvt_i32_f32_e32 v14, v14
	v_exp_f32_e32 v7, v7
	v_cmp_ngt_f32_e32 vcc, s7, v11
	v_ldexp_f32 v12, v12, v16
	v_cmp_ngt_f32_e64 s[0:1], s7, v8
	v_ldexp_f32 v7, v7, v14
	v_cndmask_b32_e32 v12, 0, v12, vcc
	v_cmp_nlt_f32_e32 vcc, s8, v11
	v_cndmask_b32_e64 v7, 0, v7, s[0:1]
	v_cmp_nlt_f32_e64 s[0:1], s8, v8
	v_cndmask_b32_e32 v12, v5, v12, vcc
	v_cmp_le_f32_e32 vcc, s12, v11
	v_cndmask_b32_e64 v7, v5, v7, s[0:1]
	v_cmp_le_f32_e64 s[0:1], s12, v8
	v_cndmask_b32_e32 v8, 0, v12, vcc
	s_add_i32 s4, s4, -16
	v_cndmask_b32_e64 v11, 0, v7, s[0:1]
	v_mul_f32_e32 v7, s15, v8
	v_add_u32_e32 v0, 0xfffffb00, v0
	s_cmp_le_i32 s11, s9
	v_fmac_f32_e32 v7, v10, v11
	s_waitcnt vmcnt(0)
	v_mul_f32_e32 v8, v1, v8
	v_fmac_f32_e32 v8, v9, v11
	s_cbranch_scc0 .LBB11_3
	s_branch .LBB11_5
.LBB11_4:
	s_waitcnt lgkmcnt(0)
	v_mov_b32_e32 v7, s5
.LBB11_5:
	s_waitcnt vmcnt(0)
	v_div_scale_f32 v0, s[0:1], v7, v7, v8
	v_rcp_f32_e32 v1, v0
	v_div_scale_f32 v4, vcc, v8, v7, v8
	v_fma_f32 v5, -v0, v1, 1.0
	v_fmac_f32_e32 v1, v5, v1
	v_mul_f32_e32 v5, v4, v1
	v_fma_f32 v6, -v0, v5, v4
	v_fmac_f32_e32 v5, v6, v1
	v_fma_f32 v0, -v0, v5, v4
	v_div_fmas_f32 v0, v0, v1, v5
	v_div_fixup_f32 v0, v0, v7, v8
	global_store_dword v[2:3], v0, off
.LBB11_6:
	s_endpgm
	.section	.rodata,"a",@progbits
	.p2align	6, 0x0
	.amdhsa_kernel _ZL33flash_attn_stream_k_fixup_uniformILi80ELi8ELi2EEvPfPK15HIP_vector_typeIfLj2EEiiiiiiS1_IjLj3EES5_S5_
		.amdhsa_group_segment_fixed_size 0
		.amdhsa_private_segment_fixed_size 0
		.amdhsa_kernarg_size 76
		.amdhsa_user_sgpr_count 6
		.amdhsa_user_sgpr_private_segment_buffer 1
		.amdhsa_user_sgpr_dispatch_ptr 0
		.amdhsa_user_sgpr_queue_ptr 0
		.amdhsa_user_sgpr_kernarg_segment_ptr 1
		.amdhsa_user_sgpr_dispatch_id 0
		.amdhsa_user_sgpr_flat_scratch_init 0
		.amdhsa_user_sgpr_kernarg_preload_length 0
		.amdhsa_user_sgpr_kernarg_preload_offset 0
		.amdhsa_user_sgpr_private_segment_size 0
		.amdhsa_uses_dynamic_stack 0
		.amdhsa_system_sgpr_private_segment_wavefront_offset 0
		.amdhsa_system_sgpr_workgroup_id_x 1
		.amdhsa_system_sgpr_workgroup_id_y 1
		.amdhsa_system_sgpr_workgroup_id_z 1
		.amdhsa_system_sgpr_workgroup_info 0
		.amdhsa_system_vgpr_workitem_id 0
		.amdhsa_next_free_vgpr 17
		.amdhsa_next_free_sgpr 20
		.amdhsa_accum_offset 20
		.amdhsa_reserve_vcc 1
		.amdhsa_reserve_flat_scratch 0
		.amdhsa_float_round_mode_32 0
		.amdhsa_float_round_mode_16_64 0
		.amdhsa_float_denorm_mode_32 3
		.amdhsa_float_denorm_mode_16_64 3
		.amdhsa_dx10_clamp 1
		.amdhsa_ieee_mode 1
		.amdhsa_fp16_overflow 0
		.amdhsa_tg_split 0
		.amdhsa_exception_fp_ieee_invalid_op 0
		.amdhsa_exception_fp_denorm_src 0
		.amdhsa_exception_fp_ieee_div_zero 0
		.amdhsa_exception_fp_ieee_overflow 0
		.amdhsa_exception_fp_ieee_underflow 0
		.amdhsa_exception_fp_ieee_inexact 0
		.amdhsa_exception_int_div_zero 0
	.end_amdhsa_kernel
	.section	.text._ZL33flash_attn_stream_k_fixup_uniformILi80ELi8ELi2EEvPfPK15HIP_vector_typeIfLj2EEiiiiiiS1_IjLj3EES5_S5_,"axG",@progbits,_ZL33flash_attn_stream_k_fixup_uniformILi80ELi8ELi2EEvPfPK15HIP_vector_typeIfLj2EEiiiiiiS1_IjLj3EES5_S5_,comdat
.Lfunc_end11:
	.size	_ZL33flash_attn_stream_k_fixup_uniformILi80ELi8ELi2EEvPfPK15HIP_vector_typeIfLj2EEiiiiiiS1_IjLj3EES5_S5_, .Lfunc_end11-_ZL33flash_attn_stream_k_fixup_uniformILi80ELi8ELi2EEvPfPK15HIP_vector_typeIfLj2EEiiiiiiS1_IjLj3EES5_S5_
                                        ; -- End function
	.section	.AMDGPU.csdata,"",@progbits
; Kernel info:
; codeLenInByte = 856
; NumSgprs: 24
; NumVgprs: 17
; NumAgprs: 0
; TotalNumVgprs: 17
; ScratchSize: 0
; MemoryBound: 0
; FloatMode: 240
; IeeeMode: 1
; LDSByteSize: 0 bytes/workgroup (compile time only)
; SGPRBlocks: 2
; VGPRBlocks: 2
; NumSGPRsForWavesPerEU: 24
; NumVGPRsForWavesPerEU: 17
; AccumOffset: 20
; Occupancy: 8
; WaveLimiterHint : 0
; COMPUTE_PGM_RSRC2:SCRATCH_EN: 0
; COMPUTE_PGM_RSRC2:USER_SGPR: 6
; COMPUTE_PGM_RSRC2:TRAP_HANDLER: 0
; COMPUTE_PGM_RSRC2:TGID_X_EN: 1
; COMPUTE_PGM_RSRC2:TGID_Y_EN: 1
; COMPUTE_PGM_RSRC2:TGID_Z_EN: 1
; COMPUTE_PGM_RSRC2:TIDIG_COMP_CNT: 0
; COMPUTE_PGM_RSRC3_GFX90A:ACCUM_OFFSET: 4
; COMPUTE_PGM_RSRC3_GFX90A:TG_SPLIT: 0
	.section	.text._ZL33flash_attn_stream_k_fixup_generalILi80ELi8ELi2EEvPfPK15HIP_vector_typeIfLj2EEiiiiS1_IjLj3EES5_S5_S5_,"axG",@progbits,_ZL33flash_attn_stream_k_fixup_generalILi80ELi8ELi2EEvPfPK15HIP_vector_typeIfLj2EEiiiiS1_IjLj3EES5_S5_S5_,comdat
	.globl	_ZL33flash_attn_stream_k_fixup_generalILi80ELi8ELi2EEvPfPK15HIP_vector_typeIfLj2EEiiiiS1_IjLj3EES5_S5_S5_ ; -- Begin function _ZL33flash_attn_stream_k_fixup_generalILi80ELi8ELi2EEvPfPK15HIP_vector_typeIfLj2EEiiiiS1_IjLj3EES5_S5_S5_
	.p2align	8
	.type	_ZL33flash_attn_stream_k_fixup_generalILi80ELi8ELi2EEvPfPK15HIP_vector_typeIfLj2EEiiiiS1_IjLj3EES5_S5_S5_,@function
_ZL33flash_attn_stream_k_fixup_generalILi80ELi8ELi2EEvPfPK15HIP_vector_typeIfLj2EEiiiiS1_IjLj3EES5_S5_S5_: ; @_ZL33flash_attn_stream_k_fixup_generalILi80ELi8ELi2EEvPfPK15HIP_vector_typeIfLj2EEiiiiS1_IjLj3EES5_S5_S5_
; %bb.0:
	s_load_dwordx4 s[12:15], s[4:5], 0x10
	s_load_dword s9, s[4:5], 0x50
	s_mov_b32 s2, 0
	s_waitcnt lgkmcnt(0)
	s_mul_hi_i32 s3, s15, s6
	s_cmp_lg_u64 s[2:3], 0
	s_mul_i32 s2, s15, s6
	s_cbranch_scc0 .LBB12_21
; %bb.1:
	v_cvt_f32_u32_e32 v1, s9
	v_cvt_f32_ubyte0_e32 v2, 0
	s_sub_u32 s10, 0, s9
	s_subb_u32 s11, 0, 0
	v_madmk_f32 v1, v2, 0x4f800000, v1
	v_rcp_f32_e32 v1, v1
	v_mul_f32_e32 v1, 0x5f7ffffc, v1
	v_mul_f32_e32 v2, 0x2f800000, v1
	v_trunc_f32_e32 v2, v2
	v_madmk_f32 v1, v2, 0xcf800000, v1
	v_cvt_u32_f32_e32 v2, v2
	v_cvt_u32_f32_e32 v1, v1
	v_readfirstlane_b32 s16, v2
	v_readfirstlane_b32 s17, v1
	s_mul_i32 s18, s10, s16
	s_mul_hi_u32 s20, s10, s17
	s_mul_i32 s19, s11, s17
	s_add_i32 s18, s20, s18
	s_add_i32 s18, s18, s19
	s_mul_i32 s21, s10, s17
	s_mul_hi_u32 s19, s17, s18
	s_mul_i32 s20, s17, s18
	s_mul_hi_u32 s17, s17, s21
	s_add_u32 s17, s17, s20
	s_addc_u32 s19, 0, s19
	s_mul_hi_u32 s22, s16, s21
	s_mul_i32 s21, s16, s21
	s_add_u32 s17, s17, s21
	s_mul_hi_u32 s20, s16, s18
	s_addc_u32 s17, s19, s22
	s_addc_u32 s19, s20, 0
	s_mul_i32 s18, s16, s18
	s_add_u32 s17, s17, s18
	s_addc_u32 s18, 0, s19
	v_add_co_u32_e32 v1, vcc, s17, v1
	s_cmp_lg_u64 vcc, 0
	s_addc_u32 s16, s16, s18
	v_readfirstlane_b32 s18, v1
	s_mul_i32 s17, s10, s16
	s_mul_hi_u32 s19, s10, s18
	s_add_i32 s17, s19, s17
	s_mul_i32 s11, s11, s18
	s_add_i32 s17, s17, s11
	s_mul_i32 s10, s10, s18
	s_mul_hi_u32 s19, s16, s10
	s_mul_i32 s20, s16, s10
	s_mul_i32 s22, s18, s17
	s_mul_hi_u32 s10, s18, s10
	s_mul_hi_u32 s21, s18, s17
	s_add_u32 s10, s10, s22
	s_addc_u32 s18, 0, s21
	s_add_u32 s10, s10, s20
	s_mul_hi_u32 s11, s16, s17
	s_addc_u32 s10, s18, s19
	s_addc_u32 s11, s11, 0
	s_mul_i32 s17, s16, s17
	s_add_u32 s10, s10, s17
	s_addc_u32 s11, 0, s11
	v_add_co_u32_e32 v1, vcc, s10, v1
	s_cmp_lg_u64 vcc, 0
	s_addc_u32 s18, s16, s11
	s_ashr_i32 s10, s3, 31
	s_add_u32 s16, s2, s10
	s_mov_b32 s11, s10
	s_addc_u32 s17, s3, s10
	s_xor_b64 s[16:17], s[16:17], s[10:11]
	v_readfirstlane_b32 s20, v1
	s_mul_i32 s19, s16, s18
	s_mul_hi_u32 s21, s16, s20
	s_mul_hi_u32 s3, s16, s18
	s_add_u32 s19, s21, s19
	s_addc_u32 s3, 0, s3
	s_mul_hi_u32 s22, s17, s20
	s_mul_i32 s20, s17, s20
	s_add_u32 s19, s19, s20
	s_mul_hi_u32 s21, s17, s18
	s_addc_u32 s3, s3, s22
	s_addc_u32 s19, s21, 0
	s_mul_i32 s18, s17, s18
	s_add_u32 s3, s3, s18
	s_addc_u32 s18, 0, s19
	s_add_u32 s19, s3, 1
	s_addc_u32 s20, s18, 0
	s_add_u32 s21, s3, 2
	s_mul_i32 s23, s9, s18
	s_mul_hi_u32 s24, s9, s3
	s_addc_u32 s22, s18, 0
	s_add_i32 s24, s24, s23
	s_mul_i32 s23, s9, s3
	v_mov_b32_e32 v1, s23
	v_sub_co_u32_e32 v1, vcc, s16, v1
	s_cmp_lg_u64 vcc, 0
	s_subb_u32 s16, s17, s24
	v_subrev_co_u32_e32 v2, vcc, s9, v1
	s_cmp_lg_u64 vcc, 0
	s_subb_u32 s17, s16, 0
	v_readfirstlane_b32 s23, v2
	s_cmp_ge_u32 s23, s9
	s_cselect_b32 s23, -1, 0
	s_cmp_eq_u32 s17, 0
	s_cselect_b32 s17, s23, -1
	s_cmp_lg_u32 s17, 0
	s_cselect_b32 s17, s22, s20
	v_readfirstlane_b32 s20, v1
	s_cselect_b32 s19, s21, s19
	s_cmp_ge_u32 s20, s9
	s_cselect_b32 s20, -1, 0
	s_cmp_eq_u32 s16, 0
	s_cselect_b32 s16, s20, -1
	s_cmp_lg_u32 s16, 0
	s_cselect_b32 s17, s17, s18
	s_cselect_b32 s16, s19, s3
	s_xor_b64 s[16:17], s[16:17], s[10:11]
	s_sub_u32 s20, s16, s10
	s_load_dwordx4 s[16:19], s[4:5], 0x44
	s_cbranch_execnz .LBB12_3
.LBB12_2:
	v_cvt_f32_u32_e32 v1, s9
	s_sub_i32 s0, 0, s9
	v_rcp_iflag_f32_e32 v1, v1
	v_mul_f32_e32 v1, 0x4f7ffffe, v1
	v_cvt_u32_f32_e32 v1, v1
	v_readfirstlane_b32 s1, v1
	s_mul_i32 s0, s0, s1
	s_mul_hi_u32 s0, s1, s0
	s_add_i32 s1, s1, s0
	s_mul_hi_u32 s0, s2, s1
	s_mul_i32 s3, s0, s9
	s_sub_i32 s2, s2, s3
	s_add_i32 s1, s0, 1
	s_sub_i32 s3, s2, s9
	s_cmp_ge_u32 s2, s9
	s_cselect_b32 s0, s1, s0
	s_cselect_b32 s2, s3, s2
	s_add_i32 s1, s0, 1
	s_cmp_ge_u32 s2, s9
	s_cselect_b32 s20, s1, s0
.LBB12_3:
	s_add_i32 s0, s6, 1
	s_mul_hi_i32 s3, s15, s0
	s_mov_b32 s2, 0
	s_cmp_lg_u64 s[2:3], 0
	s_mul_i32 s2, s15, s0
	s_cbranch_scc0 .LBB12_22
; %bb.4:
	v_cvt_f32_u32_e32 v1, s9
	v_cvt_f32_ubyte0_e32 v2, 0
	s_sub_u32 s10, 0, s9
	s_subb_u32 s11, 0, 0
	v_madmk_f32 v1, v2, 0x4f800000, v1
	v_rcp_f32_e32 v1, v1
	v_mul_f32_e32 v1, 0x5f7ffffc, v1
	v_mul_f32_e32 v2, 0x2f800000, v1
	v_trunc_f32_e32 v2, v2
	v_madmk_f32 v1, v2, 0xcf800000, v1
	v_cvt_u32_f32_e32 v2, v2
	v_cvt_u32_f32_e32 v1, v1
	s_waitcnt lgkmcnt(0)
	v_readfirstlane_b32 s19, v2
	v_readfirstlane_b32 s21, v1
	s_mul_i32 s22, s10, s19
	s_mul_hi_u32 s24, s10, s21
	s_mul_i32 s23, s11, s21
	s_add_i32 s22, s24, s22
	s_add_i32 s22, s22, s23
	s_mul_i32 s25, s10, s21
	s_mul_hi_u32 s23, s21, s22
	s_mul_i32 s24, s21, s22
	s_mul_hi_u32 s21, s21, s25
	s_add_u32 s21, s21, s24
	s_addc_u32 s23, 0, s23
	s_mul_hi_u32 s26, s19, s25
	s_mul_i32 s25, s19, s25
	s_add_u32 s21, s21, s25
	s_mul_hi_u32 s24, s19, s22
	s_addc_u32 s21, s23, s26
	s_addc_u32 s23, s24, 0
	s_mul_i32 s22, s19, s22
	s_add_u32 s21, s21, s22
	s_addc_u32 s22, 0, s23
	v_add_co_u32_e32 v1, vcc, s21, v1
	s_cmp_lg_u64 vcc, 0
	s_addc_u32 s19, s19, s22
	v_readfirstlane_b32 s22, v1
	s_mul_i32 s21, s10, s19
	s_mul_hi_u32 s23, s10, s22
	s_add_i32 s21, s23, s21
	s_mul_i32 s11, s11, s22
	s_add_i32 s21, s21, s11
	s_mul_i32 s10, s10, s22
	s_mul_hi_u32 s23, s19, s10
	s_mul_i32 s24, s19, s10
	s_mul_i32 s26, s22, s21
	s_mul_hi_u32 s10, s22, s10
	s_mul_hi_u32 s25, s22, s21
	s_add_u32 s10, s10, s26
	s_addc_u32 s22, 0, s25
	s_add_u32 s10, s10, s24
	s_mul_hi_u32 s11, s19, s21
	s_addc_u32 s10, s22, s23
	s_addc_u32 s11, s11, 0
	s_mul_i32 s21, s19, s21
	s_add_u32 s10, s10, s21
	s_addc_u32 s11, 0, s11
	v_add_co_u32_e32 v1, vcc, s10, v1
	s_cmp_lg_u64 vcc, 0
	s_addc_u32 s19, s19, s11
	s_ashr_i32 s10, s3, 31
	s_add_u32 s22, s2, s10
	s_mov_b32 s11, s10
	s_addc_u32 s23, s3, s10
	s_xor_b64 s[22:23], s[22:23], s[10:11]
	v_readfirstlane_b32 s21, v1
	s_mul_i32 s11, s22, s19
	s_mul_hi_u32 s24, s22, s21
	s_mul_hi_u32 s3, s22, s19
	s_add_u32 s11, s24, s11
	s_addc_u32 s3, 0, s3
	s_mul_hi_u32 s25, s23, s21
	s_mul_i32 s21, s23, s21
	s_add_u32 s11, s11, s21
	s_mul_hi_u32 s24, s23, s19
	s_addc_u32 s3, s3, s25
	s_addc_u32 s11, s24, 0
	s_mul_i32 s19, s23, s19
	s_add_u32 s3, s3, s19
	s_addc_u32 s11, 0, s11
	s_mul_i32 s11, s9, s11
	s_mul_hi_u32 s24, s9, s3
	s_add_i32 s24, s24, s11
	s_mul_i32 s11, s9, s3
	v_mov_b32_e32 v1, s11
	s_add_u32 s19, s3, 1
	s_add_u32 s21, s3, 2
	v_sub_co_u32_e32 v1, vcc, s22, v1
	s_cmp_lg_u64 vcc, 0
	s_subb_u32 s11, s23, s24
	v_subrev_co_u32_e32 v2, vcc, s9, v1
	s_cmp_lg_u64 vcc, 0
	s_subb_u32 s22, s11, 0
	v_cmp_le_u32_e32 vcc, s9, v2
	s_cmp_eq_u32 s22, 0
	v_cndmask_b32_e64 v2, 0, -1, vcc
	s_cselect_b64 vcc, -1, 0
	v_cndmask_b32_e32 v2, -1, v2, vcc
	v_mov_b32_e32 v3, s19
	v_mov_b32_e32 v4, s21
	v_cmp_ne_u32_e32 vcc, 0, v2
	v_cndmask_b32_e32 v2, v3, v4, vcc
	v_cmp_le_u32_e32 vcc, s9, v1
	s_cmp_eq_u32 s11, 0
	v_cndmask_b32_e64 v1, 0, -1, vcc
	s_cselect_b64 vcc, -1, 0
	v_cndmask_b32_e32 v1, -1, v1, vcc
	v_mov_b32_e32 v3, s3
	v_cmp_ne_u32_e32 vcc, 0, v1
	v_cndmask_b32_e32 v1, v3, v2, vcc
	v_xor_b32_e32 v1, s10, v1
	v_subrev_co_u32_e32 v2, vcc, s10, v1
	s_cbranch_execnz .LBB12_6
.LBB12_5:
	v_cvt_f32_u32_e32 v1, s9
	s_sub_i32 s0, 0, s9
	s_mov_b32 s1, 0
	v_rcp_iflag_f32_e32 v1, v1
	v_mul_f32_e32 v1, 0x4f7ffffe, v1
	v_cvt_u32_f32_e32 v1, v1
	v_readfirstlane_b32 s3, v1
	s_mul_i32 s0, s0, s3
	s_mul_hi_u32 s0, s3, s0
	s_add_i32 s3, s3, s0
	s_mul_hi_u32 s0, s2, s3
	s_mul_i32 s10, s0, s9
	s_sub_i32 s2, s2, s10
	s_add_i32 s3, s0, 1
	s_sub_i32 s10, s2, s9
	s_cmp_ge_u32 s2, s9
	s_cselect_b32 s0, s3, s0
	s_cselect_b32 s2, s10, s2
	s_add_i32 s3, s0, 1
	s_cmp_ge_u32 s2, s9
	s_cselect_b32 s0, s3, s0
	v_pk_mov_b32 v[2:3], s[0:1], s[0:1] op_sel:[0,1]
.LBB12_6:
	s_waitcnt lgkmcnt(0)
	s_mul_hi_u32 s0, s20, s16
	s_add_i32 s0, s0, s20
	v_mul_hi_u32 v1, v2, s16
	s_lshr_b32 s19, s0, s17
	v_add_u32_e32 v1, v1, v2
	s_mul_i32 s0, s19, s18
	v_lshrrev_b32_e32 v1, s17, v1
	s_cmp_eq_u32 s0, s20
	v_cmp_eq_u32_e64 s[0:1], s19, v1
	v_mul_lo_u32 v1, v1, s18
	v_cmp_eq_u32_e32 vcc, s20, v2
	s_cselect_b64 s[10:11], -1, 0
	v_cmp_ne_u32_e64 s[2:3], v1, v2
	s_and_b64 s[0:1], s[0:1], s[2:3]
	s_or_b64 s[2:3], vcc, s[10:11]
	s_or_b64 s[0:1], s[2:3], s[0:1]
	s_and_b64 vcc, exec, s[0:1]
	s_cbranch_vccnz .LBB12_24
; %bb.7:
	s_load_dwordx8 s[24:31], s[4:5], 0x20
	s_load_dword s0, s[4:5], 0x40
	s_mov_b32 s10, 0
	s_waitcnt lgkmcnt(0)
	s_mul_hi_u32 s1, s20, s24
	s_add_i32 s1, s1, s20
	s_lshr_b32 s11, s1, s25
	s_mul_i32 s1, s11, s26
	s_sub_i32 s1, s20, s1
	s_mul_hi_u32 s2, s1, s27
	s_add_i32 s2, s1, s2
	s_lshr_b32 s23, s2, s28
	s_mul_i32 s2, s23, s29
	s_sub_i32 s1, s1, s2
	;; [unrolled: 5-line block ×3, first 2 shown]
	s_mul_hi_u32 s1, s0, s16
	s_add_i32 s0, s0, s1
	s_lshr_b32 s24, s0, s17
	s_lshl_b32 s0, s24, 3
	s_lshl_b32 s25, s2, 1
	s_add_i32 s0, s0, s7
	s_cmp_lt_i32 s0, s12
	s_cselect_b64 s[0:1], -1, 0
	s_add_i32 s25, s25, s8
	s_cmp_lt_i32 s25, s14
	s_cselect_b64 s[2:3], -1, 0
	s_and_b64 s[0:1], s[0:1], s[2:3]
	s_andn2_b64 vcc, exec, s[0:1]
	s_cbranch_vccnz .LBB12_24
; %bb.8:
	s_load_dwordx4 s[0:3], s[4:5], 0x0
	s_lshl_b32 s4, s7, 1
	s_add_i32 s8, s4, s8
	s_lshl_b32 s4, s9, 6
	s_mov_b32 s5, s10
	s_lshl_b64 s[4:5], s[4:5], 2
	s_waitcnt lgkmcnt(0)
	s_add_u32 s21, s2, s4
	s_mul_i32 s4, s11, s12
	s_addc_u32 s22, s3, s5
	s_mul_i32 s23, s23, s14
	s_add_i32 s4, s4, s7
	s_mul_i32 s4, s4, s13
	s_add_i32 s7, s25, s23
	;; [unrolled: 2-line block ×3, first 2 shown]
	s_mulk_i32 s5, 0x280
	s_mulk_i32 s4, 0x50
	s_add_i32 s5, s5, s4
	v_add_u32_e32 v2, s5, v0
	v_ashrrev_i32_e32 v3, 31, v2
	v_lshlrev_b64 v[2:3], 2, v[2:3]
	v_mov_b32_e32 v1, s1
	v_add_co_u32_e32 v2, vcc, s0, v2
	v_addc_co_u32_e32 v3, vcc, v1, v3, vcc
	global_load_dword v5, v[2:3], off
	s_mul_i32 s4, s8, 0x50
	v_add_u32_e32 v4, s4, v0
	v_cvt_f32_u32_e32 v0, s9
	v_cvt_f32_ubyte0_e32 v1, 0
	s_lshl_b32 s0, s6, 4
	s_add_i32 s0, s8, s0
	v_mac_f32_e32 v0, 0x4f800000, v1
	v_rcp_f32_e32 v0, v0
	v_cvt_f32_u32_e32 v1, s9
	s_ashr_i32 s1, s0, 31
	s_lshl_b64 s[0:1], s[0:1], 3
	v_mul_f32_e32 v0, 0x5f7ffffc, v0
	v_rcp_iflag_f32_e32 v1, v1
	s_add_u32 s0, s2, s0
	v_mul_f32_e32 v9, 0x2f800000, v0
	s_addc_u32 s1, s3, s1
	v_trunc_f32_e32 v10, v9
	s_load_dwordx2 s[0:1], s[0:1], 0x0
	v_mac_f32_e32 v0, 0xcf800000, v10
	v_cvt_u32_f32_e32 v9, v0
	v_mul_f32_e32 v0, 0x4f7ffffe, v1
	v_cvt_u32_f32_e32 v10, v10
	v_cvt_u32_f32_e32 v11, v0
	s_add_i32 s12, s6, -1
	s_waitcnt lgkmcnt(0)
	v_mov_b32_e32 v6, s1
	v_mov_b32_e32 v7, s0
	;; [unrolled: 1-line block ×3, first 2 shown]
	s_mov_b32 s6, 0x3fb8aa3b
	s_mov_b32 s7, 0xc2ce8ed0
	;; [unrolled: 1-line block ×4, first 2 shown]
	v_mov_b32_e32 v12, 0x7f800000
	s_mul_hi_i32 s11, s12, s15
	s_cmp_lg_u64 s[10:11], 0
	s_mul_i32 s4, s12, s15
	s_cbranch_scc0 .LBB12_15
.LBB12_9:
	s_sub_u32 s0, 0, s9
	v_readfirstlane_b32 s5, v9
	v_readfirstlane_b32 s24, v10
	s_subb_u32 s1, 0, 0
	s_mul_hi_u32 s23, s0, s5
	s_mul_i32 s25, s0, s24
	s_mul_i32 s20, s1, s5
	s_add_i32 s23, s23, s25
	s_add_i32 s23, s23, s20
	s_mul_i32 s26, s0, s5
	s_mul_hi_u32 s20, s5, s23
	s_mul_i32 s25, s5, s23
	s_mul_hi_u32 s5, s5, s26
	s_add_u32 s5, s5, s25
	s_addc_u32 s20, 0, s20
	s_mul_hi_u32 s27, s24, s26
	s_mul_i32 s26, s24, s26
	s_add_u32 s5, s5, s26
	s_mul_hi_u32 s25, s24, s23
	s_addc_u32 s5, s20, s27
	s_addc_u32 s20, s25, 0
	s_mul_i32 s23, s24, s23
	s_add_u32 s5, s5, s23
	s_addc_u32 s20, 0, s20
	v_add_co_u32_e32 v0, vcc, s5, v9
	s_cmp_lg_u64 vcc, 0
	s_addc_u32 s5, s24, s20
	v_readfirstlane_b32 s23, v0
	s_mul_i32 s20, s0, s5
	s_mul_hi_u32 s24, s0, s23
	s_add_i32 s20, s24, s20
	s_mul_i32 s1, s1, s23
	s_add_i32 s20, s20, s1
	s_mul_i32 s0, s0, s23
	s_mul_hi_u32 s24, s5, s0
	s_mul_i32 s25, s5, s0
	s_mul_i32 s27, s23, s20
	s_mul_hi_u32 s0, s23, s0
	s_mul_hi_u32 s26, s23, s20
	s_add_u32 s0, s0, s27
	s_addc_u32 s23, 0, s26
	s_add_u32 s0, s0, s25
	s_mul_hi_u32 s1, s5, s20
	s_addc_u32 s0, s23, s24
	s_addc_u32 s1, s1, 0
	s_mul_i32 s20, s5, s20
	s_add_u32 s0, s0, s20
	s_addc_u32 s1, 0, s1
	v_add_co_u32_e32 v0, vcc, s0, v0
	s_cmp_lg_u64 vcc, 0
	s_addc_u32 s5, s5, s1
	s_ashr_i32 s0, s11, 31
	s_add_u32 s24, s4, s0
	s_mov_b32 s1, s0
	s_addc_u32 s25, s11, s0
	s_xor_b64 s[24:25], s[24:25], s[0:1]
	v_readfirstlane_b32 s20, v0
	s_mul_i32 s11, s24, s5
	s_mul_hi_u32 s23, s24, s20
	s_mul_hi_u32 s1, s24, s5
	s_add_u32 s11, s23, s11
	s_addc_u32 s1, 0, s1
	s_mul_hi_u32 s26, s25, s20
	s_mul_i32 s20, s25, s20
	s_add_u32 s11, s11, s20
	s_mul_hi_u32 s23, s25, s5
	s_addc_u32 s1, s1, s26
	s_addc_u32 s11, s23, 0
	s_mul_i32 s5, s25, s5
	s_add_u32 s1, s1, s5
	s_addc_u32 s5, 0, s11
	s_mul_i32 s5, s9, s5
	s_mul_hi_u32 s23, s9, s1
	s_add_i32 s23, s23, s5
	s_mul_i32 s5, s9, s1
	v_mov_b32_e32 v0, s5
	s_add_u32 s11, s1, 1
	s_add_u32 s20, s1, 2
	v_sub_co_u32_e32 v0, vcc, s24, v0
	s_cmp_lg_u64 vcc, 0
	s_subb_u32 s5, s25, s23
	v_subrev_co_u32_e32 v1, vcc, s9, v0
	s_cmp_lg_u64 vcc, 0
	s_subb_u32 s23, s5, 0
	v_cmp_le_u32_e32 vcc, s9, v1
	s_cmp_eq_u32 s23, 0
	v_cndmask_b32_e64 v1, 0, -1, vcc
	s_cselect_b64 vcc, -1, 0
	v_cndmask_b32_e32 v1, -1, v1, vcc
	v_mov_b32_e32 v13, s11
	v_mov_b32_e32 v14, s20
	v_cmp_ne_u32_e32 vcc, 0, v1
	v_cndmask_b32_e32 v1, v13, v14, vcc
	v_cmp_le_u32_e32 vcc, s9, v0
	s_cmp_eq_u32 s5, 0
	v_cndmask_b32_e64 v0, 0, -1, vcc
	s_cselect_b64 vcc, -1, 0
	v_cndmask_b32_e32 v0, -1, v0, vcc
	v_mov_b32_e32 v13, s1
	v_cmp_ne_u32_e32 vcc, 0, v0
	v_cndmask_b32_e32 v0, v13, v1, vcc
	v_xor_b32_e32 v0, s0, v0
	v_subrev_co_u32_e32 v0, vcc, s0, v0
	s_cbranch_execnz .LBB12_11
.LBB12_10:
	s_sub_i32 s0, 0, s9
	v_mul_lo_u32 v0, s0, v11
	v_mul_hi_u32 v0, v11, v0
	v_add_u32_e32 v0, v11, v0
	v_mul_hi_u32 v0, s4, v0
	v_mul_lo_u32 v13, v0, s9
	v_sub_u32_e32 v13, s4, v13
	v_add_u32_e32 v1, 1, v0
	v_subrev_u32_e32 v14, s9, v13
	v_cmp_le_u32_e32 vcc, s9, v13
	v_cndmask_b32_e32 v13, v13, v14, vcc
	v_cndmask_b32_e32 v0, v0, v1, vcc
	v_add_u32_e32 v1, 1, v0
	v_cmp_le_u32_e32 vcc, s9, v13
	v_cndmask_b32_e32 v0, v0, v1, vcc
.LBB12_11:
	v_cmp_ne_u32_e32 vcc, v8, v0
	s_cbranch_vccz .LBB12_14
; %bb.12:
	s_add_i32 s0, s12, s9
	s_lshl_b32 s0, s0, 4
	v_mul_hi_u32 v1, v0, s16
	s_add_i32 s0, s0, s8
	s_mov_b32 s1, s10
	v_add_u32_e32 v1, v1, v0
	s_lshl_b64 s[0:1], s[0:1], 3
	v_lshrrev_b32_e32 v1, s17, v1
	s_add_u32 s4, s2, s0
	v_mul_lo_u32 v13, v1, s18
	s_addc_u32 s5, s3, s1
	v_cmp_eq_u32_e32 vcc, v13, v0
	v_cmp_gt_u32_e64 s[0:1], s19, v1
	s_or_b64 s[0:1], s[0:1], vcc
	s_and_b64 vcc, exec, s[0:1]
	s_cbranch_vccnz .LBB12_16
; %bb.13:
	s_add_i32 s11, s12, -1
	s_mov_b64 s[0:1], 0
	s_branch .LBB12_17
.LBB12_14:
                                        ; implicit-def: $sgpr0_sgpr1
                                        ; implicit-def: $vgpr14
                                        ; implicit-def: $vgpr1
                                        ; implicit-def: $vgpr13
                                        ; implicit-def: $sgpr11
                                        ; implicit-def: $vgpr0
	s_branch .LBB12_18
.LBB12_15:
                                        ; implicit-def: $vgpr0_vgpr1
	s_branch .LBB12_10
.LBB12_16:
	s_mov_b64 s[0:1], -1
	s_mov_b32 s11, s12
	v_mov_b32_e32 v0, v8
.LBB12_17:
	s_mul_i32 s20, s12, 0x500
	v_add_u32_e32 v14, s20, v4
	v_ashrrev_i32_e32 v15, 31, v14
	v_lshlrev_b64 v[14:15], 2, v[14:15]
	v_mov_b32_e32 v1, s22
	v_add_co_u32_e32 v14, vcc, s21, v14
	v_addc_co_u32_e32 v15, vcc, v1, v15, vcc
	global_load_dword v14, v[14:15], off
	s_load_dwordx2 s[4:5], s[4:5], 0x0
	v_max_f32_e32 v1, v7, v7
	s_waitcnt lgkmcnt(0)
	v_max_f32_e64 v13, s4, s4
	v_max_f32_e32 v1, v1, v13
	v_sub_f32_e32 v13, v7, v1
	v_sub_f32_e32 v15, s4, v1
	v_mul_f32_e32 v16, 0x3fb8aa3b, v13
	v_mul_f32_e32 v17, 0x3fb8aa3b, v15
	v_fma_f32 v18, v13, s6, -v16
	v_rndne_f32_e32 v19, v16
	v_fma_f32 v20, v15, s6, -v17
	v_rndne_f32_e32 v21, v17
	v_fmac_f32_e32 v18, 0x32a5705f, v13
	v_sub_f32_e32 v16, v16, v19
	v_fmac_f32_e32 v20, 0x32a5705f, v15
	v_sub_f32_e32 v17, v17, v21
	v_add_f32_e32 v16, v16, v18
	v_cvt_i32_f32_e32 v19, v19
	v_add_f32_e32 v17, v17, v20
	v_exp_f32_e32 v16, v16
	v_cvt_i32_f32_e32 v21, v21
	v_exp_f32_e32 v17, v17
	v_cmp_ngt_f32_e32 vcc, s7, v13
	v_ldexp_f32 v16, v16, v19
	v_cndmask_b32_e32 v16, 0, v16, vcc
	v_ldexp_f32 v17, v17, v21
	v_cmp_ngt_f32_e32 vcc, s7, v15
	v_cndmask_b32_e32 v17, 0, v17, vcc
	v_cmp_nlt_f32_e32 vcc, s13, v13
	v_cndmask_b32_e32 v16, v12, v16, vcc
	v_cmp_nlt_f32_e32 vcc, s13, v15
	v_cndmask_b32_e32 v17, v12, v17, vcc
	v_cmp_le_f32_e32 vcc, s14, v13
	v_cndmask_b32_e32 v16, 0, v16, vcc
	v_cmp_le_f32_e32 vcc, s14, v15
	v_cndmask_b32_e32 v15, 0, v17, vcc
	v_mul_f32_e32 v13, s5, v15
	v_fmac_f32_e32 v13, v6, v16
	s_waitcnt vmcnt(0)
	v_mul_f32_e32 v14, v14, v15
	v_fmac_f32_e32 v14, v5, v16
	s_cbranch_execnz .LBB12_19
.LBB12_18:
	s_add_i32 s11, s12, -1
	s_mov_b64 s[0:1], 0
	v_mov_b32_e32 v0, v8
	v_mov_b32_e32 v13, v6
	;; [unrolled: 1-line block ×3, first 2 shown]
	s_waitcnt vmcnt(0)
	v_mov_b32_e32 v14, v5
.LBB12_19:
	s_andn2_b64 vcc, exec, s[0:1]
	s_cbranch_vccz .LBB12_23
; %bb.20:
	v_mov_b32_e32 v8, v0
	s_mov_b32 s12, s11
	v_mov_b32_e32 v6, v13
	v_mov_b32_e32 v7, v1
	s_waitcnt vmcnt(0)
	v_mov_b32_e32 v5, v14
	s_mul_hi_i32 s11, s12, s15
	s_cmp_lg_u64 s[10:11], 0
	s_mul_i32 s4, s12, s15
	s_cbranch_scc1 .LBB12_9
	s_branch .LBB12_15
.LBB12_21:
                                        ; implicit-def: $sgpr20_sgpr21
	s_load_dwordx4 s[16:19], s[4:5], 0x44
	s_branch .LBB12_2
.LBB12_22:
                                        ; implicit-def: $vgpr2_vgpr3
	s_branch .LBB12_5
.LBB12_23:
	v_div_scale_f32 v0, s[0:1], v13, v13, v14
	v_rcp_f32_e32 v1, v0
	v_div_scale_f32 v4, vcc, v14, v13, v14
	s_waitcnt vmcnt(0)
	v_fma_f32 v5, -v0, v1, 1.0
	v_fmac_f32_e32 v1, v5, v1
	v_mul_f32_e32 v5, v4, v1
	v_fma_f32 v6, -v0, v5, v4
	v_fmac_f32_e32 v5, v6, v1
	v_fma_f32 v0, -v0, v5, v4
	v_div_fmas_f32 v0, v0, v1, v5
	v_div_fixup_f32 v0, v0, v13, v14
	global_store_dword v[2:3], v0, off
.LBB12_24:
	s_endpgm
	.section	.rodata,"a",@progbits
	.p2align	6, 0x0
	.amdhsa_kernel _ZL33flash_attn_stream_k_fixup_generalILi80ELi8ELi2EEvPfPK15HIP_vector_typeIfLj2EEiiiiS1_IjLj3EES5_S5_S5_
		.amdhsa_group_segment_fixed_size 0
		.amdhsa_private_segment_fixed_size 0
		.amdhsa_kernarg_size 336
		.amdhsa_user_sgpr_count 6
		.amdhsa_user_sgpr_private_segment_buffer 1
		.amdhsa_user_sgpr_dispatch_ptr 0
		.amdhsa_user_sgpr_queue_ptr 0
		.amdhsa_user_sgpr_kernarg_segment_ptr 1
		.amdhsa_user_sgpr_dispatch_id 0
		.amdhsa_user_sgpr_flat_scratch_init 0
		.amdhsa_user_sgpr_kernarg_preload_length 0
		.amdhsa_user_sgpr_kernarg_preload_offset 0
		.amdhsa_user_sgpr_private_segment_size 0
		.amdhsa_uses_dynamic_stack 0
		.amdhsa_system_sgpr_private_segment_wavefront_offset 0
		.amdhsa_system_sgpr_workgroup_id_x 1
		.amdhsa_system_sgpr_workgroup_id_y 1
		.amdhsa_system_sgpr_workgroup_id_z 1
		.amdhsa_system_sgpr_workgroup_info 0
		.amdhsa_system_vgpr_workitem_id 0
		.amdhsa_next_free_vgpr 22
		.amdhsa_next_free_sgpr 32
		.amdhsa_accum_offset 24
		.amdhsa_reserve_vcc 1
		.amdhsa_reserve_flat_scratch 0
		.amdhsa_float_round_mode_32 0
		.amdhsa_float_round_mode_16_64 0
		.amdhsa_float_denorm_mode_32 3
		.amdhsa_float_denorm_mode_16_64 3
		.amdhsa_dx10_clamp 1
		.amdhsa_ieee_mode 1
		.amdhsa_fp16_overflow 0
		.amdhsa_tg_split 0
		.amdhsa_exception_fp_ieee_invalid_op 0
		.amdhsa_exception_fp_denorm_src 0
		.amdhsa_exception_fp_ieee_div_zero 0
		.amdhsa_exception_fp_ieee_overflow 0
		.amdhsa_exception_fp_ieee_underflow 0
		.amdhsa_exception_fp_ieee_inexact 0
		.amdhsa_exception_int_div_zero 0
	.end_amdhsa_kernel
	.section	.text._ZL33flash_attn_stream_k_fixup_generalILi80ELi8ELi2EEvPfPK15HIP_vector_typeIfLj2EEiiiiS1_IjLj3EES5_S5_S5_,"axG",@progbits,_ZL33flash_attn_stream_k_fixup_generalILi80ELi8ELi2EEvPfPK15HIP_vector_typeIfLj2EEiiiiS1_IjLj3EES5_S5_S5_,comdat
.Lfunc_end12:
	.size	_ZL33flash_attn_stream_k_fixup_generalILi80ELi8ELi2EEvPfPK15HIP_vector_typeIfLj2EEiiiiS1_IjLj3EES5_S5_S5_, .Lfunc_end12-_ZL33flash_attn_stream_k_fixup_generalILi80ELi8ELi2EEvPfPK15HIP_vector_typeIfLj2EEiiiiS1_IjLj3EES5_S5_S5_
                                        ; -- End function
	.section	.AMDGPU.csdata,"",@progbits
; Kernel info:
; codeLenInByte = 2828
; NumSgprs: 36
; NumVgprs: 22
; NumAgprs: 0
; TotalNumVgprs: 22
; ScratchSize: 0
; MemoryBound: 0
; FloatMode: 240
; IeeeMode: 1
; LDSByteSize: 0 bytes/workgroup (compile time only)
; SGPRBlocks: 4
; VGPRBlocks: 2
; NumSGPRsForWavesPerEU: 36
; NumVGPRsForWavesPerEU: 22
; AccumOffset: 24
; Occupancy: 8
; WaveLimiterHint : 0
; COMPUTE_PGM_RSRC2:SCRATCH_EN: 0
; COMPUTE_PGM_RSRC2:USER_SGPR: 6
; COMPUTE_PGM_RSRC2:TRAP_HANDLER: 0
; COMPUTE_PGM_RSRC2:TGID_X_EN: 1
; COMPUTE_PGM_RSRC2:TGID_Y_EN: 1
; COMPUTE_PGM_RSRC2:TGID_Z_EN: 1
; COMPUTE_PGM_RSRC2:TIDIG_COMP_CNT: 0
; COMPUTE_PGM_RSRC3_GFX90A:ACCUM_OFFSET: 5
; COMPUTE_PGM_RSRC3_GFX90A:TG_SPLIT: 0
	.section	.text._ZL26flash_attn_combine_resultsILi80EEvPKfPK15HIP_vector_typeIfLj2EEPfi,"axG",@progbits,_ZL26flash_attn_combine_resultsILi80EEvPKfPK15HIP_vector_typeIfLj2EEPfi,comdat
	.globl	_ZL26flash_attn_combine_resultsILi80EEvPKfPK15HIP_vector_typeIfLj2EEPfi ; -- Begin function _ZL26flash_attn_combine_resultsILi80EEvPKfPK15HIP_vector_typeIfLj2EEPfi
	.p2align	8
	.type	_ZL26flash_attn_combine_resultsILi80EEvPKfPK15HIP_vector_typeIfLj2EEPfi,@function
_ZL26flash_attn_combine_resultsILi80EEvPKfPK15HIP_vector_typeIfLj2EEPfi: ; @_ZL26flash_attn_combine_resultsILi80EEvPKfPK15HIP_vector_typeIfLj2EEPfi
; %bb.0:
	s_load_dwordx2 s[0:1], s[4:5], 0x20
	s_load_dword s21, s[4:5], 0x18
	s_load_dwordx4 s[16:19], s[4:5], 0x0
	s_load_dwordx2 s[14:15], s[4:5], 0x10
	s_waitcnt lgkmcnt(0)
	s_mul_i32 s0, s0, s8
	s_add_i32 s0, s0, s6
	s_mul_i32 s20, s0, s1
	s_add_i32 s20, s20, s7
	s_lshl_b32 s10, s21, 1
	s_mul_i32 s0, s20, s21
	v_cmp_gt_i32_e32 vcc, s10, v0
	s_and_saveexec_b64 s[2:3], vcc
	s_cbranch_execz .LBB13_13
; %bb.1:
	v_xad_u32 v1, v0, -1, s10
	s_movk_i32 s4, 0x4f
	s_ashr_i32 s1, s0, 31
	v_cmp_lt_u32_e32 vcc, s4, v1
	s_mov_b64 s[6:7], -1
	v_mov_b32_e32 v2, v0
	s_and_saveexec_b64 s[4:5], vcc
	s_cbranch_execz .LBB13_10
; %bb.2:
	s_mov_b32 s6, 0xcccccccd
	v_mul_hi_u32 v1, v1, s6
	v_lshrrev_b32_e32 v6, 6, v1
	s_lshl_b64 s[6:7], s[0:1], 3
	v_add_u32_e32 v2, -1, v6
	s_add_u32 s11, s18, s6
	v_add_u32_e32 v1, 0x50, v0
	v_lshrrev_b32_e32 v3, 1, v2
	s_addc_u32 s12, s19, s7
	v_add_u32_e32 v7, 1, v3
	v_cmp_lt_u32_e32 vcc, 13, v2
	v_mov_b32_e32 v4, 0
	v_pk_mov_b32 v[2:3], v[0:1], v[0:1] op_sel:[0,1]
	s_and_saveexec_b64 s[6:7], vcc
	s_cbranch_execz .LBB13_6
; %bb.3:
	v_and_b32_e32 v8, -8, v7
	s_mov_b32 s13, 0
	v_lshl_add_u32 v9, v0, 2, 0
	s_mov_b64 s[8:9], 0
	v_mov_b32_e32 v10, s12
	v_mov_b32_e32 v5, 0
	v_pk_mov_b32 v[2:3], v[0:1], v[0:1] op_sel:[0,1]
.LBB13_4:                               ; =>This Inner Loop Header: Depth=1
	v_mov_b32_e32 v4, v2
	v_lshlrev_b64 v[26:27], 2, v[4:5]
	v_add_u32_e32 v12, 0xa0, v3
	v_mov_b32_e32 v13, v5
	v_add_co_u32_e32 v26, vcc, s11, v26
	v_lshlrev_b64 v[12:13], 2, v[12:13]
	v_addc_co_u32_e32 v27, vcc, v10, v27, vcc
	v_add_u32_e32 v14, 0x140, v3
	v_mov_b32_e32 v15, v5
	v_add_co_u32_e32 v12, vcc, s11, v12
	v_lshlrev_b64 v[14:15], 2, v[14:15]
	v_addc_co_u32_e32 v13, vcc, v10, v13, vcc
	;; [unrolled: 5-line block ×7, first 2 shown]
	v_mov_b32_e32 v4, v3
	v_add_co_u32_e32 v24, vcc, s11, v24
	v_lshlrev_b64 v[28:29], 2, v[4:5]
	v_addc_co_u32_e32 v25, vcc, v10, v25, vcc
	v_add_u32_e32 v4, 0xa0, v2
	v_add_co_u32_e32 v28, vcc, s11, v28
	v_addc_co_u32_e32 v29, vcc, v10, v29, vcc
	global_load_dword v1, v[26:27], off
	v_lshlrev_b64 v[26:27], 2, v[4:5]
	v_add_u32_e32 v4, 0x140, v2
	v_add_co_u32_e32 v26, vcc, s11, v26
	v_addc_co_u32_e32 v27, vcc, v10, v27, vcc
	v_lshlrev_b64 v[30:31], 2, v[4:5]
	v_add_u32_e32 v4, 0x1e0, v2
	global_load_dword v11, v[28:29], off
	global_load_dword v32, v[26:27], off
	;; [unrolled: 1-line block ×3, first 2 shown]
	v_add_co_u32_e32 v12, vcc, s11, v30
	v_addc_co_u32_e32 v13, vcc, v10, v31, vcc
	v_lshlrev_b64 v[26:27], 2, v[4:5]
	v_add_u32_e32 v4, 0x280, v2
	v_add_co_u32_e32 v26, vcc, s11, v26
	v_addc_co_u32_e32 v27, vcc, v10, v27, vcc
	v_lshlrev_b64 v[28:29], 2, v[4:5]
	v_add_u32_e32 v4, 0x320, v2
	global_load_dword v30, v[12:13], off
	global_load_dword v31, v[14:15], off
	;; [unrolled: 1-line block ×4, first 2 shown]
	v_add_co_u32_e32 v12, vcc, s11, v28
	v_addc_co_u32_e32 v13, vcc, v10, v29, vcc
	v_lshlrev_b64 v[14:15], 2, v[4:5]
	v_add_u32_e32 v4, 0x3c0, v2
	v_add_co_u32_e32 v14, vcc, s11, v14
	v_addc_co_u32_e32 v15, vcc, v10, v15, vcc
	v_lshlrev_b64 v[16:17], 2, v[4:5]
	v_add_u32_e32 v4, 0x460, v2
	global_load_dword v26, v[12:13], off
	global_load_dword v27, v[18:19], off
	;; [unrolled: 1-line block ×4, first 2 shown]
	v_add_co_u32_e32 v12, vcc, s11, v16
	v_addc_co_u32_e32 v13, vcc, v10, v17, vcc
	v_lshlrev_b64 v[14:15], 2, v[4:5]
	v_add_co_u32_e32 v14, vcc, s11, v14
	v_addc_co_u32_e32 v15, vcc, v10, v15, vcc
	global_load_dword v16, v[12:13], off
	global_load_dword v17, v[22:23], off
	;; [unrolled: 1-line block ×4, first 2 shown]
	v_add_u32_e32 v8, -8, v8
	s_add_i32 s13, s13, 16
	v_cmp_eq_u32_e32 vcc, 0, v8
	v_add_u32_e32 v12, 0x400, v9
	v_add_u32_e32 v13, 0x600, v9
	;; [unrolled: 1-line block ×7, first 2 shown]
	v_mov_b32_e32 v4, s13
	s_or_b64 s[8:9], vcc, s[8:9]
	v_add_u32_e32 v2, 0x500, v2
	s_waitcnt vmcnt(14)
	ds_write2_b32 v9, v1, v11 offset1:80
	s_waitcnt vmcnt(12)
	ds_write2_b32 v9, v32, v33 offset0:160 offset1:240
	v_add_u32_e32 v9, 0x1400, v9
	s_waitcnt vmcnt(10)
	ds_write2_b32 v12, v30, v31 offset0:64 offset1:144
	s_waitcnt vmcnt(8)
	ds_write2_b32 v13, v34, v35 offset0:96 offset1:176
	;; [unrolled: 2-line block ×6, first 2 shown]
	s_andn2_b64 exec, exec, s[8:9]
	s_cbranch_execnz .LBB13_4
; %bb.5:
	s_or_b64 exec, exec, s[8:9]
.LBB13_6:
	s_or_b64 exec, exec, s[6:7]
	v_and_b32_e32 v1, 7, v7
	v_cmp_ne_u32_e32 vcc, 0, v1
	s_and_saveexec_b64 s[6:7], vcc
	s_cbranch_execz .LBB13_9
; %bb.7:
	s_movk_i32 s8, 0x140
	v_mul_lo_u32 v4, v4, s8
	v_lshlrev_b32_e32 v5, 2, v0
	v_add3_u32 v7, v4, v5, 0
	s_mov_b64 s[8:9], 0
	v_mov_b32_e32 v8, s12
	v_mov_b32_e32 v5, 0
.LBB13_8:                               ; =>This Inner Loop Header: Depth=1
	v_mov_b32_e32 v4, v2
	v_lshlrev_b64 v[10:11], 2, v[4:5]
	v_mov_b32_e32 v4, v3
	v_add_co_u32_e32 v10, vcc, s11, v10
	v_addc_co_u32_e32 v11, vcc, v8, v11, vcc
	v_lshlrev_b64 v[12:13], 2, v[4:5]
	v_add_co_u32_e32 v12, vcc, s11, v12
	v_addc_co_u32_e32 v13, vcc, v8, v13, vcc
	global_load_dword v4, v[10:11], off
	global_load_dword v9, v[12:13], off
	v_add_u32_e32 v1, -1, v1
	v_cmp_eq_u32_e32 vcc, 0, v1
	v_add_u32_e32 v2, 0xa0, v2
	v_add_u32_e32 v3, 0xa0, v3
	s_or_b64 s[8:9], vcc, s[8:9]
	s_waitcnt vmcnt(0)
	ds_write2_b32 v7, v4, v9 offset1:80
	v_add_u32_e32 v7, 0x280, v7
	s_andn2_b64 exec, exec, s[8:9]
	s_cbranch_execnz .LBB13_8
.LBB13_9:
	s_or_b64 exec, exec, s[6:7]
	v_add_u32_e32 v1, 1, v6
	v_and_b32_e32 v4, 0x7fffffe, v1
	s_movk_i32 s6, 0x50
	v_mad_u64_u32 v[2:3], s[6:7], v4, s6, v[0:1]
	v_cmp_ne_u32_e32 vcc, v1, v4
	s_orn2_b64 s[6:7], vcc, exec
.LBB13_10:
	s_or_b64 exec, exec, s[4:5]
	s_and_b64 exec, exec, s[6:7]
	s_cbranch_execz .LBB13_13
; %bb.11:
	s_lshl_b64 s[4:5], s[0:1], 3
	v_mov_b32_e32 v3, 0
	s_add_u32 s1, s18, s4
	v_lshlrev_b64 v[4:5], 2, v[2:3]
	s_addc_u32 s4, s19, s5
	v_mov_b32_e32 v1, s4
	v_add_co_u32_e32 v4, vcc, s1, v4
	v_addc_co_u32_e32 v5, vcc, v1, v5, vcc
	v_lshl_add_u32 v1, v2, 2, 0
	s_mov_b64 s[4:5], 0
.LBB13_12:                              ; =>This Inner Loop Header: Depth=1
	global_load_dword v3, v[4:5], off
	v_add_co_u32_e32 v4, vcc, 0x140, v4
	v_add_u32_e32 v2, 0x50, v2
	v_addc_co_u32_e32 v5, vcc, 0, v5, vcc
	v_cmp_le_i32_e32 vcc, s10, v2
	s_or_b64 s[4:5], vcc, s[4:5]
	s_waitcnt vmcnt(0)
	ds_write_b32 v1, v3
	v_add_u32_e32 v1, 0x140, v1
	s_andn2_b64 exec, exec, s[4:5]
	s_cbranch_execnz .LBB13_12
.LBB13_13:
	s_or_b64 exec, exec, s[2:3]
	v_mov_b32_e32 v1, 0
	s_waitcnt lgkmcnt(0)
	s_barrier
	ds_read_b32 v1, v1
	s_cmp_lt_i32 s21, 2
	s_cbranch_scc1 .LBB13_21
; %bb.14:
	s_add_i32 s1, s21, -1
	s_add_i32 s2, s21, -2
	s_cmp_lt_u32 s2, 7
	s_cbranch_scc1 .LBB13_18
; %bb.15:
	s_mov_b32 s4, 0
	s_add_i32 s2, 0, 8
	s_and_b32 s3, s1, -8
.LBB13_16:                              ; =>This Inner Loop Header: Depth=1
	v_mov_b32_e32 v8, s2
	ds_read2_b32 v[2:3], v8 offset1:2
	ds_read2_b32 v[4:5], v8 offset0:4 offset1:6
	ds_read2_b32 v[6:7], v8 offset0:8 offset1:10
	;; [unrolled: 1-line block ×3, first 2 shown]
	s_mov_b32 s5, s4
	s_waitcnt lgkmcnt(3)
	v_max3_f32 v1, v1, v2, v3
	s_waitcnt lgkmcnt(2)
	v_max3_f32 v1, v1, v4, v5
	s_add_i32 s2, s2, 64
	s_add_i32 s4, s4, 8
	s_waitcnt lgkmcnt(1)
	v_max3_f32 v1, v1, v6, v7
	s_cmp_eq_u32 s3, s4
	s_waitcnt lgkmcnt(0)
	v_max3_f32 v1, v1, v8, v9
	s_cbranch_scc0 .LBB13_16
; %bb.17:
	s_add_i32 s2, s5, 9
	s_and_b32 s1, s1, 7
	s_cmp_eq_u32 s1, 0
	s_cbranch_scc0 .LBB13_19
	s_branch .LBB13_21
.LBB13_18:
	s_mov_b32 s2, 1
	s_and_b32 s1, s1, 7
	s_cmp_eq_u32 s1, 0
	s_cbranch_scc1 .LBB13_21
.LBB13_19:
	s_lshl_b32 s2, s2, 3
	s_add_i32 s2, s2, 0
.LBB13_20:                              ; =>This Inner Loop Header: Depth=1
	v_mov_b32_e32 v2, s2
	ds_read_b32 v2, v2
	s_waitcnt lgkmcnt(1)
	v_max_f32_e32 v1, v1, v1
	s_add_i32 s2, s2, 8
	s_add_i32 s1, s1, -1
	s_cmp_lg_u32 s1, 0
	s_waitcnt lgkmcnt(0)
	v_max_f32_e32 v2, v2, v2
	v_max_f32_e32 v1, v1, v2
	s_cbranch_scc1 .LBB13_20
.LBB13_21:
	s_cmp_lt_i32 s21, 1
	s_cbranch_scc1 .LBB13_26
; %bb.22:
	s_mul_i32 s18, s0, 0x50
	s_ashr_i32 s19, s18, 31
	s_cmp_lt_u32 s21, 8
	v_mov_b32_e32 v8, 0
	s_cbranch_scc1 .LBB13_27
; %bb.23:
	s_lshl_b64 s[0:1], s[18:19], 2
	s_add_u32 s23, s16, s0
	s_addc_u32 s0, s17, s1
	v_lshlrev_b32_e32 v2, 2, v0
	v_mov_b32_e32 v10, s0
	v_add_co_u32_e32 v2, vcc, s23, v2
	v_addc_co_u32_e32 v3, vcc, 0, v10, vcc
	v_add_co_u32_e32 v2, vcc, 0x140, v2
	s_and_b32 s22, s21, 0x7ffffff8
	v_addc_co_u32_e32 v3, vcc, 0, v3, vcc
	v_add_u32_e32 v4, 0x140, v0
	s_mov_b32 s24, 0
	v_mov_b32_e32 v7, 0
	s_mov_b32 s25, 0x3fb8aa3b
	s_mov_b32 s26, 0xc2ce8ed0
	;; [unrolled: 1-line block ×3, first 2 shown]
	v_mov_b32_e32 v11, 0x7f800000
	s_mov_b32 s28, 0
	v_mov_b32_e32 v9, 0
	v_mov_b32_e32 v8, 0
.LBB13_24:                              ; =>This Inner Loop Header: Depth=1
	v_add_u32_e32 v6, 0xfffffec0, v4
	global_load_dword v36, v[2:3], off
	global_load_dword v37, v[2:3], off offset:320
	v_add_co_u32_e32 v2, vcc, 0xa00, v2
	v_lshlrev_b64 v[28:29], 2, v[6:7]
	v_addc_co_u32_e32 v3, vcc, 0, v3, vcc
	v_mov_b32_e32 v5, v7
	v_add_co_u32_e32 v28, vcc, s23, v28
	v_lshlrev_b64 v[30:31], 2, v[4:5]
	v_addc_co_u32_e32 v29, vcc, v10, v29, vcc
	v_add_u32_e32 v6, 0xffffffb0, v4
	v_add_co_u32_e32 v30, vcc, s23, v30
	v_mov_b32_e32 v24, s24
	v_lshlrev_b64 v[32:33], 2, v[6:7]
	v_addc_co_u32_e32 v31, vcc, v10, v31, vcc
	ds_read2_b64 v[12:15], v24 offset1:1
	ds_read2_b64 v[16:19], v24 offset0:2 offset1:3
	ds_read2_b64 v[20:23], v24 offset0:4 offset1:5
	;; [unrolled: 1-line block ×3, first 2 shown]
	v_add_u32_e32 v6, 0x50, v4
	global_load_dword v5, v[28:29], off
	v_add_co_u32_e32 v28, vcc, s23, v32
	v_addc_co_u32_e32 v29, vcc, v10, v33, vcc
	v_lshlrev_b64 v[32:33], 2, v[6:7]
	v_add_u32_e32 v6, 0xa0, v4
	v_add_co_u32_e32 v32, vcc, s23, v32
	v_addc_co_u32_e32 v33, vcc, v10, v33, vcc
	v_lshlrev_b64 v[34:35], 2, v[6:7]
	v_add_u32_e32 v6, 0xf0, v4
	global_load_dword v38, v[28:29], off
	global_load_dword v39, v[30:31], off
	;; [unrolled: 1-line block ×3, first 2 shown]
	v_add_co_u32_e32 v28, vcc, s23, v34
	v_addc_co_u32_e32 v29, vcc, v10, v35, vcc
	v_lshlrev_b64 v[30:31], 2, v[6:7]
	v_add_co_u32_e32 v30, vcc, s23, v30
	s_waitcnt lgkmcnt(3)
	v_sub_f32_e32 v6, v12, v1
	v_sub_f32_e32 v12, v14, v1
	s_waitcnt lgkmcnt(2)
	v_sub_f32_e32 v14, v16, v1
	v_sub_f32_e32 v16, v18, v1
	;; [unrolled: 3-line block ×4, first 2 shown]
	v_addc_co_u32_e32 v31, vcc, v10, v31, vcc
	global_load_dword v26, v[28:29], off
	v_mul_f32_e32 v32, 0x3fb8aa3b, v14
	global_load_dword v30, v[30:31], off
	v_mul_f32_e32 v28, 0x3fb8aa3b, v6
	v_fma_f32 v31, v6, s25, -v28
	v_rndne_f32_e32 v43, v28
	v_mul_f32_e32 v29, 0x3fb8aa3b, v12
	v_mul_f32_e32 v33, 0x3fb8aa3b, v16
	;; [unrolled: 1-line block ×3, first 2 shown]
	v_fmac_f32_e32 v31, 0x32a5705f, v6
	v_sub_f32_e32 v28, v28, v43
	v_fma_f32 v44, v12, s25, -v29
	v_rndne_f32_e32 v45, v29
	v_fma_f32 v46, v14, s25, -v32
	v_rndne_f32_e32 v47, v32
	;; [unrolled: 2-line block ×3, first 2 shown]
	v_fma_f32 v50, v18, s25, -v34
	v_add_f32_e32 v28, v28, v31
	v_rndne_f32_e32 v31, v34
	v_mul_f32_e32 v35, 0x3fb8aa3b, v20
	v_mul_f32_e32 v41, 0x3fb8aa3b, v22
	v_fmac_f32_e32 v44, 0x32a5705f, v12
	v_sub_f32_e32 v29, v29, v45
	v_fmac_f32_e32 v46, 0x32a5705f, v14
	v_sub_f32_e32 v32, v32, v47
	;; [unrolled: 2-line block ×4, first 2 shown]
	v_add_f32_e32 v29, v29, v44
	v_fma_f32 v44, v20, s25, -v35
	v_add_f32_e32 v32, v32, v46
	v_rndne_f32_e32 v46, v35
	v_add_f32_e32 v33, v33, v48
	v_fma_f32 v48, v22, s25, -v41
	v_add_f32_e32 v34, v34, v50
	v_rndne_f32_e32 v50, v41
	v_mul_f32_e32 v42, 0x3fb8aa3b, v24
	v_fmac_f32_e32 v44, 0x32a5705f, v20
	v_sub_f32_e32 v35, v35, v46
	v_fmac_f32_e32 v48, 0x32a5705f, v22
	v_sub_f32_e32 v41, v41, v50
	v_add_f32_e32 v35, v35, v44
	v_fma_f32 v44, v24, s25, -v42
	v_add_f32_e32 v41, v41, v48
	v_rndne_f32_e32 v48, v42
	v_cvt_i32_f32_e32 v43, v43
	v_fmac_f32_e32 v44, 0x32a5705f, v24
	v_sub_f32_e32 v42, v42, v48
	v_exp_f32_e32 v28, v28
	v_cvt_i32_f32_e32 v45, v45
	v_add_f32_e32 v42, v42, v44
	v_exp_f32_e32 v29, v29
	v_cvt_i32_f32_e32 v47, v47
	v_cvt_i32_f32_e32 v49, v49
	;; [unrolled: 1-line block ×6, first 2 shown]
	v_exp_f32_e32 v32, v32
	v_exp_f32_e32 v33, v33
	;; [unrolled: 1-line block ×6, first 2 shown]
	v_ldexp_f32 v28, v28, v43
	v_cmp_ngt_f32_e64 s[12:13], s26, v6
	v_ldexp_f32 v29, v29, v45
	v_cmp_ngt_f32_e32 vcc, s26, v12
	v_cndmask_b32_e64 v28, 0, v28, s[12:13]
	v_cmp_nlt_f32_e64 s[12:13], s27, v6
	v_ldexp_f32 v32, v32, v47
	v_cmp_ngt_f32_e64 s[0:1], s26, v14
	v_ldexp_f32 v33, v33, v49
	v_cmp_ngt_f32_e64 s[2:3], s26, v16
	;; [unrolled: 2-line block ×6, first 2 shown]
	v_cndmask_b32_e32 v29, 0, v29, vcc
	v_cmp_nlt_f32_e32 vcc, s27, v12
	v_cndmask_b32_e64 v6, v11, v28, s[12:13]
	v_cndmask_b32_e64 v12, 0, v32, s[0:1]
	v_cmp_nlt_f32_e64 s[0:1], s27, v14
	v_cndmask_b32_e64 v14, 0, v33, s[2:3]
	v_cmp_nlt_f32_e64 s[2:3], s27, v16
	;; [unrolled: 2-line block ×6, first 2 shown]
	v_cndmask_b32_e32 v24, v11, v29, vcc
	v_fmac_f32_e32 v9, v6, v13
	s_waitcnt vmcnt(5)
	v_fmac_f32_e32 v8, v5, v6
	v_cndmask_b32_e64 v12, v11, v12, s[0:1]
	v_fmac_f32_e32 v9, v24, v15
	v_fmac_f32_e32 v8, v36, v24
	v_cndmask_b32_e64 v14, v11, v14, s[2:3]
	v_fmac_f32_e32 v9, v12, v17
	;; [unrolled: 3-line block ×3, first 2 shown]
	s_waitcnt vmcnt(4)
	v_fmac_f32_e32 v8, v38, v14
	v_cndmask_b32_e64 v18, v11, v18, s[6:7]
	v_fmac_f32_e32 v9, v16, v21
	s_waitcnt vmcnt(3)
	v_fmac_f32_e32 v8, v39, v16
	v_cndmask_b32_e64 v20, v11, v20, s[8:9]
	v_fmac_f32_e32 v9, v18, v23
	s_waitcnt vmcnt(2)
	v_fmac_f32_e32 v8, v40, v18
	s_add_i32 s28, s28, 8
	s_add_i32 s24, s24, 64
	v_cndmask_b32_e64 v22, v11, v22, s[10:11]
	v_fmac_f32_e32 v9, v20, v25
	s_waitcnt vmcnt(1)
	v_fmac_f32_e32 v8, v26, v20
	s_cmp_eq_u32 s22, s28
	v_add_u32_e32 v4, 0x280, v4
	v_fmac_f32_e32 v9, v22, v27
	s_waitcnt vmcnt(0)
	v_fmac_f32_e32 v8, v30, v22
	s_cbranch_scc0 .LBB13_24
; %bb.25:
	s_and_b32 s0, s21, 7
	s_cmp_eq_u32 s0, 0
	s_cbranch_scc0 .LBB13_28
	s_branch .LBB13_30
.LBB13_26:
	s_waitcnt lgkmcnt(0)
	v_mov_b32_e32 v1, 0x7fc00000
	s_branch .LBB13_31
.LBB13_27:
	s_mov_b32 s22, 0
	v_mov_b32_e32 v9, 0
	s_and_b32 s0, s21, 7
	s_cmp_eq_u32 s0, 0
	s_cbranch_scc1 .LBB13_30
.LBB13_28:
	s_lshl_b64 s[2:3], s[18:19], 2
	s_mul_i32 s1, s22, 0x50
	v_add_u32_e32 v2, s1, v0
	v_mov_b32_e32 v3, 0
	s_add_u32 s1, s16, s2
	v_lshlrev_b64 v[2:3], 2, v[2:3]
	s_addc_u32 s2, s17, s3
	v_mov_b32_e32 v4, s2
	v_add_co_u32_e32 v2, vcc, s1, v2
	s_lshl_b32 s1, s22, 3
	v_addc_co_u32_e32 v3, vcc, v4, v3, vcc
	s_add_i32 s1, s1, 0
	s_mov_b32 s2, 0x3fb8aa3b
	s_mov_b32 s3, 0xc2ce8ed0
	;; [unrolled: 1-line block ×3, first 2 shown]
	v_mov_b32_e32 v4, 0x7f800000
.LBB13_29:                              ; =>This Inner Loop Header: Depth=1
	global_load_dword v5, v[2:3], off
	v_mov_b32_e32 v6, s1
	ds_read_b64 v[6:7], v6
	v_add_co_u32_e32 v2, vcc, 0x140, v2
	v_addc_co_u32_e32 v3, vcc, 0, v3, vcc
	s_waitcnt lgkmcnt(0)
	v_sub_f32_e32 v6, v6, v1
	v_mul_f32_e32 v10, 0x3fb8aa3b, v6
	v_fma_f32 v11, v6, s2, -v10
	v_rndne_f32_e32 v12, v10
	v_fmac_f32_e32 v11, 0x32a5705f, v6
	v_sub_f32_e32 v10, v10, v12
	v_add_f32_e32 v10, v10, v11
	v_cvt_i32_f32_e32 v12, v12
	v_exp_f32_e32 v10, v10
	v_cmp_ngt_f32_e32 vcc, s3, v6
	s_add_i32 s1, s1, 8
	s_add_i32 s0, s0, -1
	v_ldexp_f32 v10, v10, v12
	v_cndmask_b32_e32 v10, 0, v10, vcc
	v_cmp_nlt_f32_e32 vcc, s4, v6
	v_cndmask_b32_e32 v6, v4, v10, vcc
	s_cmp_lg_u32 s0, 0
	v_fmac_f32_e32 v9, v6, v7
	s_waitcnt vmcnt(0)
	v_fmac_f32_e32 v8, v5, v6
	s_cbranch_scc1 .LBB13_29
.LBB13_30:
	s_waitcnt lgkmcnt(0)
	v_div_scale_f32 v1, s[0:1], v9, v9, v8
	v_rcp_f32_e32 v2, v1
	v_div_scale_f32 v3, vcc, v8, v9, v8
	v_fma_f32 v4, -v1, v2, 1.0
	v_fmac_f32_e32 v2, v4, v2
	v_mul_f32_e32 v4, v3, v2
	v_fma_f32 v5, -v1, v4, v3
	v_fmac_f32_e32 v4, v5, v2
	v_fma_f32 v1, -v1, v4, v3
	v_div_fmas_f32 v1, v1, v2, v4
	v_div_fixup_f32 v1, v1, v9, v8
.LBB13_31:
	s_mul_i32 s0, s20, 0x50
	s_ashr_i32 s1, s0, 31
	s_lshl_b64 s[0:1], s[0:1], 2
	s_add_u32 s0, s14, s0
	s_addc_u32 s1, s15, s1
	v_lshlrev_b32_e32 v0, 2, v0
	global_store_dword v0, v1, s[0:1]
	s_endpgm
	.section	.rodata,"a",@progbits
	.p2align	6, 0x0
	.amdhsa_kernel _ZL26flash_attn_combine_resultsILi80EEvPKfPK15HIP_vector_typeIfLj2EEPfi
		.amdhsa_group_segment_fixed_size 0
		.amdhsa_private_segment_fixed_size 0
		.amdhsa_kernarg_size 288
		.amdhsa_user_sgpr_count 6
		.amdhsa_user_sgpr_private_segment_buffer 1
		.amdhsa_user_sgpr_dispatch_ptr 0
		.amdhsa_user_sgpr_queue_ptr 0
		.amdhsa_user_sgpr_kernarg_segment_ptr 1
		.amdhsa_user_sgpr_dispatch_id 0
		.amdhsa_user_sgpr_flat_scratch_init 0
		.amdhsa_user_sgpr_kernarg_preload_length 0
		.amdhsa_user_sgpr_kernarg_preload_offset 0
		.amdhsa_user_sgpr_private_segment_size 0
		.amdhsa_uses_dynamic_stack 0
		.amdhsa_system_sgpr_private_segment_wavefront_offset 0
		.amdhsa_system_sgpr_workgroup_id_x 1
		.amdhsa_system_sgpr_workgroup_id_y 1
		.amdhsa_system_sgpr_workgroup_id_z 1
		.amdhsa_system_sgpr_workgroup_info 0
		.amdhsa_system_vgpr_workitem_id 0
		.amdhsa_next_free_vgpr 51
		.amdhsa_next_free_sgpr 29
		.amdhsa_accum_offset 52
		.amdhsa_reserve_vcc 1
		.amdhsa_reserve_flat_scratch 0
		.amdhsa_float_round_mode_32 0
		.amdhsa_float_round_mode_16_64 0
		.amdhsa_float_denorm_mode_32 3
		.amdhsa_float_denorm_mode_16_64 3
		.amdhsa_dx10_clamp 1
		.amdhsa_ieee_mode 1
		.amdhsa_fp16_overflow 0
		.amdhsa_tg_split 0
		.amdhsa_exception_fp_ieee_invalid_op 0
		.amdhsa_exception_fp_denorm_src 0
		.amdhsa_exception_fp_ieee_div_zero 0
		.amdhsa_exception_fp_ieee_overflow 0
		.amdhsa_exception_fp_ieee_underflow 0
		.amdhsa_exception_fp_ieee_inexact 0
		.amdhsa_exception_int_div_zero 0
	.end_amdhsa_kernel
	.section	.text._ZL26flash_attn_combine_resultsILi80EEvPKfPK15HIP_vector_typeIfLj2EEPfi,"axG",@progbits,_ZL26flash_attn_combine_resultsILi80EEvPKfPK15HIP_vector_typeIfLj2EEPfi,comdat
.Lfunc_end13:
	.size	_ZL26flash_attn_combine_resultsILi80EEvPKfPK15HIP_vector_typeIfLj2EEPfi, .Lfunc_end13-_ZL26flash_attn_combine_resultsILi80EEvPKfPK15HIP_vector_typeIfLj2EEPfi
                                        ; -- End function
	.section	.AMDGPU.csdata,"",@progbits
; Kernel info:
; codeLenInByte = 3136
; NumSgprs: 33
; NumVgprs: 51
; NumAgprs: 0
; TotalNumVgprs: 51
; ScratchSize: 0
; MemoryBound: 0
; FloatMode: 240
; IeeeMode: 1
; LDSByteSize: 0 bytes/workgroup (compile time only)
; SGPRBlocks: 4
; VGPRBlocks: 6
; NumSGPRsForWavesPerEU: 33
; NumVGPRsForWavesPerEU: 51
; AccumOffset: 52
; Occupancy: 8
; WaveLimiterHint : 1
; COMPUTE_PGM_RSRC2:SCRATCH_EN: 0
; COMPUTE_PGM_RSRC2:USER_SGPR: 6
; COMPUTE_PGM_RSRC2:TRAP_HANDLER: 0
; COMPUTE_PGM_RSRC2:TGID_X_EN: 1
; COMPUTE_PGM_RSRC2:TGID_Y_EN: 1
; COMPUTE_PGM_RSRC2:TGID_Z_EN: 1
; COMPUTE_PGM_RSRC2:TIDIG_COMP_CNT: 0
; COMPUTE_PGM_RSRC3_GFX90A:ACCUM_OFFSET: 12
; COMPUTE_PGM_RSRC3_GFX90A:TG_SPLIT: 0
	.section	.text._ZL18flash_attn_ext_f16ILi96ELi96ELi8ELi2ELb0ELb0EEvPKcS1_S1_S1_S1_PKiPfP15HIP_vector_typeIfLj2EEffffjfiS5_IjLj3EEiiiiiiiiiiiliiliiiiil,"axG",@progbits,_ZL18flash_attn_ext_f16ILi96ELi96ELi8ELi2ELb0ELb0EEvPKcS1_S1_S1_S1_PKiPfP15HIP_vector_typeIfLj2EEffffjfiS5_IjLj3EEiiiiiiiiiiiliiliiiiil,comdat
	.globl	_ZL18flash_attn_ext_f16ILi96ELi96ELi8ELi2ELb0ELb0EEvPKcS1_S1_S1_S1_PKiPfP15HIP_vector_typeIfLj2EEffffjfiS5_IjLj3EEiiiiiiiiiiiliiliiiiil ; -- Begin function _ZL18flash_attn_ext_f16ILi96ELi96ELi8ELi2ELb0ELb0EEvPKcS1_S1_S1_S1_PKiPfP15HIP_vector_typeIfLj2EEffffjfiS5_IjLj3EEiiiiiiiiiiiliiliiiiil
	.p2align	8
	.type	_ZL18flash_attn_ext_f16ILi96ELi96ELi8ELi2ELb0ELb0EEvPKcS1_S1_S1_S1_PKiPfP15HIP_vector_typeIfLj2EEffffjfiS5_IjLj3EEiiiiiiiiiiiliiliiiiil,@function
_ZL18flash_attn_ext_f16ILi96ELi96ELi8ELi2ELb0ELb0EEvPKcS1_S1_S1_S1_PKiPfP15HIP_vector_typeIfLj2EEffffjfiS5_IjLj3EEiiiiiiiiiiiliiliiiiil: ; @_ZL18flash_attn_ext_f16ILi96ELi96ELi8ELi2ELb0ELb0EEvPKcS1_S1_S1_S1_PKiPfP15HIP_vector_typeIfLj2EEffffjfiS5_IjLj3EEiiiiiiiiiiiliiliiiiil
; %bb.0:
	s_load_dwordx2 s[2:3], s[4:5], 0x80
	s_load_dwordx4 s[28:31], s[4:5], 0x64
	s_mov_b32 s44, s6
                                        ; implicit-def: $vgpr177 : SGPR spill to VGPR lane
	s_load_dword s35, s[4:5], 0xd0
	s_mov_b32 s0, 0
	s_waitcnt lgkmcnt(0)
	s_abs_i32 s1, s3
	v_cvt_f32_u32_e32 v1, s1
	s_sub_i32 s8, 0, s1
	s_abs_i32 s7, s29
	s_xor_b32 s6, s29, s3
	v_rcp_iflag_f32_e32 v1, v1
	s_ashr_i32 s6, s6, 31
	v_cvt_f32_ubyte0_e32 v3, 0
	v_mul_f32_e32 v1, 0x4f7ffffe, v1
	v_cvt_u32_f32_e32 v1, v1
	v_readfirstlane_b32 s9, v1
	s_mul_i32 s8, s8, s9
	s_mul_hi_u32 s8, s9, s8
	s_add_i32 s9, s9, s8
	s_mul_hi_u32 s8, s7, s9
	s_mul_i32 s9, s8, s1
	s_sub_i32 s7, s7, s9
	s_add_i32 s10, s8, 1
	s_sub_i32 s9, s7, s1
	s_cmp_ge_u32 s7, s1
	s_cselect_b32 s8, s10, s8
	s_cselect_b32 s7, s9, s7
	s_add_i32 s9, s8, 1
	s_cmp_ge_u32 s7, s1
	s_cselect_b32 s1, s9, s8
	s_add_i32 s2, s2, 63
	s_xor_b32 s1, s1, s6
	s_ashr_i32 s7, s2, 31
	s_sub_i32 s33, s1, s6
	s_lshr_b32 s1, s7, 26
	s_add_i32 s2, s2, s1
	s_add_i32 s1, s28, 7
	s_lshr_b32 s6, s1, 3
	s_add_i32 s1, s33, 1
	s_ashr_i32 s82, s2, 6
	s_lshr_b32 s2, s1, 31
	s_add_i32 s1, s1, s2
	s_ashr_i32 s1, s1, 1
	v_writelane_b32 v177, s6, 0
	s_mul_i32 s2, s6, s82
	v_writelane_b32 v177, s2, 1
	s_mul_i32 s1, s2, s1
	;; [unrolled: 2-line block ×3, first 2 shown]
	s_mul_i32 s6, s1, s30
	s_ashr_i32 s7, s6, 31
	v_cvt_f32_u32_e32 v1, s35
	v_writelane_b32 v177, s1, 3
	s_mul_i32 s1, s7, s44
	s_mul_hi_u32 s2, s6, s44
	s_add_i32 s1, s2, s1
	s_mul_i32 s8, s6, s44
	s_cmp_lg_u64 s[0:1], 0
	s_cbranch_scc0 .LBB14_2
; %bb.1:
	v_madmk_f32 v2, v3, 0x4f800000, v1
	v_rcp_f32_e32 v2, v2
	s_sub_u32 s0, 0, s35
	s_subb_u32 s9, 0, 0
	s_mov_b64 s[2:3], 0
	v_mul_f32_e32 v2, 0x5f7ffffc, v2
	v_mul_f32_e32 v4, 0x2f800000, v2
	v_trunc_f32_e32 v4, v4
	v_madmk_f32 v2, v4, 0xcf800000, v2
	v_cvt_u32_f32_e32 v4, v4
	v_cvt_u32_f32_e32 v2, v2
	v_readfirstlane_b32 s10, v4
	v_readfirstlane_b32 s11, v2
	s_mul_hi_u32 s13, s0, s11
	s_mul_i32 s14, s0, s10
	s_mul_i32 s12, s9, s11
	s_add_i32 s13, s13, s14
	s_add_i32 s13, s13, s12
	s_mul_i32 s15, s0, s11
	s_mul_hi_u32 s12, s11, s13
	s_mul_i32 s14, s11, s13
	s_mul_hi_u32 s11, s11, s15
	s_add_u32 s11, s11, s14
	s_addc_u32 s12, 0, s12
	s_mul_hi_u32 s16, s10, s15
	s_mul_i32 s15, s10, s15
	s_add_u32 s11, s11, s15
	s_mul_hi_u32 s14, s10, s13
	s_addc_u32 s11, s12, s16
	s_addc_u32 s12, s14, 0
	s_mul_i32 s13, s10, s13
	s_add_u32 s11, s11, s13
	s_addc_u32 s12, 0, s12
	v_add_co_u32_e32 v2, vcc, s11, v2
	s_cmp_lg_u64 vcc, 0
	s_addc_u32 s10, s10, s12
	v_readfirstlane_b32 s12, v2
	s_mul_i32 s11, s0, s10
	s_mul_hi_u32 s13, s0, s12
	s_add_i32 s11, s13, s11
	s_mul_i32 s9, s9, s12
	s_add_i32 s11, s11, s9
	s_mul_i32 s0, s0, s12
	s_mul_hi_u32 s13, s10, s0
	s_mul_i32 s14, s10, s0
	s_mul_i32 s16, s12, s11
	s_mul_hi_u32 s0, s12, s0
	s_mul_hi_u32 s15, s12, s11
	s_add_u32 s0, s0, s16
	s_addc_u32 s12, 0, s15
	s_add_u32 s0, s0, s14
	s_mul_hi_u32 s9, s10, s11
	s_addc_u32 s0, s12, s13
	s_addc_u32 s9, s9, 0
	s_mul_i32 s11, s10, s11
	s_add_u32 s0, s0, s11
	s_addc_u32 s9, 0, s9
	v_add_co_u32_e32 v2, vcc, s0, v2
	s_cmp_lg_u64 vcc, 0
	s_addc_u32 s9, s10, s9
	s_ashr_i32 s10, s1, 31
	s_add_u32 s0, s8, s10
	s_mov_b32 s11, s10
	s_addc_u32 s1, s1, s10
	s_xor_b64 s[0:1], s[0:1], s[10:11]
	v_readfirstlane_b32 s14, v2
	s_mul_i32 s13, s0, s9
	s_mul_hi_u32 s15, s0, s14
	s_mul_hi_u32 s12, s0, s9
	s_add_u32 s13, s15, s13
	s_addc_u32 s12, 0, s12
	s_mul_hi_u32 s16, s1, s14
	s_mul_i32 s14, s1, s14
	s_add_u32 s13, s13, s14
	s_mul_hi_u32 s15, s1, s9
	s_addc_u32 s12, s12, s16
	s_addc_u32 s13, s15, 0
	s_mul_i32 s9, s1, s9
	s_add_u32 s9, s12, s9
	s_addc_u32 s12, 0, s13
	s_add_u32 s13, s9, 1
	s_addc_u32 s14, s12, 0
	s_add_u32 s15, s9, 2
	s_mul_i32 s17, s35, s12
	s_mul_hi_u32 s18, s35, s9
	s_addc_u32 s16, s12, 0
	s_add_i32 s18, s18, s17
	s_mul_i32 s17, s35, s9
	v_mov_b32_e32 v2, s17
	v_sub_co_u32_e32 v2, vcc, s0, v2
	s_cmp_lg_u64 vcc, 0
	s_subb_u32 s0, s1, s18
	v_subrev_co_u32_e32 v4, vcc, s35, v2
	s_cmp_lg_u64 vcc, 0
	s_subb_u32 s1, s0, 0
	v_readfirstlane_b32 s17, v4
	s_cmp_ge_u32 s17, s35
	s_cselect_b32 s17, -1, 0
	s_cmp_eq_u32 s1, 0
	s_cselect_b32 s1, s17, -1
	s_cmp_lg_u32 s1, 0
	s_cselect_b32 s1, s16, s14
	v_readfirstlane_b32 s14, v2
	s_cselect_b32 s13, s15, s13
	s_cmp_ge_u32 s14, s35
	s_cselect_b32 s14, -1, 0
	s_cmp_eq_u32 s0, 0
	s_cselect_b32 s0, s14, -1
	s_cmp_lg_u32 s0, 0
	s_cselect_b32 s1, s1, s12
	s_cselect_b32 s0, s13, s9
	s_xor_b64 s[0:1], s[0:1], s[10:11]
	s_sub_u32 s50, s0, s10
	s_branch .LBB14_3
.LBB14_2:
	s_mov_b64 s[2:3], -1
                                        ; implicit-def: $sgpr50_sgpr51
.LBB14_3:
	s_load_dwordx2 s[0:1], s[4:5], 0x74
	v_cvt_f32_u32_e32 v2, s35
	s_andn2_b64 vcc, exec, s[2:3]
	s_waitcnt lgkmcnt(0)
	v_writelane_b32 v177, s0, 4
	v_writelane_b32 v177, s1, 5
	s_cbranch_vccnz .LBB14_5
; %bb.4:
	v_rcp_iflag_f32_e32 v4, v2
	s_sub_i32 s0, 0, s35
	v_mul_f32_e32 v4, 0x4f7ffffe, v4
	v_cvt_u32_f32_e32 v4, v4
	v_readfirstlane_b32 s1, v4
	s_mul_i32 s0, s0, s1
	s_mul_hi_u32 s0, s1, s0
	s_add_i32 s1, s1, s0
	s_mul_hi_u32 s0, s8, s1
	s_mul_i32 s2, s0, s35
	s_sub_i32 s2, s8, s2
	s_add_i32 s1, s0, 1
	s_sub_i32 s3, s2, s35
	s_cmp_ge_u32 s2, s35
	s_cselect_b32 s0, s1, s0
	s_cselect_b32 s2, s3, s2
	s_add_i32 s1, s0, 1
	s_cmp_ge_u32 s2, s35
	s_cselect_b32 s50, s1, s0
.LBB14_5:
	s_add_i32 s0, s44, 1
	s_mul_i32 s1, s7, s0
	s_mul_hi_u32 s2, s6, s0
	s_add_i32 s3, s2, s1
	s_mov_b32 s2, 0
	s_cmp_lg_u64 s[2:3], 0
	s_mul_i32 s2, s6, s0
	s_cbranch_scc0 .LBB14_196
; %bb.6:
	v_madmk_f32 v1, v3, 0x4f800000, v1
	v_rcp_f32_e32 v1, v1
	s_sub_u32 s6, 0, s35
	s_subb_u32 s7, 0, 0
	v_mul_f32_e32 v1, 0x5f7ffffc, v1
	v_mul_f32_e32 v3, 0x2f800000, v1
	v_trunc_f32_e32 v3, v3
	v_madmk_f32 v1, v3, 0xcf800000, v1
	v_cvt_u32_f32_e32 v3, v3
	v_cvt_u32_f32_e32 v1, v1
	v_readfirstlane_b32 s8, v3
	v_readfirstlane_b32 s9, v1
	s_mul_hi_u32 s11, s6, s9
	s_mul_i32 s12, s6, s8
	s_mul_i32 s10, s7, s9
	s_add_i32 s11, s11, s12
	s_add_i32 s11, s11, s10
	s_mul_i32 s13, s6, s9
	s_mul_hi_u32 s10, s9, s11
	s_mul_i32 s12, s9, s11
	s_mul_hi_u32 s9, s9, s13
	s_add_u32 s9, s9, s12
	s_addc_u32 s10, 0, s10
	s_mul_hi_u32 s14, s8, s13
	s_mul_i32 s13, s8, s13
	s_add_u32 s9, s9, s13
	s_mul_hi_u32 s12, s8, s11
	s_addc_u32 s9, s10, s14
	s_addc_u32 s10, s12, 0
	s_mul_i32 s11, s8, s11
	s_add_u32 s9, s9, s11
	s_addc_u32 s10, 0, s10
	v_add_co_u32_e32 v1, vcc, s9, v1
	s_cmp_lg_u64 vcc, 0
	s_addc_u32 s8, s8, s10
	v_readfirstlane_b32 s10, v1
	s_mul_i32 s9, s6, s8
	s_mul_hi_u32 s11, s6, s10
	s_add_i32 s9, s11, s9
	s_mul_i32 s7, s7, s10
	s_add_i32 s9, s9, s7
	s_mul_i32 s6, s6, s10
	s_mul_hi_u32 s11, s8, s6
	s_mul_i32 s12, s8, s6
	s_mul_i32 s14, s10, s9
	s_mul_hi_u32 s6, s10, s6
	s_mul_hi_u32 s13, s10, s9
	s_add_u32 s6, s6, s14
	s_addc_u32 s10, 0, s13
	s_add_u32 s6, s6, s12
	s_mul_hi_u32 s7, s8, s9
	s_addc_u32 s6, s10, s11
	s_addc_u32 s7, s7, 0
	s_mul_i32 s9, s8, s9
	s_add_u32 s6, s6, s9
	s_addc_u32 s7, 0, s7
	v_add_co_u32_e32 v1, vcc, s6, v1
	s_cmp_lg_u64 vcc, 0
	s_addc_u32 s10, s8, s7
	s_ashr_i32 s6, s3, 31
	s_add_u32 s8, s2, s6
	s_mov_b32 s7, s6
	s_addc_u32 s9, s3, s6
	s_xor_b64 s[8:9], s[8:9], s[6:7]
	v_readfirstlane_b32 s12, v1
	s_mul_i32 s11, s8, s10
	s_mul_hi_u32 s13, s8, s12
	s_mul_hi_u32 s3, s8, s10
	s_add_u32 s11, s13, s11
	s_addc_u32 s3, 0, s3
	s_mul_hi_u32 s14, s9, s12
	s_mul_i32 s12, s9, s12
	s_add_u32 s11, s11, s12
	s_mul_hi_u32 s13, s9, s10
	s_addc_u32 s3, s3, s14
	s_addc_u32 s11, s13, 0
	s_mul_i32 s10, s9, s10
	s_add_u32 s3, s3, s10
	s_addc_u32 s10, 0, s11
	s_add_u32 s11, s3, 1
	s_addc_u32 s12, s10, 0
	s_add_u32 s13, s3, 2
	s_mul_i32 s15, s35, s10
	s_mul_hi_u32 s16, s35, s3
	s_addc_u32 s14, s10, 0
	s_add_i32 s16, s16, s15
	s_mul_i32 s15, s35, s3
	v_mov_b32_e32 v1, s15
	v_sub_co_u32_e32 v1, vcc, s8, v1
	s_cmp_lg_u64 vcc, 0
	s_subb_u32 s8, s9, s16
	v_subrev_co_u32_e32 v3, vcc, s35, v1
	s_cmp_lg_u64 vcc, 0
	s_subb_u32 s9, s8, 0
	v_readfirstlane_b32 s15, v3
	s_cmp_ge_u32 s15, s35
	s_cselect_b32 s15, -1, 0
	s_cmp_eq_u32 s9, 0
	s_cselect_b32 s9, s15, -1
	s_cmp_lg_u32 s9, 0
	s_cselect_b32 s9, s14, s12
	v_readfirstlane_b32 s12, v1
	s_cselect_b32 s11, s13, s11
	s_cmp_ge_u32 s12, s35
	s_cselect_b32 s12, -1, 0
	s_cmp_eq_u32 s8, 0
	s_cselect_b32 s8, s12, -1
	s_cmp_lg_u32 s8, 0
	s_cselect_b32 s9, s9, s10
	s_cselect_b32 s8, s11, s3
	s_xor_b64 s[8:9], s[8:9], s[6:7]
	s_sub_u32 s54, s8, s6
	s_load_dwordx2 s[40:41], s[4:5], 0x5c
	s_cbranch_execnz .LBB14_8
.LBB14_7:
	v_rcp_iflag_f32_e32 v1, v2
	s_sub_i32 s0, 0, s35
	v_mul_f32_e32 v1, 0x4f7ffffe, v1
	v_cvt_u32_f32_e32 v1, v1
	v_readfirstlane_b32 s1, v1
	s_mul_i32 s0, s0, s1
	s_mul_hi_u32 s0, s1, s0
	s_add_i32 s1, s1, s0
	s_mul_hi_u32 s0, s2, s1
	s_mul_i32 s3, s0, s35
	s_sub_i32 s2, s2, s3
	s_add_i32 s1, s0, 1
	s_sub_i32 s3, s2, s35
	s_cmp_ge_u32 s2, s35
	s_cselect_b32 s0, s1, s0
	s_cselect_b32 s2, s3, s2
	s_add_i32 s1, s0, 1
	s_cmp_ge_u32 s2, s35
	s_cselect_b32 s54, s1, s0
.LBB14_8:
	s_abs_i32 s83, s82
	v_cvt_f32_u32_e32 v1, s83
	v_readlane_b32 s0, v177, 4
	s_load_dwordx16 s[12:27], s[4:5], 0x0
	s_load_dword s6, s[4:5], 0x40
	s_load_dwordx2 s[2:3], s[4:5], 0x8c
	s_load_dwordx4 s[36:39], s[4:5], 0x98
	s_load_dwordx2 s[42:43], s[4:5], 0xa8
	s_load_dwordx2 s[52:53], s[4:5], 0xb8
	;; [unrolled: 1-line block ×3, first 2 shown]
	v_readlane_b32 s1, v177, 5
	v_rcp_iflag_f32_e32 v1, v1
	s_waitcnt lgkmcnt(0)
	s_mov_b32 s1, s3
	s_ashr_i32 s34, s2, 2
	s_sub_i32 s2, 0, s83
	v_mul_f32_e32 v1, 0x4f7ffffe, v1
	v_cvt_u32_f32_e32 v1, v1
	s_ashr_i32 s45, s0, 3
	v_writelane_b32 v177, s0, 6
	v_writelane_b32 v177, s1, 7
	v_readfirstlane_b32 s48, v1
	s_mul_i32 s2, s2, s48
	s_ashr_i32 s1, s82, 31
	s_mul_hi_u32 s2, s48, s2
	v_writelane_b32 v177, s1, 8
	s_abs_i32 s1, s50
	s_add_i32 s48, s48, s2
	s_mul_hi_u32 s2, s1, s48
	s_mul_i32 s2, s2, s83
	s_sub_i32 s1, s1, s2
	s_ashr_i32 s51, s31, 3
	s_ashr_i32 s10, s53, 1
	;; [unrolled: 1-line block ×4, first 2 shown]
	s_sub_i32 s2, s1, s83
	s_cmp_ge_u32 s1, s83
	s_cselect_b32 s1, s2, s1
	s_sub_i32 s2, s1, s83
	s_cmp_ge_u32 s1, s83
	s_cselect_b32 s1, s2, s1
	s_xor_b32 s1, s1, s0
	s_sub_i32 s72, s1, s0
	s_sub_i32 s0, s54, s50
	s_add_i32 s2, s0, s72
	s_min_i32 s78, s82, s2
	s_cmp_gt_i32 s54, s50
	s_cselect_b64 s[8:9], -1, 0
	s_cmp_le_i32 s54, s50
	v_cvt_f16_f32_e32 v1, s6
	s_cselect_b64 s[0:1], -1, 0
	s_cmp_gt_i32 s82, s2
	s_cselect_b64 s[2:3], -1, 0
	s_or_b64 s[0:1], s[2:3], s[0:1]
	v_bfe_u32 v37, v0, 10, 10
	s_mov_b32 s57, 0
	s_and_b64 vcc, exec, s[0:1]
	v_pack_b32_f16 v35, v1, v1
	v_lshlrev_b32_e32 v43, 1, v37
	v_lshlrev_b32_e32 v39, 2, v37
	v_and_b32_e32 v41, 3, v37
	s_cbranch_vccz .LBB14_11
; %bb.9:
	s_andn2_b64 vcc, exec, s[8:9]
	s_cbranch_vccz .LBB14_180
.LBB14_10:
	s_endpgm
.LBB14_11:
	s_cmp_eq_u64 s[20:21], 0
	v_writelane_b32 v177, s35, 9
	s_cselect_b64 s[0:1], -1, 0
	v_writelane_b32 v177, s0, 10
	s_cmp_lg_u64 s[22:23], 0
	v_writelane_b32 v177, s1, 11
	s_cselect_b64 s[0:1], -1, 0
	v_and_b32_e32 v1, 0x3ff, v0
	v_writelane_b32 v177, s0, 12
	v_lshrrev_b32_e32 v4, 3, v1
	v_writelane_b32 v177, s1, 13
	v_and_b32_e32 v14, 15, v1
	v_and_b32_e32 v3, 0x3f0, v39
	s_movk_i32 s0, 0xd0
	v_and_b32_e32 v6, 30, v4
	v_mad_u32_u24 v2, v3, s0, 0
	v_mul_u32_u24_e32 v5, 0xd0, v14
	v_lshlrev_b32_e32 v7, 2, v6
	v_lshrrev_b32_e32 v10, 5, v1
	v_add3_u32 v55, v2, v5, v7
	v_lshlrev_b32_e32 v2, 1, v1
	v_add_u32_e32 v49, v10, v43
	v_and_b32_e32 v16, 62, v2
	v_lshlrev_b32_e32 v12, 4, v37
	v_lshrrev_b32_e32 v9, 2, v1
	v_lshlrev_b32_e32 v15, 2, v1
	v_mul_u32_u24_e32 v8, 0x90, v49
	v_add_u32_e32 v13, v12, v9
	v_and_b32_e32 v2, 12, v15
	v_lshlrev_b32_e32 v22, 1, v16
	v_lshl_add_u32 v17, v37, 3, v4
	v_and_b32_e32 v4, 28, v15
	v_and_b32_e32 v15, 48, v12
	;; [unrolled: 1-line block ×3, first 2 shown]
	v_add3_u32 v59, 0, v8, v22
	v_mad_u32_u24 v8, v13, s0, 0
	v_lshlrev_b32_e32 v22, 2, v2
	s_movk_i32 s53, 0x80
	v_mul_u32_u24_e32 v18, 0xd0, v17
	v_and_or_b32 v3, v1, 14, v3
	v_add_u16_e32 v20, v15, v19
	v_add3_u32 v61, v8, v22, s53
	v_lshlrev_b32_e32 v8, 2, v4
	v_lshrrev_b32_e32 v3, 1, v3
	v_lshrrev_b16_e32 v20, 1, v20
	v_add3_u32 v64, 0, v18, v8
	v_mad_u32_u24 v8, v15, s0, 0
	v_mul_u32_u24_e32 v3, 0x90, v3
	v_or_b32_e32 v9, 3, v9
	v_add3_u32 v65, v8, v5, v7
	v_lshlrev_b32_e32 v5, 2, v20
	s_lshl_b32 s56, s44, 4
	s_ashr_i32 s11, s10, 31
	s_ashr_i32 s35, s34, 31
	;; [unrolled: 1-line block ×3, first 2 shown]
	v_mul_u32_u24_e32 v21, 0x68, v19
	v_mul_u32_u24_e32 v19, 0xd0, v19
	;; [unrolled: 1-line block ×3, first 2 shown]
	v_add3_u32 v66, 0, v3, v5
	v_lshlrev_b32_e32 v3, 1, v14
	s_lshl_b64 s[0:1], s[56:57], 3
	v_add3_u32 v68, v8, v19, v3
	v_add3_u32 v69, v8, v9, v3
	s_add_u32 s0, s26, s0
	v_or_b32_e32 v3, v39, v1
	s_addc_u32 s1, s27, s1
	v_lshlrev_b32_e32 v3, 3, v3
	v_lshrrev_b32_e32 v15, 1, v37
	v_mov_b32_e32 v5, s1
	v_add_co_u32_e32 v18, vcc, s0, v3
	v_add_u32_e32 v25, v10, v15
	v_or_b32_e32 v3, v12, v14
	v_addc_co_u32_e32 v19, vcc, 0, v5, vcc
	v_mad_u32_u24 v26, v3, 52, v6
	v_lshlrev_b32_e32 v3, 2, v25
	v_and_b32_e32 v5, 15, v25
	s_movk_i32 s0, 0x3c0
	v_add_u32_e32 v28, 2, v25
	v_and_or_b32 v27, v3, s0, v5
	v_lshlrev_b32_e32 v3, 2, v28
	v_and_b32_e32 v5, 15, v28
	s_movk_i32 s0, 0x7c0
	v_add_u32_e32 v30, 4, v25
	v_and_or_b32 v29, v3, s0, v5
	v_lshlrev_b32_e32 v3, 2, v30
	v_and_b32_e32 v5, 15, v30
	v_add_u32_e32 v32, 6, v25
	v_and_or_b32 v31, v3, s0, v5
	v_lshlrev_b32_e32 v3, 2, v32
	v_and_b32_e32 v5, 15, v32
	;; [unrolled: 4-line block ×4, first 2 shown]
	v_add_u32_e32 v44, 12, v25
	v_lshrrev_b32_e32 v11, 4, v1
	v_and_or_b32 v42, v3, s0, v5
	v_lshlrev_b32_e32 v3, 2, v44
	v_and_b32_e32 v5, 15, v44
	v_add_u32_e32 v46, 14, v25
	v_writelane_b32 v177, s44, 14
	v_add_u32_e32 v40, v11, v37
	v_and_or_b32 v45, v3, s0, v5
	v_lshlrev_b32_e32 v3, 2, v46
	v_and_b32_e32 v5, 15, v46
	v_and_or_b32 v47, v3, s0, v5
	v_lshlrev_b32_e32 v3, 2, v40
	v_and_b32_e32 v5, 15, v40
	v_add_u32_e32 v50, 4, v40
	v_readlane_b32 s9, v177, 3
	v_and_or_b32 v48, v3, s0, v5
	v_lshlrev_b32_e32 v3, 2, v50
	v_and_b32_e32 v5, 15, v50
	s_movk_i32 s0, 0xfc0
	s_abs_i32 s84, s9
	v_and_or_b32 v51, v3, s0, v5
	v_cvt_f32_u32_e32 v3, s84
	v_add_u32_e32 v52, 8, v40
	v_readlane_b32 s44, v177, 2
	v_lshlrev_b32_e32 v5, 2, v52
	v_and_b32_e32 v6, 15, v52
	v_rcp_iflag_f32_e32 v3, v3
	s_abs_i32 s85, s44
	v_and_or_b32 v53, v5, s0, v6
	v_cvt_f32_u32_e32 v6, s85
	v_add_u32_e32 v54, 12, v40
	v_readlane_b32 s38, v177, 1
	v_lshlrev_b32_e32 v5, 2, v54
	v_mul_f32_e32 v3, 0x4f7ffffe, v3
	v_and_b32_e32 v7, 15, v54
	s_abs_i32 s86, s38
	s_abs_i32 s87, s52
	v_cvt_u32_f32_e32 v3, v3
	v_and_or_b32 v56, v5, s0, v7
	v_rcp_iflag_f32_e32 v5, v6
	v_cvt_f32_u32_e32 v6, s86
	v_cvt_f32_u32_e32 v7, s87
	v_readfirstlane_b32 s6, v3
	v_add_u16_e32 v15, v10, v15
	v_rcp_iflag_f32_e32 v3, v6
	v_rcp_iflag_f32_e32 v6, v7
	v_add_u16_e32 v10, v10, v43
	v_and_b32_e32 v24, 31, v1
	v_mul_f32_e32 v3, 0x4f7ffffe, v3
	v_mul_f32_e32 v6, 0x4f7ffffe, v6
	v_cvt_u32_f32_e32 v3, v3
	v_cvt_u32_f32_e32 v6, v6
	s_mov_b32 s0, s52
	v_lshrrev_b16_e32 v75, 1, v10
	v_mad_u32_u24 v10, v49, 52, v24
	v_writelane_b32 v177, s0, 15
	v_lshl_add_u32 v76, v10, 2, 0
	v_add_u32_e32 v10, 8, v49
	v_writelane_b32 v177, s1, 16
	s_sub_i32 s0, 0, s87
	v_lshrrev_b32_e32 v77, 1, v10
	v_or_b32_e32 v10, v12, v1
	v_mul_f32_e32 v5, 0x4f7ffffe, v5
	v_readfirstlane_b32 s8, v3
	v_mul_lo_u32 v3, s0, v6
	v_mul_u32_u24_e32 v78, 0xd0, v10
	v_add_u32_e32 v10, v12, v1
	v_cvt_u32_f32_e32 v5, v5
	v_mul_hi_u32 v3, v6, v3
	v_mul_u32_u24_e32 v79, 0xd0, v10
	v_mad_u32_u24 v10, v27, 52, v24
	v_add_u32_e32 v70, v6, v3
	v_mul_lo_u32 v6, s30, v13
	v_lshl_add_u32 v83, v10, 2, 0
	v_mad_u32_u24 v10, v29, 52, v24
	v_or_b32_e32 v21, v21, v14
	v_ashrrev_i32_e32 v7, 31, v6
	v_and_b32_e32 v3, 3, v1
	v_lshl_add_u32 v86, v10, 2, 0
	v_mad_u32_u24 v10, v31, 52, v24
	v_lshl_add_u32 v67, v21, 1, v8
	v_lshlrev_b32_e32 v3, 4, v3
	v_lshlrev_b64 v[20:21], 2, v[6:7]
	v_lshl_add_u32 v89, v10, 2, 0
	v_mad_u32_u24 v10, v33, 52, v24
	v_readfirstlane_b32 s7, v5
	v_add_co_u32_e32 v5, vcc, v3, v20
	v_lshl_add_u32 v92, v10, 2, 0
	v_mad_u32_u24 v10, v36, 52, v24
	v_addc_co_u32_e32 v6, vcc, 0, v21, vcc
	v_lshl_add_u32 v95, v10, 2, 0
	v_mad_u32_u24 v10, v42, 52, v24
	v_mov_b32_e32 v7, s17
	v_add_co_u32_e32 v57, vcc, s16, v5
	v_lshl_add_u32 v98, v10, 2, 0
	v_mad_u32_u24 v10, v45, 52, v24
	v_addc_co_u32_e32 v58, vcc, v6, v7, vcc
	v_mul_lo_u32 v6, s34, v13
	v_lshl_add_u32 v101, v10, 2, 0
	v_mad_u32_u24 v10, v47, 52, v24
	v_ashrrev_i32_e32 v7, 31, v6
	v_lshl_add_u32 v104, v10, 2, 0
	v_add_u16_e32 v10, v11, v37
	v_lshlrev_b64 v[22:23], 2, v[6:7]
	v_lshrrev_b16_e32 v105, 1, v10
	v_mad_u32_u24 v10, v48, 52, v14
	v_add_co_u32_e32 v3, vcc, v3, v22
	v_lshl_add_u32 v107, v10, 2, 0
	v_mad_u32_u24 v10, v51, 52, v14
	v_addc_co_u32_e32 v5, vcc, 0, v23, vcc
	v_lshl_add_u32 v110, v10, 2, 0
	v_mad_u32_u24 v10, v53, 52, v14
	v_mov_b32_e32 v6, s15
	v_add_co_u32_e32 v13, vcc, s14, v3
	v_lshl_add_u32 v113, v10, 2, 0
	v_mad_u32_u24 v10, v56, 52, v14
	v_addc_co_u32_e32 v60, vcc, v5, v6, vcc
	v_lshlrev_b32_e32 v71, 2, v2
	v_add_u16_e32 v2, v39, v11
	v_lshl_add_u32 v116, v10, 2, 0
	v_lshlrev_b32_e32 v10, 2, v24
	v_lshrrev_b16_e32 v73, 1, v2
	v_add_u32_e32 v2, v39, v11
	s_ashr_i32 s9, s9, 31
	v_mov_b32_e32 v11, s19
	v_add_co_u32_e32 v117, vcc, s18, v10
	v_mul_lo_u32 v6, s30, v17
	v_writelane_b32 v177, s9, 17
	s_sub_i32 s9, 0, s84
	v_addc_co_u32_e32 v118, vcc, 0, v11, vcc
	v_ashrrev_i32_e32 v7, 31, v6
	s_mul_i32 s9, s9, s6
	v_add_co_u32_e32 v119, vcc, s53, v57
	v_lshl_add_u32 v8, s30, 5, v6
	v_lshl_add_u32 v80, v26, 2, 0
	v_mul_u32_u24_e32 v82, 0xd0, v27
	s_mul_hi_u32 s9, s6, s9
	v_addc_co_u32_e32 v120, vcc, 0, v58, vcc
	v_lshlrev_b64 v[26:27], 2, v[6:7]
	v_ashrrev_i32_e32 v9, 31, v8
	s_add_i32 s6, s6, s9
	v_mov_b32_e32 v6, s17
	v_add_co_u32_e32 v121, vcc, s16, v26
	v_lshrrev_b32_e32 v84, 1, v28
	v_mul_u32_u24_e32 v85, 0xd0, v29
	v_writelane_b32 v177, s6, 18
	s_ashr_i32 s6, s44, 31
	v_addc_co_u32_e32 v122, vcc, v6, v27, vcc
	v_lshlrev_b64 v[28:29], 2, v[8:9]
	v_mad_u32_u24 v2, v2, 52, v14
	v_writelane_b32 v177, s6, 19
	s_sub_i32 s6, 0, s85
	v_add_co_u32_e32 v123, vcc, s16, v28
	v_lshl_add_u32 v74, v2, 2, 0
	v_mul_lo_u32 v2, s34, v17
	s_mul_i32 s6, s6, s7
	v_addc_co_u32_e32 v124, vcc, v6, v29, vcc
	v_ashrrev_i32_e32 v3, 31, v2
	s_mul_hi_u32 s6, s7, s6
	v_add_co_u32_e32 v125, vcc, s53, v13
	v_lshlrev_b32_e32 v72, 2, v4
	v_lshl_add_u32 v4, s34, 5, v2
	v_lshrrev_b32_e32 v87, 1, v30
	v_mul_u32_u24_e32 v88, 0xd0, v31
	s_add_i32 s6, s7, s6
	v_addc_co_u32_e32 v126, vcc, 0, v60, vcc
	v_lshlrev_b64 v[30:31], 2, v[2:3]
	v_ashrrev_i32_e32 v5, 31, v4
	v_writelane_b32 v177, s6, 20
	s_sub_i32 s6, 0, s86
	v_mov_b32_e32 v2, s15
	v_add_co_u32_e32 v127, vcc, s14, v30
	v_lshrrev_b32_e32 v90, 1, v32
	v_mul_u32_u24_e32 v91, 0xd0, v33
	s_mul_i32 s6, s6, s8
	v_addc_co_u32_e32 v128, vcc, v2, v31, vcc
	v_lshlrev_b64 v[32:33], 2, v[4:5]
	s_mul_hi_u32 s6, s8, s6
	v_add_co_u32_e32 v129, vcc, s14, v32
	v_bfe_u32 v132, v1, 4, 1
	s_add_i32 s94, s8, s6
	s_lshl_b64 s[6:7], s[10:11], 1
	v_addc_co_u32_e32 v130, vcc, v2, v33, vcc
	v_mul_lo_u32 v2, s45, v132
	v_lshrrev_b32_e32 v93, 1, v34
	v_writelane_b32 v177, s6, 21
	v_bfe_u32 v131, v1, 5, 1
	v_add3_u32 v34, v2, v14, 32
	v_and_b32_e32 v2, 7, v1
	v_mbcnt_lo_u32_b32 v140, -1, 0
	v_cmp_eq_u32_e64 s[0:1], 0, v41
	v_cmp_ne_u32_e64 s[2:3], 0, v41
	v_cmp_gt_u32_e64 s[4:5], 16, v1
	v_lshrrev_b16_e32 v81, 1, v15
	v_mul_u32_u24_e32 v94, 0xd0, v36
	v_lshrrev_b32_e32 v96, 1, v38
	v_mul_u32_u24_e32 v97, 0xd0, v42
	v_lshrrev_b32_e32 v99, 1, v44
	;; [unrolled: 2-line block ×3, first 2 shown]
	v_mul_u32_u24_e32 v103, 0xd0, v47
	v_mul_u32_u24_e32 v106, 0xd0, v48
	v_lshrrev_b32_e32 v108, 1, v50
	v_mul_u32_u24_e32 v109, 0xd0, v51
	v_lshrrev_b32_e32 v111, 1, v52
	v_mul_u32_u24_e32 v112, 0xd0, v53
	v_lshrrev_b32_e32 v114, 1, v54
	v_mul_u32_u24_e32 v115, 0xd0, v56
	s_ashr_i32 s93, s38, 31
	v_writelane_b32 v177, s7, 22
	s_lshl_b64 s[64:65], s[30:31], 8
	s_lshl_b64 s[66:67], s[34:35], 8
	s_mov_b32 s11, 0x3fb8aa3b
	s_mov_b32 s63, 0xc2ce8ed0
	s_mov_b32 s95, 0x42b17218
	s_mov_b32 s52, 0xc1a00000
	s_mov_b32 s55, 0x5040100
	s_movk_i32 s62, 0x47
	v_mov_b32_e32 v133, 0
	v_add_u32_e32 v134, 0x1a00, v64
	v_add_u32_e32 v135, 32, v68
	;; [unrolled: 1-line block ×6, first 2 shown]
	v_and_b32_e32 v36, 1, v1
	v_and_b32_e32 v38, 1, v25
	;; [unrolled: 1-line block ×3, first 2 shown]
	v_lshlrev_b32_e32 v42, 4, v2
	v_mbcnt_hi_u32_b32 v141, -1, v140
	v_mov_b32_e32 v142, 0x7f800000
	v_mad_u64_u32 v[44:45], s[6:7], s45, v131, v[24:25]
	v_writelane_b32 v177, s45, 23
	s_branch .LBB14_14
.LBB14_12:                              ;   in Loop: Header=BB14_14 Depth=1
	s_or_b64 exec, exec, s[68:69]
	s_barrier
.LBB14_13:                              ;   in Loop: Header=BB14_14 Depth=1
	s_add_i32 s6, s50, s82
	s_abs_i32 s8, s6
	s_mul_hi_u32 s9, s8, s48
	s_mul_i32 s9, s9, s83
	s_sub_i32 s8, s8, s9
	s_ashr_i32 s7, s6, 31
	s_sub_i32 s9, s8, s83
	s_cmp_ge_u32 s8, s83
	s_cselect_b32 s8, s9, s8
	s_sub_i32 s9, s8, s83
	s_cmp_ge_u32 s8, s83
	s_cselect_b32 s8, s9, s8
	s_xor_b32 s8, s8, s7
	s_sub_i32 s7, s7, s8
	s_add_i32 s50, s6, s7
	s_sub_i32 s6, s54, s50
	s_min_i32 s78, s82, s6
	s_cmp_gt_i32 s54, s50
	s_cselect_b64 s[8:9], -1, 0
	s_cmp_le_i32 s82, s6
	s_cselect_b64 s[6:7], -1, 0
	s_and_b64 s[6:7], s[6:7], s[8:9]
	s_mov_b32 s72, 0
	s_and_b64 vcc, exec, s[6:7]
	s_cbranch_vccz .LBB14_179
.LBB14_14:                              ; =>This Loop Header: Depth=1
                                        ;     Child Loop BB14_115 Depth 2
                                        ;     Child Loop BB14_33 Depth 2
	s_ashr_i32 s6, s50, 31
	v_readlane_b32 s7, v177, 17
	s_xor_b32 s6, s6, s7
	s_abs_i32 s7, s50
	v_readlane_b32 s8, v177, 18
	s_mul_hi_u32 s8, s7, s8
	s_mul_i32 s9, s8, s84
	s_sub_i32 s7, s7, s9
	s_add_i32 s9, s8, 1
	s_sub_i32 s38, s7, s84
	s_cmp_ge_u32 s7, s84
	s_cselect_b32 s8, s9, s8
	s_cselect_b32 s7, s38, s7
	s_add_i32 s9, s8, 1
	s_cmp_ge_u32 s7, s84
	s_cselect_b32 s7, s9, s8
	s_xor_b32 s7, s7, s6
	s_sub_i32 s8, s7, s6
	v_readlane_b32 s6, v177, 3
	s_mul_i32 s6, s8, s6
	s_sub_i32 s6, s50, s6
	s_ashr_i32 s7, s6, 31
	v_readlane_b32 s9, v177, 19
	s_xor_b32 s7, s7, s9
	s_abs_i32 s9, s6
	v_readlane_b32 s38, v177, 20
	s_mul_hi_u32 s38, s9, s38
	s_mul_i32 s44, s38, s85
	s_sub_i32 s9, s9, s44
	s_add_i32 s44, s38, 1
	s_sub_i32 s45, s9, s85
	s_cmp_ge_u32 s9, s85
	s_cselect_b32 s38, s44, s38
	s_cselect_b32 s9, s45, s9
	s_add_i32 s44, s38, 1
	s_cmp_ge_u32 s9, s85
	s_cselect_b32 s9, s44, s38
	s_xor_b32 s9, s9, s7
	s_sub_i32 s9, s9, s7
	v_readlane_b32 s7, v177, 2
	s_mul_i32 s7, s9, s7
	s_sub_i32 s7, s6, s7
	s_abs_i32 s38, s7
	s_mul_hi_u32 s44, s38, s94
	s_mul_i32 s45, s44, s86
	s_ashr_i32 s6, s7, 31
	s_sub_i32 s38, s38, s45
	s_xor_b32 s6, s6, s93
	s_add_i32 s45, s44, 1
	s_sub_i32 s49, s38, s86
	s_cmp_ge_u32 s38, s86
	s_cselect_b32 s44, s45, s44
	s_cselect_b32 s38, s49, s38
	s_add_i32 s45, s44, 1
	s_cmp_ge_u32 s38, s86
	s_cselect_b32 s38, s45, s44
	s_xor_b32 s38, s38, s6
	s_sub_i32 s6, s38, s6
	v_readlane_b32 s38, v177, 1
	s_mul_i32 s38, s6, s38
	s_sub_i32 s7, s7, s38
	s_ashr_i32 s38, s7, 31
	v_readlane_b32 s44, v177, 8
	s_abs_i32 s7, s7
	s_xor_b32 s38, s38, s44
	s_mul_hi_u32 s44, s7, s48
	s_mul_i32 s45, s44, s83
	s_sub_i32 s7, s7, s45
	s_add_i32 s45, s44, 1
	s_sub_i32 s49, s7, s83
	s_cmp_ge_u32 s7, s83
	s_cselect_b32 s44, s45, s44
	s_cselect_b32 s7, s49, s7
	s_add_i32 s45, s44, 1
	s_cmp_ge_u32 s7, s83
	s_cselect_b32 s7, s45, s44
	v_readlane_b32 s44, v177, 12
	s_xor_b32 s7, s7, s38
	v_readlane_b32 s45, v177, 13
	s_andn2_b64 vcc, exec, s[44:45]
	s_sub_i32 s91, s7, s38
	s_cbranch_vccnz .LBB14_16
; %bb.15:                               ;   in Loop: Header=BB14_14 Depth=1
	v_readlane_b32 s7, v177, 0
	s_mul_i32 s7, s8, s7
	s_add_i32 s44, s91, s7
	s_ashr_i32 s45, s44, 31
	s_lshl_b64 s[44:45], s[44:45], 2
	s_add_u32 s44, s22, s44
	s_addc_u32 s45, s23, s45
	global_load_dword v1, v133, s[44:45]
	s_waitcnt vmcnt(0)
	v_readfirstlane_b32 s7, v1
	s_ashr_i32 s38, s7, 31
	s_lshr_b32 s38, s38, 26
	s_add_i32 s7, s7, s38
	s_ashr_i32 s7, s7, 6
	s_min_i32 s78, s78, s7
.LBB14_16:                              ;   in Loop: Header=BB14_14 Depth=1
	v_readlane_b32 s44, v177, 4
	v_readlane_b32 s45, v177, 5
	s_mul_i32 s7, s9, s33
	s_lshl_b32 s88, s6, 1
	s_mul_i32 s6, s8, s45
	s_add_i32 s68, s88, s7
	s_ashr_i32 s7, s6, 31
	s_add_u32 s6, s12, s6
	s_mul_i32 s38, s68, s44
	s_addc_u32 s7, s13, s7
	s_ashr_i32 s44, s38, 31
	s_add_u32 s89, s6, s38
	s_addc_u32 s90, s7, s44
	s_ashr_i32 s38, s8, 31
	s_mul_i32 s6, s8, s37
	s_mul_hi_u32 s7, s8, s36
	s_add_i32 s6, s7, s6
	s_mul_i32 s7, s38, s36
	v_readlane_b32 s44, v177, 6
	s_add_i32 s58, s6, s7
	s_mul_i32 s59, s8, s36
	v_readlane_b32 s45, v177, 7
	s_add_u32 s6, s14, s59
	s_mul_i32 s60, s9, s45
	s_addc_u32 s7, s15, s58
	s_ashr_i32 s61, s60, 31
	s_add_u32 s80, s6, s60
	s_addc_u32 s81, s7, s61
	s_abs_i32 s6, s8
	v_mul_hi_u32 v1, s6, v70
	v_mul_lo_u32 v1, v1, s87
	v_sub_u32_e32 v1, s6, v1
	s_mul_i32 s6, s28, s29
	s_mul_i32 s6, s6, s8
	v_subrev_u32_e32 v2, s87, v1
	v_cmp_le_u32_e32 vcc, s87, v1
	s_add_i32 s6, s68, s6
	v_cndmask_b32_e32 v1, v1, v2, vcc
	s_mul_i32 s56, s6, 48
	v_subrev_u32_e32 v2, s87, v1
	v_cmp_le_u32_e32 vcc, s87, v1
	s_lshl_b64 s[44:45], s[56:57], 3
	v_cndmask_b32_e32 v1, v1, v2, vcc
	s_add_u32 s7, s24, s44
	v_xor_b32_e32 v1, s38, v1
	s_addc_u32 s6, s25, s45
	s_mul_i32 s44, s8, s43
	s_mul_hi_u32 s45, s8, s42
	v_subrev_u32_e32 v1, s38, v1
	s_add_i32 s44, s45, s44
	s_mul_i32 s38, s38, s42
	s_add_i32 s56, s44, s38
	s_mul_i32 s44, s8, s42
	s_add_u32 s8, s16, s44
	s_mul_i32 s45, s9, s39
	s_addc_u32 s69, s17, s56
	s_ashr_i32 s38, s45, 31
	s_add_u32 s49, s8, s45
	s_addc_u32 s79, s69, s38
	s_ashr_i32 s69, s68, 31
	s_lshl_b64 s[8:9], s[68:69], 2
	v_ashrrev_i32_e32 v2, 31, v1
	v_mul_lo_u32 v3, v1, s47
	v_mul_hi_u32 v4, v1, s46
	s_add_u32 s68, s20, s8
	v_add_u32_e32 v3, v4, v3
	v_mul_lo_u32 v2, v2, s46
	v_mul_lo_u32 v46, v1, s46
	s_addc_u32 s69, s21, s9
	v_readlane_b32 s8, v177, 10
	v_add_u32_e32 v47, v3, v2
	v_mov_b32_e32 v1, s19
	v_add_co_u32_e32 v45, vcc, s18, v46
	v_readlane_b32 s9, v177, 11
	v_addc_co_u32_e32 v143, vcc, v1, v47, vcc
	s_and_b64 s[8:9], s[8:9], exec
	v_or_b32_e32 v15, s88, v131
	s_cselect_b32 s69, 0, s69
	s_cselect_b32 s68, 0, s68
	s_cmp_lg_u32 s72, 0
	v_cmp_gt_i32_e32 vcc, s33, v15
	s_cbranch_scc0 .LBB14_29
; %bb.17:                               ;   in Loop: Header=BB14_14 Depth=1
	s_lshl_b32 s92, s91, 3
	v_add_u32_e32 v1, s92, v75
	s_xor_b64 s[8:9], vcc, -1
	v_cmp_le_i32_e32 vcc, s28, v1
	s_or_b64 s[70:71], vcc, s[8:9]
	s_and_saveexec_b64 s[74:75], s[70:71]
	s_xor_b64 s[70:71], exec, s[74:75]
	s_cbranch_execz .LBB14_19
; %bb.18:                               ;   in Loop: Header=BB14_14 Depth=1
	ds_write_b32 v76, v133
                                        ; implicit-def: $vgpr1
.LBB14_19:                              ;   in Loop: Header=BB14_14 Depth=1
	s_andn2_saveexec_b64 s[70:71], s[70:71]
	s_cbranch_execz .LBB14_21
; %bb.20:                               ;   in Loop: Header=BB14_14 Depth=1
	v_mad_u64_u32 v[2:3], s[74:75], v1, s51, v[44:45]
	v_ashrrev_i32_e32 v3, 31, v2
	v_lshlrev_b64 v[2:3], 3, v[2:3]
	v_mov_b32_e32 v1, s90
	v_add_co_u32_e32 v2, vcc, s89, v2
	v_addc_co_u32_e32 v3, vcc, v1, v3, vcc
	global_load_dwordx2 v[2:3], v[2:3], off
	s_waitcnt vmcnt(0)
	v_cvt_f16_f32_e32 v1, v2
	v_cvt_f16_f32_e32 v2, v3
	v_pack_b32_f16 v1, v1, v2
	v_pk_mul_f16 v1, v35, v1
	ds_write_b32 v76, v1
.LBB14_21:                              ;   in Loop: Header=BB14_14 Depth=1
	s_or_b64 exec, exec, s[70:71]
	v_add_u32_e32 v1, s92, v77
	v_cmp_le_i32_e32 vcc, s28, v1
	s_or_b64 s[8:9], vcc, s[8:9]
	s_and_saveexec_b64 s[70:71], s[8:9]
	s_xor_b64 s[8:9], exec, s[70:71]
	s_cbranch_execz .LBB14_23
; %bb.22:                               ;   in Loop: Header=BB14_14 Depth=1
	ds_write_b32 v76, v133 offset:1664
                                        ; implicit-def: $vgpr1
.LBB14_23:                              ;   in Loop: Header=BB14_14 Depth=1
	s_andn2_saveexec_b64 s[8:9], s[8:9]
	s_cbranch_execz .LBB14_25
; %bb.24:                               ;   in Loop: Header=BB14_14 Depth=1
	v_mad_u64_u32 v[2:3], s[70:71], v1, s51, v[44:45]
	v_ashrrev_i32_e32 v3, 31, v2
	v_lshlrev_b64 v[2:3], 3, v[2:3]
	v_mov_b32_e32 v1, s90
	v_add_co_u32_e32 v2, vcc, s89, v2
	v_addc_co_u32_e32 v3, vcc, v1, v3, vcc
	global_load_dwordx2 v[2:3], v[2:3], off
	s_waitcnt vmcnt(0)
	v_cvt_f16_f32_e32 v1, v2
	v_cvt_f16_f32_e32 v2, v3
	v_pack_b32_f16 v1, v1, v2
	v_pk_mul_f16 v1, v35, v1
	ds_write_b32 v76, v1 offset:1664
.LBB14_25:                              ;   in Loop: Header=BB14_14 Depth=1
	s_or_b64 exec, exec, s[8:9]
	v_add_u32_e32 v1, s92, v73
	v_or_b32_e32 v2, s88, v132
	v_cmp_gt_i32_e32 vcc, s28, v1
	v_cmp_gt_i32_e64 s[8:9], s33, v2
	s_and_b64 s[70:71], vcc, s[8:9]
	v_mov_b32_e32 v2, 0
	s_and_saveexec_b64 s[8:9], s[70:71]
	s_cbranch_execz .LBB14_27
; %bb.26:                               ;   in Loop: Header=BB14_14 Depth=1
	v_mad_u64_u32 v[2:3], s[70:71], v1, s51, v[34:35]
	v_ashrrev_i32_e32 v3, 31, v2
	v_lshlrev_b64 v[2:3], 3, v[2:3]
	v_mov_b32_e32 v1, s90
	v_add_co_u32_e32 v2, vcc, s89, v2
	v_addc_co_u32_e32 v3, vcc, v1, v3, vcc
	global_load_dwordx2 v[2:3], v[2:3], off
	s_waitcnt vmcnt(0)
	v_cvt_f16_f32_e32 v1, v2
	v_cvt_f16_f32_e32 v2, v3
	v_pack_b32_f16 v1, v1, v2
	v_pk_mul_f16 v2, v35, v1
.LBB14_27:                              ;   in Loop: Header=BB14_14 Depth=1
	s_or_b64 exec, exec, s[8:9]
	ds_write_b32 v74, v2 offset:128
	s_waitcnt lgkmcnt(0)
	s_barrier
	ds_read2_b64 v[10:13], v55 offset1:4
	ds_read2_b64 v[6:9], v55 offset0:8 offset1:12
	ds_read2_b64 v[2:5], v55 offset0:16 offset1:20
	s_add_i32 s70, s78, -1
	s_cmp_gt_i32 s70, s72
	s_waitcnt lgkmcnt(0)
	s_barrier
	s_cbranch_scc1 .LBB14_30
; %bb.28:                               ;   in Loop: Header=BB14_14 Depth=1
	v_and_b32_e32 v1, 64, v141
	s_mov_b32 s71, 0
	v_add_u32_e32 v17, 64, v1
	v_xor_b32_e32 v25, 32, v141
	v_xor_b32_e32 v54, 16, v141
	s_mov_b64 s[8:9], 0
	s_mov_b32 s73, 0xfeffffff
	s_branch .LBB14_31
.LBB14_29:                              ;   in Loop: Header=BB14_14 Depth=1
	s_cbranch_execz .LBB14_13
	s_branch .LBB14_100
.LBB14_30:                              ;   in Loop: Header=BB14_14 Depth=1
	s_mov_b64 s[8:9], -1
                                        ; implicit-def: $sgpr71
                                        ; implicit-def: $sgpr73
                                        ; implicit-def: $vgpr17
                                        ; implicit-def: $vgpr25
                                        ; implicit-def: $vgpr54
.LBB14_31:                              ;   in Loop: Header=BB14_14 Depth=1
	v_add_u32_e32 v1, s92, v49
	v_mul_hi_u32 v48, s40, v1
	v_add_u32_e32 v48, v1, v48
	v_lshrrev_b32_e32 v48, s41, v48
	v_mul_lo_u32 v48, v48, s28
	v_sub_u32_e32 v1, v1, v48
	v_mad_i64_i32 v[50:51], s[74:75], v1, s10, 0
	s_andn2_b64 vcc, exec, s[8:9]
	v_mov_b32_e32 v52, s71
	v_mov_b32_e32 v1, s71
	;; [unrolled: 1-line block ×3, first 2 shown]
	v_lshlrev_b64 v[50:51], 1, v[50:51]
	v_mov_b32_e32 v53, s71
	v_mov_b32_e32 v147, s71
	;; [unrolled: 1-line block ×12, first 2 shown]
	s_cbranch_vccnz .LBB14_34
; %bb.32:                               ;   in Loop: Header=BB14_14 Depth=1
	v_add_co_u32_e32 v1, vcc, v45, v50
	v_addc_co_u32_e32 v17, vcc, v143, v51, vcc
	v_lshlrev_b32_e32 v25, 1, v16
	v_mbcnt_hi_u32_b32 v56, -1, v140
	v_add_co_u32_e32 v149, vcc, v1, v25
	v_and_b32_e32 v1, 64, v56
	v_addc_co_u32_e32 v150, vcc, 0, v17, vcc
	v_add_u32_e32 v17, 64, v1
	v_xor_b32_e32 v25, 32, v56
	v_cmp_lt_i32_e32 vcc, v25, v17
	v_xor_b32_e32 v54, 16, v56
	v_cndmask_b32_e32 v1, v56, v25, vcc
	v_cmp_lt_i32_e32 vcc, v54, v17
	v_lshlrev_b32_e32 v151, 2, v1
	v_cndmask_b32_e32 v1, v56, v54, vcc
	v_mov_b32_e32 v63, 0
	v_lshlrev_b32_e32 v152, 2, v1
	s_lshl_b32 s8, s72, 6
	v_mov_b32_e32 v1, 0
	v_mov_b32_e32 v48, 0xfeffffff
	;; [unrolled: 1-line block ×13, first 2 shown]
.LBB14_33:                              ;   Parent Loop BB14_14 Depth=1
                                        ; =>  This Inner Loop Header: Depth=2
	s_ashr_i32 s9, s8, 31
	s_lshl_b64 s[74:75], s[8:9], 1
	v_mov_b32_e32 v162, v1
	s_nop 0
	v_add_co_u32_e32 v154, vcc, s74, v149
	v_mov_b32_e32 v1, s75
	v_addc_co_u32_e32 v155, vcc, v150, v1, vcc
	global_load_dword v1, v[154:155], off
	s_mul_hi_i32 s75, s8, s34
	s_mul_i32 s74, s8, s34
	s_lshl_b64 s[74:75], s[74:75], 2
	s_add_u32 s9, s80, s74
	s_addc_u32 s71, s81, s75
	v_mov_b32_e32 v153, v48
	v_mov_b32_e32 v48, s71
	s_mul_hi_i32 s75, s8, s30
	s_mul_i32 s74, s8, s30
	s_lshl_b64 s[74:75], s[74:75], 2
	s_waitcnt vmcnt(0)
	ds_write_b32 v59, v1 offset:13312
	v_add_co_u32_e32 v1, vcc, s9, v22
	v_addc_co_u32_e32 v48, vcc, v48, v23, vcc
	v_add_co_u32_e32 v154, vcc, v1, v71
	v_addc_co_u32_e32 v155, vcc, 0, v48, vcc
	global_load_dwordx4 v[154:157], v[154:155], off offset:128
	v_add_co_u32_e32 v1, vcc, s9, v30
	v_mov_b32_e32 v48, s71
	v_addc_co_u32_e32 v48, vcc, v48, v31, vcc
	s_waitcnt vmcnt(0)
	ds_write_b128 v61, v[154:157]
	v_add_co_u32_e32 v154, vcc, v1, v72
	v_addc_co_u32_e32 v155, vcc, 0, v48, vcc
	global_load_dwordx4 v[154:157], v[154:155], off
	v_add_co_u32_e32 v1, vcc, s9, v32
	v_mov_b32_e32 v48, s71
	v_addc_co_u32_e32 v48, vcc, v48, v33, vcc
	s_add_u32 s9, s49, s74
	s_addc_u32 s71, s79, s75
	s_add_i32 s72, s72, 1
	s_add_i32 s8, s8, 64
	s_cmp_lt_i32 s72, s70
	s_waitcnt vmcnt(0)
	ds_write_b128 v64, v[154:157]
	v_add_co_u32_e32 v154, vcc, v1, v72
	v_addc_co_u32_e32 v155, vcc, 0, v48, vcc
	global_load_dwordx4 v[154:157], v[154:155], off
	v_add_u32_e32 v1, 0x3400, v66
	s_waitcnt vmcnt(0)
	ds_write_b128 v134, v[154:157]
	s_waitcnt lgkmcnt(0)
	s_barrier
	ds_read2_b64 v[154:157], v65 offset1:4
	s_waitcnt lgkmcnt(0)
	v_mfma_f32_16x16x16f16 v[158:161], v[154:155], v[10:11], 0
	v_mfma_f32_16x16x16f16 v[154:157], v[156:157], v[12:13], v[158:161]
	s_nop 7
	s_nop 1
	ds_read2_b64 v[158:161], v65 offset0:8 offset1:12
	s_waitcnt lgkmcnt(0)
	v_mfma_f32_16x16x16f16 v[154:157], v[158:159], v[6:7], v[154:157]
	v_mfma_f32_16x16x16f16 v[154:157], v[160:161], v[8:9], v[154:157]
	ds_read2_b64 v[158:161], v65 offset0:16 offset1:20
	s_waitcnt lgkmcnt(0)
	s_barrier
	v_mfma_f32_16x16x16f16 v[154:157], v[158:159], v[2:3], v[154:157]
	ds_read2_b32 v[158:159], v1 offset1:1
	v_mfma_f32_16x16x16f16 v[154:157], v[160:161], v[4:5], v[154:157]
	s_waitcnt lgkmcnt(0)
	v_cvt_f32_f16_e32 v160, v158
	v_cvt_f32_f16_sdwa v161, v158 dst_sel:DWORD dst_unused:UNUSED_PAD src0_sel:WORD_1
	v_cvt_f32_f16_e32 v158, v159
	v_cvt_f32_f16_sdwa v159, v159 dst_sel:DWORD dst_unused:UNUSED_PAD src0_sel:WORD_1
	s_nop 5
	v_pk_add_f32 v[154:155], v[154:155], v[160:161]
	v_add_f32_e32 v1, 0x40051340, v154
	v_add_f32_e32 v48, 0x40051340, v155
	v_pk_add_f32 v[156:157], v[156:157], v[158:159]
	v_max3_f32 v1, v153, v1, v48
	v_add_f32_e32 v48, 0x40051340, v156
	v_add_f32_e32 v158, 0x40051340, v157
	v_max3_f32 v1, v1, v48, v158
	ds_bpermute_b32 v48, v151, v1
	s_waitcnt lgkmcnt(0)
	v_max_f32_e32 v48, v48, v48
	v_max_f32_e32 v1, v1, v48
	ds_bpermute_b32 v48, v152, v1
	s_waitcnt lgkmcnt(0)
	v_max_f32_e32 v48, v48, v48
	v_max_f32_e32 v48, v1, v48
	v_pk_add_f32 v[154:155], v[154:155], v[48:49] op_sel_hi:[1,0] neg_lo:[0,1] neg_hi:[0,1]
	v_mul_f32_e32 v1, 0x3fb8aa3b, v155
	v_fma_f32 v158, v155, s11, -v1
	v_rndne_f32_e32 v159, v1
	v_fmac_f32_e32 v158, 0x32a5705f, v155
	v_sub_f32_e32 v1, v1, v159
	v_add_f32_e32 v1, v1, v158
	v_exp_f32_e32 v1, v1
	v_cvt_i32_f32_e32 v158, v159
	v_cmp_ngt_f32_e32 vcc, s63, v155
	v_sub_f32_e32 v153, v153, v48
	v_ldexp_f32 v1, v1, v158
	v_cndmask_b32_e32 v1, 0, v1, vcc
	v_cmp_nlt_f32_e32 vcc, s95, v155
	v_cndmask_b32_e32 v158, v142, v1, vcc
	v_mul_f32_e32 v1, 0x3fb8aa3b, v154
	v_fma_f32 v155, v154, s11, -v1
	v_rndne_f32_e32 v159, v1
	v_fmac_f32_e32 v155, 0x32a5705f, v154
	v_sub_f32_e32 v1, v1, v159
	v_add_f32_e32 v1, v1, v155
	v_exp_f32_e32 v1, v1
	v_cvt_i32_f32_e32 v155, v159
	v_cmp_ngt_f32_e32 vcc, s63, v154
	v_ldexp_f32 v1, v1, v155
	v_cndmask_b32_e32 v1, 0, v1, vcc
	v_cmp_nlt_f32_e32 vcc, s95, v154
	v_pk_add_f32 v[154:155], v[156:157], v[48:49] op_sel_hi:[1,0] neg_lo:[0,1] neg_hi:[0,1]
	v_cndmask_b32_e32 v159, v142, v1, vcc
	v_mul_f32_e32 v1, 0x3fb8aa3b, v155
	v_fma_f32 v156, v155, s11, -v1
	v_rndne_f32_e32 v157, v1
	v_fmac_f32_e32 v156, 0x32a5705f, v155
	v_sub_f32_e32 v1, v1, v157
	v_add_f32_e32 v1, v1, v156
	v_exp_f32_e32 v1, v1
	v_cvt_i32_f32_e32 v156, v157
	v_cmp_ngt_f32_e32 vcc, s63, v155
	v_ldexp_f32 v1, v1, v156
	v_cndmask_b32_e32 v1, 0, v1, vcc
	v_cmp_nlt_f32_e32 vcc, s95, v155
	v_cndmask_b32_e32 v155, v142, v1, vcc
	v_mul_f32_e32 v1, 0x3fb8aa3b, v154
	v_fma_f32 v156, v154, s11, -v1
	v_rndne_f32_e32 v157, v1
	v_fmac_f32_e32 v156, 0x32a5705f, v154
	v_sub_f32_e32 v1, v1, v157
	v_add_f32_e32 v1, v1, v156
	v_exp_f32_e32 v1, v1
	v_cvt_i32_f32_e32 v156, v157
	v_cmp_ngt_f32_e32 vcc, s63, v154
	v_ldexp_f32 v1, v1, v156
	v_cndmask_b32_e32 v1, 0, v1, vcc
	v_cmp_nlt_f32_e32 vcc, s95, v154
	v_mul_f32_e32 v154, 0x3fb8aa3b, v153
	v_fma_f32 v157, v153, s11, -v154
	v_rndne_f32_e32 v160, v154
	v_fmac_f32_e32 v157, 0x32a5705f, v153
	v_sub_f32_e32 v154, v154, v160
	v_add_f32_e32 v154, v154, v157
	v_exp_f32_e32 v154, v154
	v_cvt_i32_f32_e32 v157, v160
	v_cndmask_b32_e32 v156, v142, v1, vcc
	v_cmp_ngt_f32_e32 vcc, s63, v153
	v_add_f32_e32 v1, v159, v158
	v_ldexp_f32 v154, v154, v157
	v_cndmask_b32_e32 v154, 0, v154, vcc
	v_cmp_nlt_f32_e32 vcc, s95, v153
	v_add_f32_e32 v1, v156, v1
	v_cndmask_b32_e32 v154, v142, v154, vcc
	v_cmp_le_f32_e32 vcc, s52, v153
	v_add_f32_e32 v1, v155, v1
	v_cndmask_b32_e32 v153, 0, v154, vcc
	v_fmac_f32_e32 v1, v162, v153
	v_cvt_f16_f32_e32 v153, v153
	v_pk_mul_f16 v58, v153, v58 op_sel_hi:[0,1]
	v_pk_mul_f16 v57, v153, v57 op_sel_hi:[0,1]
	;; [unrolled: 1-line block ×12, first 2 shown]
	v_cvt_f16_f32_e32 v52, v159
	v_cvt_f16_f32_e32 v53, v158
	;; [unrolled: 1-line block ×3, first 2 shown]
	v_mov_b32_e32 v63, s71
	v_pack_b32_f16 v52, v52, v53
	v_cvt_f16_f32_e32 v53, v155
	v_pack_b32_f16 v53, v62, v53
	v_add_co_u32_e32 v62, vcc, s9, v20
	v_addc_co_u32_e32 v63, vcc, v63, v21, vcc
	v_add_co_u32_e32 v62, vcc, v62, v71
	v_addc_co_u32_e32 v63, vcc, 0, v63, vcc
	global_load_dwordx4 v[156:159], v[62:63], off offset:128
	v_add_co_u32_e32 v62, vcc, s9, v26
	v_mov_b32_e32 v63, s71
	v_addc_co_u32_e32 v63, vcc, v63, v27, vcc
	v_add_co_u32_e32 v62, vcc, v62, v72
	v_addc_co_u32_e32 v63, vcc, 0, v63, vcc
	s_waitcnt vmcnt(0)
	ds_write_b128 v61, v[156:159]
	global_load_dwordx4 v[156:159], v[62:63], off
	v_add_co_u32_e32 v62, vcc, s9, v28
	v_mov_b32_e32 v63, s71
	v_addc_co_u32_e32 v63, vcc, v63, v29, vcc
	v_add_co_u32_e32 v62, vcc, v62, v72
	v_addc_co_u32_e32 v63, vcc, 0, v63, vcc
	s_waitcnt vmcnt(0)
	ds_write_b128 v64, v[156:159]
	global_load_dwordx4 v[156:159], v[62:63], off
	s_waitcnt vmcnt(0)
	ds_write_b128 v134, v[156:159]
	s_waitcnt lgkmcnt(0)
	s_barrier
	ds_read_u16 v62, v68 offset:208
	ds_read_u16 v63, v68 offset:416
	v_cvt_f32_f16_e32 v158, v57
	v_cvt_f32_f16_sdwa v159, v57 dst_sel:DWORD dst_unused:UNUSED_PAD src0_sel:WORD_1
	ds_read_u16 v57, v69
	ds_read_u16 v155, v69 offset:32
	v_cvt_f32_f16_e32 v156, v58
	v_cvt_f32_f16_sdwa v157, v58 dst_sel:DWORD dst_unused:UNUSED_PAD src0_sel:WORD_1
	s_waitcnt lgkmcnt(1)
	v_perm_b32 v63, v57, v63, s55
	ds_read_u16 v57, v67
	ds_read_u16 v162, v67 offset:32
	s_waitcnt lgkmcnt(1)
	v_perm_b32 v62, v62, v57, s55
	s_nop 1
	v_mfma_f32_16x16x16f16 v[156:159], v[62:63], v[52:53], v[156:159]
	s_nop 7
	s_nop 2
	v_cvt_f16_f32_e32 v57, v156
	v_cvt_f16_f32_e32 v58, v157
	;; [unrolled: 1-line block ×4, first 2 shown]
	v_cvt_f32_f16_e32 v156, v160
	v_pack_b32_f16 v58, v57, v58
	v_cvt_f32_f16_sdwa v157, v160 dst_sel:DWORD dst_unused:UNUSED_PAD src0_sel:WORD_1
	v_pack_b32_f16 v57, v62, v63
	ds_read_u16 v62, v135 offset:208
	ds_read_u16 v63, v135 offset:416
	v_cvt_f32_f16_e32 v158, v60
	v_cvt_f32_f16_sdwa v159, v60 dst_sel:DWORD dst_unused:UNUSED_PAD src0_sel:WORD_1
	s_waitcnt lgkmcnt(1)
	v_perm_b32 v62, v62, v162, s55
	s_waitcnt lgkmcnt(0)
	v_perm_b32 v63, v155, v63, s55
	s_nop 1
	v_mfma_f32_16x16x16f16 v[156:159], v[62:63], v[52:53], v[156:159]
	s_nop 7
	s_nop 2
	v_cvt_f16_f32_e32 v60, v156
	v_cvt_f16_f32_e32 v62, v157
	;; [unrolled: 1-line block ×4, first 2 shown]
	v_cvt_f32_f16_e32 v156, v145
	v_pack_b32_f16 v62, v60, v62
	v_cvt_f32_f16_sdwa v157, v145 dst_sel:DWORD dst_unused:UNUSED_PAD src0_sel:WORD_1
	v_pack_b32_f16 v60, v63, v155
	ds_read_u16 v63, v67 offset:64
	ds_read_u16 v155, v136 offset:208
	;; [unrolled: 1-line block ×4, first 2 shown]
	v_cvt_f32_f16_e32 v158, v144
	v_cvt_f32_f16_sdwa v159, v144 dst_sel:DWORD dst_unused:UNUSED_PAD src0_sel:WORD_1
	s_waitcnt lgkmcnt(2)
	v_perm_b32 v144, v155, v63, s55
	s_waitcnt lgkmcnt(0)
	v_perm_b32 v145, v162, v160, s55
	s_nop 1
	v_mfma_f32_16x16x16f16 v[156:159], v[144:145], v[52:53], v[156:159]
	s_nop 7
	s_nop 2
	v_cvt_f16_f32_e32 v63, v156
	v_cvt_f16_f32_e32 v144, v157
	;; [unrolled: 1-line block ×4, first 2 shown]
	v_cvt_f32_f16_sdwa v157, v161 dst_sel:DWORD dst_unused:UNUSED_PAD src0_sel:WORD_1
	v_pack_b32_f16 v145, v63, v144
	v_cvt_f32_f16_e32 v158, v146
	v_pack_b32_f16 v144, v155, v156
	ds_read_u16 v63, v67 offset:96
	ds_read_u16 v155, v137 offset:208
	;; [unrolled: 1-line block ×4, first 2 shown]
	v_cvt_f32_f16_e32 v156, v161
	v_cvt_f32_f16_sdwa v159, v146 dst_sel:DWORD dst_unused:UNUSED_PAD src0_sel:WORD_1
	s_waitcnt lgkmcnt(0)
	v_perm_b32 v161, v162, v160, s55
	v_perm_b32 v160, v155, v63, s55
	s_nop 1
	v_mfma_f32_16x16x16f16 v[156:159], v[160:161], v[52:53], v[156:159]
	s_nop 7
	s_nop 2
	v_cvt_f16_f32_e32 v63, v156
	v_cvt_f16_f32_e32 v146, v157
	;; [unrolled: 1-line block ×4, first 2 shown]
	v_cvt_f32_f16_sdwa v157, v148 dst_sel:DWORD dst_unused:UNUSED_PAD src0_sel:WORD_1
	v_pack_b32_f16 v63, v63, v146
	v_cvt_f32_f16_e32 v158, v147
	v_pack_b32_f16 v146, v155, v156
	ds_read_u16 v155, v67 offset:128
	ds_read_u16 v160, v138 offset:208
	;; [unrolled: 1-line block ×4, first 2 shown]
	v_cvt_f32_f16_e32 v156, v148
	v_cvt_f32_f16_sdwa v159, v147 dst_sel:DWORD dst_unused:UNUSED_PAD src0_sel:WORD_1
	s_waitcnt lgkmcnt(2)
	v_perm_b32 v160, v160, v155, s55
	s_waitcnt lgkmcnt(0)
	v_perm_b32 v161, v162, v161, s55
	s_nop 1
	v_mfma_f32_16x16x16f16 v[156:159], v[160:161], v[52:53], v[156:159]
	s_nop 7
	s_nop 2
	v_cvt_f16_f32_e32 v147, v156
	v_cvt_f16_f32_e32 v148, v157
	;; [unrolled: 1-line block ×4, first 2 shown]
	v_cvt_f32_f16_sdwa v157, v154 dst_sel:DWORD dst_unused:UNUSED_PAD src0_sel:WORD_1
	v_pack_b32_f16 v148, v147, v148
	v_cvt_f32_f16_e32 v158, v153
	v_pack_b32_f16 v147, v155, v156
	ds_read_u16 v160, v67 offset:160
	ds_read_u16 v161, v139 offset:208
	;; [unrolled: 1-line block ×4, first 2 shown]
	v_cvt_f32_f16_e32 v156, v154
	v_cvt_f32_f16_sdwa v159, v153 dst_sel:DWORD dst_unused:UNUSED_PAD src0_sel:WORD_1
	s_waitcnt lgkmcnt(2)
	v_perm_b32 v154, v161, v160, s55
	s_waitcnt lgkmcnt(0)
	v_perm_b32 v155, v162, v155, s55
	s_barrier
	s_nop 0
	v_mfma_f32_16x16x16f16 v[154:157], v[154:155], v[52:53], v[156:159]
	s_nop 7
	s_nop 2
	v_cvt_f16_f32_e32 v52, v154
	v_cvt_f16_f32_e32 v53, v155
	;; [unrolled: 1-line block ×4, first 2 shown]
	v_pack_b32_f16 v53, v52, v53
	v_pack_b32_f16 v52, v153, v154
	s_cbranch_scc1 .LBB14_33
.LBB14_34:                              ;   in Loop: Header=BB14_14 Depth=1
	s_lshl_b32 s8, s72, 6
	s_ashr_i32 s9, s8, 31
	s_lshl_b64 s[70:71], s[8:9], 1
	v_mov_b32_e32 v149, s71
	v_add_co_u32_e32 v150, vcc, s70, v45
	v_addc_co_u32_e32 v149, vcc, v143, v149, vcc
	v_add_co_u32_e32 v50, vcc, v150, v50
	s_mul_hi_i32 s71, s34, s8
	s_mul_i32 s70, s34, s8
	v_addc_co_u32_e32 v51, vcc, v149, v51, vcc
	v_lshlrev_b32_e32 v149, 1, v16
	s_lshl_b64 s[70:71], s[70:71], 2
	v_add_co_u32_e32 v50, vcc, v50, v149
	s_add_u32 s9, s80, s70
	v_addc_co_u32_e32 v51, vcc, 0, v51, vcc
	s_addc_u32 s70, s81, s71
	global_load_dword v149, v[50:51], off
	v_mov_b32_e32 v50, s70
	v_add_co_u32_e32 v51, vcc, s9, v22
	v_addc_co_u32_e32 v150, vcc, v50, v23, vcc
	v_add_co_u32_e32 v50, vcc, v51, v71
	v_addc_co_u32_e32 v51, vcc, 0, v150, vcc
	v_mov_b32_e32 v150, s70
	v_add_co_u32_e32 v151, vcc, s9, v30
	v_addc_co_u32_e32 v150, vcc, v150, v31, vcc
	v_add_co_u32_e32 v154, vcc, v151, v72
	v_addc_co_u32_e32 v155, vcc, 0, v150, vcc
	global_load_dwordx4 v[150:153], v[50:51], off offset:128
	s_nop 0
	global_load_dwordx4 v[154:157], v[154:155], off
	v_mov_b32_e32 v50, s70
	v_add_co_u32_e32 v51, vcc, s9, v32
	v_addc_co_u32_e32 v158, vcc, v50, v33, vcc
	v_add_co_u32_e32 v50, vcc, v51, v72
	v_addc_co_u32_e32 v51, vcc, 0, v158, vcc
	global_load_dwordx4 v[158:161], v[50:51], off
	v_cmp_lt_i32_e32 vcc, v25, v17
	s_mul_hi_i32 s9, s30, s8
	s_mul_i32 s8, s30, s8
	s_lshl_b64 s[8:9], s[8:9], 2
	s_add_u32 s8, s49, s8
	s_addc_u32 s9, s79, s9
	v_mov_b32_e32 v51, s9
	v_add_u32_e32 v50, 0x3400, v66
	s_cmp_eq_u64 s[68:69], 0
	s_waitcnt vmcnt(3)
	ds_write_b32 v59, v149 offset:13312
	s_waitcnt vmcnt(2)
	ds_write_b128 v61, v[150:153]
	s_waitcnt vmcnt(1)
	ds_write_b128 v64, v[154:157]
	;; [unrolled: 2-line block ×3, first 2 shown]
	s_waitcnt lgkmcnt(0)
	s_barrier
	ds_read2_b64 v[150:153], v65 offset1:4
	s_waitcnt lgkmcnt(0)
	v_mfma_f32_16x16x16f16 v[154:157], v[150:151], v[10:11], 0
	v_cndmask_b32_e32 v10, v56, v25, vcc
	v_cmp_lt_i32_e32 vcc, v54, v17
	v_cndmask_b32_e32 v11, v56, v54, vcc
	ds_read2_b64 v[158:161], v65 offset0:8 offset1:12
	v_lshlrev_b32_e32 v25, 2, v10
	v_lshlrev_b32_e32 v17, 2, v11
	v_add_co_u32_e32 v149, vcc, s8, v20
	v_mfma_f32_16x16x16f16 v[10:13], v[152:153], v[12:13], v[154:157]
	ds_read2_b64 v[150:153], v65 offset0:16 offset1:20
	v_addc_co_u32_e32 v51, vcc, v51, v21, vcc
	v_mov_b32_e32 v54, s9
	s_waitcnt lgkmcnt(0)
	s_nop 2
	v_add_co_u32_e32 v156, vcc, s8, v26
	v_mfma_f32_16x16x16f16 v[10:13], v[158:159], v[6:7], v[10:13]
	s_barrier
	v_addc_co_u32_e32 v54, vcc, v54, v27, vcc
	v_mov_b32_e32 v56, s9
	v_add_co_u32_e32 v157, vcc, s8, v28
	v_mfma_f32_16x16x16f16 v[6:9], v[160:161], v[8:9], v[10:13]
	v_addc_co_u32_e32 v56, vcc, v56, v29, vcc
	s_cselect_b64 s[8:9], -1, 0
	s_xor_b64 s[70:71], s[0:1], -1
	s_or_b64 s[8:9], s[70:71], s[8:9]
	s_nop 2
	ds_read2_b32 v[10:11], v50 offset1:1
	v_add_co_u32_e32 v12, vcc, v149, v71
	v_mfma_f32_16x16x16f16 v[6:9], v[150:151], v[2:3], v[6:9]
	v_addc_co_u32_e32 v13, vcc, 0, v51, vcc
	s_waitcnt lgkmcnt(0)
	v_cvt_f32_f16_e32 v50, v10
	v_cvt_f32_f16_sdwa v51, v10 dst_sel:DWORD dst_unused:UNUSED_PAD src0_sel:WORD_1
	v_cvt_f32_f16_e32 v10, v11
	v_cvt_f32_f16_sdwa v11, v11 dst_sel:DWORD dst_unused:UNUSED_PAD src0_sel:WORD_1
	v_mfma_f32_16x16x16f16 v[2:5], v[152:153], v[4:5], v[6:9]
	s_nop 7
	s_nop 2
	v_pk_add_f32 v[50:51], v[2:3], v[50:51]
	v_pk_add_f32 v[154:155], v[4:5], v[10:11]
	v_add_f32_e32 v2, 0x40051340, v50
	v_add_f32_e32 v3, 0x40051340, v51
	;; [unrolled: 1-line block ×4, first 2 shown]
	v_max3_f32 v2, v48, v2, v3
	v_max3_f32 v4, v2, v4, v5
	ds_bpermute_b32 v5, v25, v4
	v_add_co_u32_e32 v2, vcc, v156, v72
	v_addc_co_u32_e32 v3, vcc, 0, v54, vcc
	v_add_co_u32_e32 v150, vcc, v157, v72
	s_waitcnt lgkmcnt(0)
	v_max_f32_e32 v5, v5, v5
	v_addc_co_u32_e32 v151, vcc, 0, v56, vcc
	v_max_f32_e32 v54, v4, v5
	global_load_dwordx4 v[4:7], v[12:13], off offset:128
	global_load_dwordx4 v[8:11], v[2:3], off
	s_nop 0
	global_load_dwordx4 v[150:153], v[150:151], off
	ds_bpermute_b32 v149, v17, v54
	s_waitcnt vmcnt(2)
	ds_write_b128 v61, v[4:7]
	s_waitcnt vmcnt(1)
	ds_write_b128 v64, v[8:11]
	;; [unrolled: 2-line block ×3, first 2 shown]
	s_waitcnt lgkmcnt(3)
	v_max_f32_e32 v2, v149, v149
	v_max_f32_e32 v2, v54, v2
	v_pk_add_f32 v[12:13], v[50:51], v[2:3] op_sel_hi:[1,0] neg_lo:[0,1] neg_hi:[0,1]
	v_pk_add_f32 v[50:51], v[154:155], v[2:3] op_sel_hi:[1,0] neg_lo:[0,1] neg_hi:[0,1]
	v_mul_f32_e32 v3, 0x3fb8aa3b, v13
	v_mul_f32_e32 v54, 0x3fb8aa3b, v12
	v_fma_f32 v154, v13, s11, -v3
	v_rndne_f32_e32 v155, v3
	v_fma_f32 v156, v12, s11, -v54
	v_rndne_f32_e32 v157, v54
	v_fmac_f32_e32 v154, 0x32a5705f, v13
	v_sub_f32_e32 v3, v3, v155
	v_fmac_f32_e32 v156, 0x32a5705f, v12
	v_sub_f32_e32 v54, v54, v157
	v_add_f32_e32 v3, v3, v154
	v_cvt_i32_f32_e32 v155, v155
	v_add_f32_e32 v54, v54, v156
	v_exp_f32_e32 v3, v3
	v_cvt_i32_f32_e32 v157, v157
	v_exp_f32_e32 v54, v54
	v_mul_f32_e32 v56, 0x3fb8aa3b, v51
	v_mul_f32_e32 v149, 0x3fb8aa3b, v50
	v_fma_f32 v158, v51, s11, -v56
	v_rndne_f32_e32 v159, v56
	v_ldexp_f32 v3, v3, v155
	v_cmp_ngt_f32_e32 vcc, s63, v13
	v_fma_f32 v160, v50, s11, -v149
	v_rndne_f32_e32 v161, v149
	v_fmac_f32_e32 v158, 0x32a5705f, v51
	v_sub_f32_e32 v56, v56, v159
	v_ldexp_f32 v54, v54, v157
	v_cndmask_b32_e32 v3, 0, v3, vcc
	v_cmp_ngt_f32_e32 vcc, s63, v12
	v_fmac_f32_e32 v160, 0x32a5705f, v50
	v_add_f32_e32 v56, v56, v158
	v_sub_f32_e32 v149, v149, v161
	v_cndmask_b32_e32 v54, 0, v54, vcc
	v_cmp_nlt_f32_e32 vcc, s95, v13
	v_cvt_i32_f32_e32 v159, v159
	v_exp_f32_e32 v56, v56
	v_cndmask_b32_e32 v3, v142, v3, vcc
	v_cmp_nlt_f32_e32 vcc, s95, v12
	v_add_f32_e32 v13, v149, v160
	v_cndmask_b32_e32 v12, v142, v54, vcc
	v_exp_f32_e32 v13, v13
	v_cvt_i32_f32_e32 v54, v161
	v_ldexp_f32 v56, v56, v159
	v_cmp_ngt_f32_e32 vcc, s63, v51
	v_sub_f32_e32 v48, v48, v2
	v_cndmask_b32_e32 v56, 0, v56, vcc
	v_cmp_nlt_f32_e32 vcc, s95, v51
	v_ldexp_f32 v13, v13, v54
	v_mul_f32_e32 v54, 0x3fb8aa3b, v48
	v_cndmask_b32_e32 v51, v142, v56, vcc
	v_fma_f32 v56, v48, s11, -v54
	v_rndne_f32_e32 v149, v54
	v_fmac_f32_e32 v56, 0x32a5705f, v48
	v_sub_f32_e32 v54, v54, v149
	v_add_f32_e32 v54, v54, v56
	v_exp_f32_e32 v54, v54
	v_cvt_i32_f32_e32 v56, v149
	v_cmp_ngt_f32_e32 vcc, s63, v50
	v_cndmask_b32_e32 v13, 0, v13, vcc
	v_cmp_nlt_f32_e32 vcc, s95, v50
	v_cndmask_b32_e32 v13, v142, v13, vcc
	v_ldexp_f32 v54, v54, v56
	v_cmp_ngt_f32_e32 vcc, s63, v48
	v_cndmask_b32_e32 v54, 0, v54, vcc
	v_cmp_nlt_f32_e32 vcc, s95, v48
	v_cndmask_b32_e32 v54, v142, v54, vcc
	v_cmp_le_f32_e32 vcc, s52, v48
	v_cndmask_b32_e32 v48, 0, v54, vcc
	v_cvt_f16_f32_e32 v54, v48
	v_add_f32_e32 v50, v12, v3
	s_waitcnt lgkmcnt(0)
	s_barrier
	ds_read_u16 v7, v68 offset:208
	ds_read_u16 v8, v68 offset:416
	v_add_f32_e32 v50, v13, v50
	v_add_f32_e32 v149, v51, v50
	v_fmac_f32_e32 v149, v1, v48
	v_pk_mul_f16 v1, v54, v58 op_sel_hi:[0,1]
	v_pk_mul_f16 v50, v54, v62 op_sel_hi:[0,1]
	;; [unrolled: 1-line block ×9, first 2 shown]
	v_cvt_f32_f16_e32 v4, v1
	v_cvt_f32_f16_sdwa v5, v1 dst_sel:DWORD dst_unused:UNUSED_PAD src0_sel:WORD_1
	ds_read_u16 v1, v69
	ds_read_u16 v11, v69 offset:32
	ds_read_u16 v53, v69 offset:64
	;; [unrolled: 1-line block ×7, first 2 shown]
	v_pk_mul_f16 v48, v54, v57 op_sel_hi:[0,1]
	v_cvt_f16_f32_e32 v12, v12
	v_cvt_f16_f32_e32 v3, v3
	;; [unrolled: 1-line block ×4, first 2 shown]
	s_waitcnt lgkmcnt(7)
	v_perm_b32 v9, v1, v8, s55
	ds_read_u16 v1, v67
	ds_read_u16 v154, v67 offset:32
	ds_read_u16 v155, v67 offset:64
	;; [unrolled: 1-line block ×5, first 2 shown]
	s_waitcnt lgkmcnt(5)
	v_perm_b32 v8, v7, v1, s55
	v_cvt_f32_f16_e32 v6, v48
	v_cvt_f32_f16_sdwa v7, v48 dst_sel:DWORD dst_unused:UNUSED_PAD src0_sel:WORD_1
	v_pack_b32_f16 v56, v12, v3
	v_pack_b32_f16 v57, v13, v51
	v_perm_b32 v13, v11, v151, s55
	s_waitcnt lgkmcnt(4)
	v_perm_b32 v12, v152, v154, s55
	v_mfma_f32_16x16x16f16 v[4:7], v[8:9], v[56:57], v[4:7]
	v_cvt_f32_f16_e32 v8, v50
	v_cvt_f32_f16_sdwa v9, v50 dst_sel:DWORD dst_unused:UNUSED_PAD src0_sel:WORD_1
	v_cvt_f32_f16_e32 v10, v58
	v_cvt_f32_f16_sdwa v11, v58 dst_sel:DWORD dst_unused:UNUSED_PAD src0_sel:WORD_1
	v_pk_mul_f16 v63, v54, v63 op_sel_hi:[0,1]
	v_pk_mul_f16 v48, v54, v52 op_sel_hi:[0,1]
	v_cvt_f32_f16_e32 v52, v144
	s_nop 3
	v_cvt_f16_f32_e32 v3, v5
	v_cvt_f16_f32_e32 v5, v6
	;; [unrolled: 1-line block ×3, first 2 shown]
	v_mfma_f32_16x16x16f16 v[6:9], v[12:13], v[56:57], v[8:11]
	v_cvt_f16_f32_e32 v1, v4
	v_pack_b32_f16 v4, v1, v3
	s_nop 4
	v_cvt_f32_f16_e32 v10, v62
	s_nop 2
	v_cvt_f16_f32_e32 v3, v6
	v_cvt_f16_f32_e32 v6, v7
	;; [unrolled: 1-line block ×4, first 2 shown]
	v_cvt_f32_f16_e32 v8, v60
	v_cvt_f32_f16_sdwa v9, v60 dst_sel:DWORD dst_unused:UNUSED_PAD src0_sel:WORD_1
	ds_read_u16 v1, v136 offset:208
	ds_read_u16 v11, v136 offset:416
	;; [unrolled: 1-line block ×8, first 2 shown]
	s_waitcnt lgkmcnt(6)
	v_perm_b32 v13, v53, v11, s55
	v_perm_b32 v12, v1, v155, s55
	v_cvt_f32_f16_sdwa v11, v62 dst_sel:DWORD dst_unused:UNUSED_PAD src0_sel:WORD_1
	v_pack_b32_f16 v1, v5, v50
	v_pack_b32_f16 v5, v7, v51
	v_mfma_f32_16x16x16f16 v[8:11], v[12:13], v[56:57], v[8:11]
	s_waitcnt lgkmcnt(4)
	v_perm_b32 v13, v148, v58, s55
	v_perm_b32 v12, v54, v156, s55
	v_cvt_f32_f16_e32 v50, v63
	v_cvt_f32_f16_sdwa v51, v63 dst_sel:DWORD dst_unused:UNUSED_PAD src0_sel:WORD_1
	v_cvt_f32_f16_sdwa v53, v144 dst_sel:DWORD dst_unused:UNUSED_PAD src0_sel:WORD_1
	v_pack_b32_f16 v6, v3, v6
	v_cvt_f32_f16_e32 v144, v147
	s_nop 2
	v_cvt_f16_f32_e32 v7, v9
	v_cvt_f16_f32_e32 v9, v10
	;; [unrolled: 1-line block ×3, first 2 shown]
	v_mfma_f32_16x16x16f16 v[10:13], v[12:13], v[56:57], v[50:53]
	v_cvt_f16_f32_e32 v3, v8
	s_waitcnt lgkmcnt(0)
	s_barrier
	v_pack_b32_f16 v8, v3, v7
	s_nop 2
	v_cvt_f32_f16_e32 v50, v145
	v_cvt_f32_f16_sdwa v51, v145 dst_sel:DWORD dst_unused:UNUSED_PAD src0_sel:WORD_1
	s_nop 1
	v_cvt_f16_f32_e32 v3, v10
	v_cvt_f16_f32_e32 v10, v11
	;; [unrolled: 1-line block ×4, first 2 shown]
	v_perm_b32 v13, v150, v151, s55
	v_perm_b32 v12, v60, v157, s55
	v_cvt_f32_f16_e32 v52, v146
	v_cvt_f32_f16_sdwa v53, v146 dst_sel:DWORD dst_unused:UNUSED_PAD src0_sel:WORD_1
	v_pack_b32_f16 v7, v9, v54
	v_pack_b32_f16 v10, v3, v10
	v_mfma_f32_16x16x16f16 v[50:53], v[12:13], v[56:57], v[50:53]
	v_pack_b32_f16 v9, v11, v58
	v_cvt_f32_f16_sdwa v145, v147 dst_sel:DWORD dst_unused:UNUSED_PAD src0_sel:WORD_1
	v_cvt_f32_f16_e32 v146, v48
	v_cvt_f32_f16_sdwa v147, v48 dst_sel:DWORD dst_unused:UNUSED_PAD src0_sel:WORD_1
	s_nop 6
	v_cvt_f16_f32_e32 v3, v50
	v_cvt_f16_f32_e32 v11, v51
	v_perm_b32 v51, v153, v154, s55
	v_perm_b32 v50, v152, v158, s55
	v_cvt_f16_f32_e32 v13, v52
	v_cvt_f16_f32_e32 v48, v53
	v_mfma_f32_16x16x16f16 v[50:53], v[50:51], v[56:57], v[144:147]
	v_pack_b32_f16 v12, v3, v11
	v_pack_b32_f16 v11, v13, v48
	s_nop 7
	s_nop 0
	v_cvt_f16_f32_e32 v3, v50
	v_cvt_f16_f32_e32 v50, v51
	ds_bpermute_b32 v51, v25, v149
	v_cvt_f16_f32_e32 v13, v52
	v_cvt_f16_f32_e32 v52, v53
	v_pack_b32_f16 v48, v3, v50
	s_waitcnt lgkmcnt(0)
	v_add_f32_e32 v3, v149, v51
	ds_bpermute_b32 v50, v17, v3
	v_pack_b32_f16 v13, v13, v52
	s_waitcnt lgkmcnt(0)
	v_add_f32_e32 v3, v3, v50
	s_and_saveexec_b64 s[70:71], s[8:9]
	s_xor_b64 s[8:9], exec, s[70:71]
	s_andn2_saveexec_b64 s[8:9], s[8:9]
	s_cbranch_execz .LBB14_36
; %bb.35:                               ;   in Loop: Header=BB14_14 Depth=1
	v_lshlrev_b32_e32 v50, 2, v36
	global_load_dword v51, v50, s[68:69]
	v_max_f32_e32 v52, v2, v2
	s_waitcnt vmcnt(0)
	v_max_f32_e32 v50, v51, v51
	v_max_f32_e32 v50, v52, v50
	v_sub_f32_e32 v2, v2, v50
	v_mul_f32_e32 v52, 0x3fb8aa3b, v2
	v_fma_f32 v53, v2, s11, -v52
	v_rndne_f32_e32 v54, v52
	v_fmac_f32_e32 v53, 0x32a5705f, v2
	v_sub_f32_e32 v52, v52, v54
	v_add_f32_e32 v52, v52, v53
	v_exp_f32_e32 v52, v52
	v_cvt_i32_f32_e32 v53, v54
	v_cmp_ngt_f32_e32 vcc, s63, v2
	v_sub_f32_e32 v51, v51, v50
	v_ldexp_f32 v52, v52, v53
	v_cndmask_b32_e32 v52, 0, v52, vcc
	v_cmp_nlt_f32_e32 vcc, s95, v2
	v_cndmask_b32_e32 v52, v142, v52, vcc
	v_cmp_le_f32_e32 vcc, s52, v2
	v_cndmask_b32_e32 v2, 0, v52, vcc
	v_cvt_f16_f32_e32 v52, v2
	v_cmp_ngt_f32_e32 vcc, s63, v51
	v_pk_mul_f16 v4, v52, v4 op_sel_hi:[0,1]
	v_pk_mul_f16 v1, v52, v1 op_sel_hi:[0,1]
	;; [unrolled: 1-line block ×12, first 2 shown]
	v_mul_f32_e32 v52, 0x3fb8aa3b, v51
	v_fma_f32 v53, v51, s11, -v52
	v_rndne_f32_e32 v54, v52
	v_fmac_f32_e32 v53, 0x32a5705f, v51
	v_sub_f32_e32 v52, v52, v54
	v_add_f32_e32 v52, v52, v53
	v_exp_f32_e32 v52, v52
	v_cvt_i32_f32_e32 v53, v54
	v_ldexp_f32 v52, v52, v53
	v_cndmask_b32_e32 v52, 0, v52, vcc
	v_cmp_nlt_f32_e32 vcc, s95, v51
	v_cndmask_b32_e32 v51, v142, v52, vcc
	v_fmac_f32_e32 v51, v3, v2
	v_pk_mov_b32 v[2:3], v[50:51], v[50:51] op_sel:[0,1]
.LBB14_36:                              ;   in Loop: Header=BB14_14 Depth=1
	s_or_b64 exec, exec, s[8:9]
	s_and_saveexec_b64 s[8:9], s[4:5]
	s_cbranch_execz .LBB14_38
; %bb.37:                               ;   in Loop: Header=BB14_14 Depth=1
	v_add_u32_e32 v50, 0, v78
	ds_write2_b32 v50, v2, v3 offset0:48 offset1:49
.LBB14_38:                              ;   in Loop: Header=BB14_14 Depth=1
	s_or_b64 exec, exec, s[8:9]
	s_waitcnt lgkmcnt(0)
	s_barrier
	s_and_saveexec_b64 s[8:9], s[2:3]
	s_xor_b64 s[8:9], exec, s[8:9]
	s_cbranch_execz .LBB14_40
; %bb.39:                               ;   in Loop: Header=BB14_14 Depth=1
	s_barrier
	s_waitcnt lgkmcnt(0)
                                        ; implicit-def: $vgpr25
                                        ; implicit-def: $vgpr17
.LBB14_40:                              ;   in Loop: Header=BB14_14 Depth=1
	s_andn2_saveexec_b64 s[8:9], s[8:9]
	s_cbranch_execz .LBB14_44
; %bb.41:                               ;   in Loop: Header=BB14_14 Depth=1
	v_add_u32_e32 v3, 0, v79
	ds_read_b64 v[50:51], v3 offset:192
	s_waitcnt lgkmcnt(0)
	s_barrier
	ds_bpermute_b32 v2, v25, v50
	v_max_f32_e32 v52, v50, v50
	s_waitcnt lgkmcnt(0)
	v_max_f32_e32 v2, v2, v2
	v_max_f32_e32 v2, v52, v2
	ds_bpermute_b32 v52, v17, v2
	s_waitcnt lgkmcnt(0)
	v_max_f32_e32 v52, v52, v52
	v_max_f32_e32 v2, v2, v52
	v_sub_f32_e32 v50, v50, v2
	v_mul_f32_e32 v52, 0x3fb8aa3b, v50
	v_fma_f32 v53, v50, s11, -v52
	v_rndne_f32_e32 v54, v52
	v_fmac_f32_e32 v53, 0x32a5705f, v50
	v_sub_f32_e32 v52, v52, v54
	v_add_f32_e32 v52, v52, v53
	v_cvt_i32_f32_e32 v54, v54
	v_exp_f32_e32 v52, v52
	v_cmp_ngt_f32_e32 vcc, s63, v50
	v_ldexp_f32 v52, v52, v54
	v_cndmask_b32_e32 v52, 0, v52, vcc
	v_cmp_nlt_f32_e32 vcc, s95, v50
	v_cndmask_b32_e32 v50, v142, v52, vcc
	v_mul_f32_e32 v52, v51, v50
	ds_bpermute_b32 v25, v25, v52
	s_waitcnt lgkmcnt(0)
	v_fmac_f32_e32 v25, v51, v50
	ds_bpermute_b32 v17, v17, v25
	s_waitcnt lgkmcnt(0)
	v_add_f32_e32 v51, v25, v17
	ds_write_b64 v3, v[50:51] offset:192
	s_and_saveexec_b64 s[70:71], s[4:5]
	s_cbranch_execz .LBB14_43
; %bb.42:                               ;   in Loop: Header=BB14_14 Depth=1
	v_mov_b32_e32 v3, v51
	global_store_dwordx2 v[18:19], v[2:3], off
.LBB14_43:                              ;   in Loop: Header=BB14_14 Depth=1
	s_or_b64 exec, exec, s[70:71]
.LBB14_44:                              ;   in Loop: Header=BB14_14 Depth=1
	s_or_b64 exec, exec, s[8:9]
	ds_write2_b32 v80, v4, v1 offset1:1
	ds_write2_b32 v80, v6, v5 offset0:8 offset1:9
	ds_write2_b32 v80, v8, v7 offset0:16 offset1:17
	;; [unrolled: 1-line block ×5, first 2 shown]
	s_waitcnt lgkmcnt(0)
	s_barrier
	s_and_saveexec_b64 s[70:71], s[0:1]
	s_cbranch_execz .LBB14_99
; %bb.45:                               ;   in Loop: Header=BB14_14 Depth=1
	v_add_u32_e32 v2, s92, v81
	v_or_b32_e32 v1, s88, v38
	v_cmp_gt_i32_e64 s[8:9], s28, v2
	v_cmp_gt_i32_e32 vcc, s33, v1
	s_and_b64 s[8:9], s[8:9], vcc
	v_mov_b32_e32 v1, 0x47
	s_and_saveexec_b64 s[72:73], s[8:9]
	s_cbranch_execz .LBB14_47
; %bb.46:                               ;   in Loop: Header=BB14_14 Depth=1
	v_add_u32_e32 v1, 0, v82
	v_add_u32_e32 v1, 0xc0, v1
	ds_read2st64_b32 v[4:5], v1 offset1:13
	ds_read2st64_b32 v[6:7], v83 offset1:13
	ds_read2st64_b32 v[8:9], v1 offset0:26 offset1:39
	ds_read2st64_b32 v[10:11], v83 offset0:26 offset1:39
	v_mad_u64_u32 v[2:3], s[8:9], v2, s29, v[38:39]
	s_waitcnt lgkmcnt(2)
	v_cvt_f32_f16_sdwa v13, v6 dst_sel:DWORD dst_unused:UNUSED_PAD src0_sel:WORD_1
	v_cvt_f32_f16_e32 v12, v6
	v_cvt_f32_f16_sdwa v51, v7 dst_sel:DWORD dst_unused:UNUSED_PAD src0_sel:WORD_1
	v_cvt_f32_f16_e32 v50, v7
	s_waitcnt lgkmcnt(0)
	v_cvt_f32_f16_sdwa v7, v10 dst_sel:DWORD dst_unused:UNUSED_PAD src0_sel:WORD_1
	v_cvt_f32_f16_e32 v6, v10
	v_pk_fma_f32 v[12:13], v[4:5], v[12:13], 0 op_sel_hi:[0,1,0]
	v_mov_b32_e32 v4, v5
	v_pk_fma_f32 v[4:5], v[4:5], v[50:51], v[12:13] op_sel_hi:[0,1,1]
	v_mad_u64_u32 v[2:3], s[8:9], v2, 48, v[24:25]
	v_pk_fma_f32 v[4:5], v[8:9], v[6:7], v[4:5] op_sel_hi:[0,1,1]
	v_cvt_f32_f16_sdwa v7, v11 dst_sel:DWORD dst_unused:UNUSED_PAD src0_sel:WORD_1
	v_cvt_f32_f16_e32 v6, v11
	v_ashrrev_i32_e32 v3, 31, v2
	v_lshlrev_b64 v[2:3], 3, v[2:3]
	v_add_co_u32_e64 v2, s[8:9], s7, v2
	v_mov_b32_e32 v1, s6
	v_mov_b32_e32 v8, v9
	v_addc_co_u32_e64 v3, s[8:9], v1, v3, s[8:9]
	v_pk_fma_f32 v[4:5], v[8:9], v[6:7], v[4:5] op_sel_hi:[0,1,1]
	v_mov_b32_e32 v1, 0
	global_store_dwordx2 v[2:3], v[4:5], off
.LBB14_47:                              ;   in Loop: Header=BB14_14 Depth=1
	s_or_b64 exec, exec, s[72:73]
	v_cmp_gt_i32_e64 s[8:9], s62, v1
	s_mov_b64 s[74:75], -1
	s_and_saveexec_b64 s[72:73], s[8:9]
; %bb.48:                               ;   in Loop: Header=BB14_14 Depth=1
	v_cmp_eq_u32_e64 s[8:9], 0, v1
	s_orn2_b64 s[74:75], s[8:9], exec
; %bb.49:                               ;   in Loop: Header=BB14_14 Depth=1
	s_or_b64 exec, exec, s[72:73]
	s_and_saveexec_b64 s[72:73], s[74:75]
	s_cbranch_execz .LBB14_82
; %bb.50:                               ;   in Loop: Header=BB14_14 Depth=1
	v_add_u32_e32 v2, s92, v84
	v_cmp_gt_i32_e64 s[8:9], s28, v2
	s_and_b64 s[8:9], s[8:9], vcc
	v_mov_b32_e32 v1, 0x47
	s_and_saveexec_b64 s[74:75], s[8:9]
	s_cbranch_execz .LBB14_52
; %bb.51:                               ;   in Loop: Header=BB14_14 Depth=1
	v_add_u32_e32 v1, 0, v85
	v_add_u32_e32 v1, 0xc0, v1
	ds_read2st64_b32 v[4:5], v1 offset1:13
	ds_read2st64_b32 v[6:7], v86 offset1:13
	ds_read2st64_b32 v[8:9], v1 offset0:26 offset1:39
	ds_read2st64_b32 v[10:11], v86 offset0:26 offset1:39
	v_mad_u64_u32 v[2:3], s[8:9], v2, s29, v[38:39]
	s_waitcnt lgkmcnt(2)
	v_cvt_f32_f16_sdwa v13, v6 dst_sel:DWORD dst_unused:UNUSED_PAD src0_sel:WORD_1
	v_cvt_f32_f16_e32 v12, v6
	v_cvt_f32_f16_sdwa v51, v7 dst_sel:DWORD dst_unused:UNUSED_PAD src0_sel:WORD_1
	v_cvt_f32_f16_e32 v50, v7
	s_waitcnt lgkmcnt(0)
	v_cvt_f32_f16_sdwa v7, v10 dst_sel:DWORD dst_unused:UNUSED_PAD src0_sel:WORD_1
	v_cvt_f32_f16_e32 v6, v10
	v_pk_fma_f32 v[12:13], v[4:5], v[12:13], 0 op_sel_hi:[0,1,0]
	v_mov_b32_e32 v4, v5
	v_pk_fma_f32 v[4:5], v[4:5], v[50:51], v[12:13] op_sel_hi:[0,1,1]
	v_mad_u64_u32 v[2:3], s[8:9], v2, 48, v[24:25]
	v_pk_fma_f32 v[4:5], v[8:9], v[6:7], v[4:5] op_sel_hi:[0,1,1]
	v_cvt_f32_f16_sdwa v7, v11 dst_sel:DWORD dst_unused:UNUSED_PAD src0_sel:WORD_1
	v_cvt_f32_f16_e32 v6, v11
	v_ashrrev_i32_e32 v3, 31, v2
	v_lshlrev_b64 v[2:3], 3, v[2:3]
	v_add_co_u32_e64 v2, s[8:9], s7, v2
	v_mov_b32_e32 v1, s6
	v_mov_b32_e32 v8, v9
	v_addc_co_u32_e64 v3, s[8:9], v1, v3, s[8:9]
	v_pk_fma_f32 v[4:5], v[8:9], v[6:7], v[4:5] op_sel_hi:[0,1,1]
	v_mov_b32_e32 v1, 0
	global_store_dwordx2 v[2:3], v[4:5], off
.LBB14_52:                              ;   in Loop: Header=BB14_14 Depth=1
	s_or_b64 exec, exec, s[74:75]
	v_cmp_gt_i32_e64 s[8:9], s62, v1
	s_mov_b64 s[74:75], -1
	s_and_saveexec_b64 s[76:77], s[8:9]
; %bb.53:                               ;   in Loop: Header=BB14_14 Depth=1
	v_cmp_eq_u32_e64 s[8:9], 0, v1
	s_orn2_b64 s[74:75], s[8:9], exec
; %bb.54:                               ;   in Loop: Header=BB14_14 Depth=1
	s_or_b64 exec, exec, s[76:77]
	s_and_b64 exec, exec, s[74:75]
	s_cbranch_execz .LBB14_82
; %bb.55:                               ;   in Loop: Header=BB14_14 Depth=1
	v_add_u32_e32 v2, s92, v87
	v_cmp_gt_i32_e64 s[8:9], s28, v2
	s_and_b64 s[8:9], s[8:9], vcc
	v_mov_b32_e32 v1, 0x47
	s_and_saveexec_b64 s[74:75], s[8:9]
	s_cbranch_execz .LBB14_57
; %bb.56:                               ;   in Loop: Header=BB14_14 Depth=1
	v_add_u32_e32 v1, 0, v88
	v_add_u32_e32 v1, 0xc0, v1
	ds_read2st64_b32 v[4:5], v1 offset1:13
	ds_read2st64_b32 v[6:7], v89 offset1:13
	ds_read2st64_b32 v[8:9], v1 offset0:26 offset1:39
	ds_read2st64_b32 v[10:11], v89 offset0:26 offset1:39
	v_mad_u64_u32 v[2:3], s[8:9], v2, s29, v[38:39]
	s_waitcnt lgkmcnt(2)
	v_cvt_f32_f16_sdwa v13, v6 dst_sel:DWORD dst_unused:UNUSED_PAD src0_sel:WORD_1
	v_cvt_f32_f16_e32 v12, v6
	v_cvt_f32_f16_sdwa v51, v7 dst_sel:DWORD dst_unused:UNUSED_PAD src0_sel:WORD_1
	v_cvt_f32_f16_e32 v50, v7
	s_waitcnt lgkmcnt(0)
	v_cvt_f32_f16_sdwa v7, v10 dst_sel:DWORD dst_unused:UNUSED_PAD src0_sel:WORD_1
	v_cvt_f32_f16_e32 v6, v10
	v_pk_fma_f32 v[12:13], v[4:5], v[12:13], 0 op_sel_hi:[0,1,0]
	v_mov_b32_e32 v4, v5
	v_pk_fma_f32 v[4:5], v[4:5], v[50:51], v[12:13] op_sel_hi:[0,1,1]
	v_mad_u64_u32 v[2:3], s[8:9], v2, 48, v[24:25]
	v_pk_fma_f32 v[4:5], v[8:9], v[6:7], v[4:5] op_sel_hi:[0,1,1]
	v_cvt_f32_f16_sdwa v7, v11 dst_sel:DWORD dst_unused:UNUSED_PAD src0_sel:WORD_1
	v_cvt_f32_f16_e32 v6, v11
	v_ashrrev_i32_e32 v3, 31, v2
	v_lshlrev_b64 v[2:3], 3, v[2:3]
	v_add_co_u32_e64 v2, s[8:9], s7, v2
	v_mov_b32_e32 v1, s6
	v_mov_b32_e32 v8, v9
	v_addc_co_u32_e64 v3, s[8:9], v1, v3, s[8:9]
	v_pk_fma_f32 v[4:5], v[8:9], v[6:7], v[4:5] op_sel_hi:[0,1,1]
	v_mov_b32_e32 v1, 0
	global_store_dwordx2 v[2:3], v[4:5], off
.LBB14_57:                              ;   in Loop: Header=BB14_14 Depth=1
	s_or_b64 exec, exec, s[74:75]
	v_cmp_gt_i32_e64 s[8:9], s62, v1
	s_mov_b64 s[74:75], -1
	s_and_saveexec_b64 s[76:77], s[8:9]
; %bb.58:                               ;   in Loop: Header=BB14_14 Depth=1
	v_cmp_eq_u32_e64 s[8:9], 0, v1
	s_orn2_b64 s[74:75], s[8:9], exec
; %bb.59:                               ;   in Loop: Header=BB14_14 Depth=1
	s_or_b64 exec, exec, s[76:77]
	s_and_b64 exec, exec, s[74:75]
	;; [unrolled: 51-line block ×6, first 2 shown]
	s_cbranch_execz .LBB14_82
; %bb.80:                               ;   in Loop: Header=BB14_14 Depth=1
	v_add_u32_e32 v1, s92, v102
	v_cmp_gt_i32_e64 s[8:9], s28, v1
	s_and_b64 s[8:9], s[8:9], vcc
	s_and_b64 exec, exec, s[8:9]
	s_cbranch_execz .LBB14_82
; %bb.81:                               ;   in Loop: Header=BB14_14 Depth=1
	v_mad_u64_u32 v[2:3], s[8:9], v1, s29, v[38:39]
	v_add_u32_e32 v1, 0, v103
	v_add_u32_e32 v1, 0xc0, v1
	ds_read2st64_b32 v[4:5], v1 offset1:13
	ds_read2st64_b32 v[6:7], v104 offset1:13
	ds_read2st64_b32 v[8:9], v1 offset0:26 offset1:39
	ds_read2st64_b32 v[10:11], v104 offset0:26 offset1:39
	v_mad_u64_u32 v[2:3], s[8:9], v2, 48, v[24:25]
	s_waitcnt lgkmcnt(2)
	v_cvt_f32_f16_sdwa v13, v6 dst_sel:DWORD dst_unused:UNUSED_PAD src0_sel:WORD_1
	v_cvt_f32_f16_e32 v12, v6
	v_cvt_f32_f16_sdwa v51, v7 dst_sel:DWORD dst_unused:UNUSED_PAD src0_sel:WORD_1
	v_cvt_f32_f16_e32 v50, v7
	s_waitcnt lgkmcnt(0)
	v_cvt_f32_f16_sdwa v7, v10 dst_sel:DWORD dst_unused:UNUSED_PAD src0_sel:WORD_1
	v_cvt_f32_f16_e32 v6, v10
	v_pk_fma_f32 v[12:13], v[4:5], v[12:13], 0 op_sel_hi:[0,1,0]
	v_mov_b32_e32 v4, v5
	v_pk_fma_f32 v[4:5], v[4:5], v[50:51], v[12:13] op_sel_hi:[0,1,1]
	v_pk_fma_f32 v[4:5], v[8:9], v[6:7], v[4:5] op_sel_hi:[0,1,1]
	v_cvt_f32_f16_sdwa v7, v11 dst_sel:DWORD dst_unused:UNUSED_PAD src0_sel:WORD_1
	v_cvt_f32_f16_e32 v6, v11
	v_ashrrev_i32_e32 v3, 31, v2
	v_lshlrev_b64 v[2:3], 3, v[2:3]
	v_add_co_u32_e32 v2, vcc, s7, v2
	v_mov_b32_e32 v1, s6
	v_mov_b32_e32 v8, v9
	v_addc_co_u32_e32 v3, vcc, v1, v3, vcc
	v_pk_fma_f32 v[4:5], v[8:9], v[6:7], v[4:5] op_sel_hi:[0,1,1]
	global_store_dwordx2 v[2:3], v[4:5], off
.LBB14_82:                              ;   in Loop: Header=BB14_14 Depth=1
	s_or_b64 exec, exec, s[72:73]
	v_add_u32_e32 v2, s92, v105
	v_or_b32_e32 v1, s88, v40
	v_cmp_gt_i32_e64 s[8:9], s28, v2
	v_cmp_gt_i32_e32 vcc, s33, v1
	s_and_b64 s[8:9], s[8:9], vcc
	v_mov_b32_e32 v1, 0x47
	s_and_saveexec_b64 s[72:73], s[8:9]
	s_cbranch_execz .LBB14_84
; %bb.83:                               ;   in Loop: Header=BB14_14 Depth=1
	v_mad_u64_u32 v[2:3], s[8:9], v2, s29, v[40:41]
	v_mul_lo_u32 v1, v2, 48
	v_add_u32_e32 v2, 0, v106
	v_add_u32_e32 v6, 0xc0, v2
	v_add_u32_e32 v8, 0x80, v107
	ds_read2st64_b32 v[2:3], v6 offset1:13
	ds_read2st64_b32 v[4:5], v8 offset1:13
	ds_read2st64_b32 v[6:7], v6 offset0:26 offset1:39
	ds_read2st64_b32 v[8:9], v8 offset0:26 offset1:39
	v_ashrrev_i32_e32 v10, 31, v1
	v_or_b32_e32 v11, 0, v10
	s_waitcnt lgkmcnt(2)
	v_cvt_f32_f16_sdwa v13, v4 dst_sel:DWORD dst_unused:UNUSED_PAD src0_sel:WORD_1
	v_cvt_f32_f16_e32 v12, v4
	v_cvt_f32_f16_sdwa v51, v5 dst_sel:DWORD dst_unused:UNUSED_PAD src0_sel:WORD_1
	v_cvt_f32_f16_e32 v50, v5
	s_waitcnt lgkmcnt(0)
	v_cvt_f32_f16_sdwa v5, v8 dst_sel:DWORD dst_unused:UNUSED_PAD src0_sel:WORD_1
	v_cvt_f32_f16_e32 v4, v8
	v_pk_fma_f32 v[12:13], v[2:3], v[12:13], 0 op_sel_hi:[0,1,0]
	v_mov_b32_e32 v2, v3
	v_pk_fma_f32 v[2:3], v[2:3], v[50:51], v[12:13] op_sel_hi:[0,1,1]
	v_pk_fma_f32 v[2:3], v[6:7], v[4:5], v[2:3] op_sel_hi:[0,1,1]
	v_cvt_f32_f16_sdwa v5, v9 dst_sel:DWORD dst_unused:UNUSED_PAD src0_sel:WORD_1
	v_cvt_f32_f16_e32 v4, v9
	v_or_b32_e32 v10, v1, v14
	v_lshlrev_b64 v[10:11], 3, v[10:11]
	v_add_co_u32_e64 v10, s[8:9], s7, v10
	v_mov_b32_e32 v1, s6
	v_mov_b32_e32 v6, v7
	v_addc_co_u32_e64 v11, s[8:9], v1, v11, s[8:9]
	v_pk_fma_f32 v[2:3], v[6:7], v[4:5], v[2:3] op_sel_hi:[0,1,1]
	v_mov_b32_e32 v1, 0
	global_store_dwordx2 v[10:11], v[2:3], off offset:256
.LBB14_84:                              ;   in Loop: Header=BB14_14 Depth=1
	s_or_b64 exec, exec, s[72:73]
	v_cmp_gt_i32_e64 s[8:9], s62, v1
	s_mov_b64 s[72:73], -1
	s_and_saveexec_b64 s[74:75], s[8:9]
; %bb.85:                               ;   in Loop: Header=BB14_14 Depth=1
	v_cmp_eq_u32_e64 s[8:9], 0, v1
	s_orn2_b64 s[72:73], s[8:9], exec
; %bb.86:                               ;   in Loop: Header=BB14_14 Depth=1
	s_or_b64 exec, exec, s[74:75]
	s_and_b64 exec, exec, s[72:73]
	s_cbranch_execz .LBB14_99
; %bb.87:                               ;   in Loop: Header=BB14_14 Depth=1
	v_add_u32_e32 v2, s92, v108
	v_cmp_gt_i32_e64 s[8:9], s28, v2
	s_and_b64 s[8:9], s[8:9], vcc
	v_mov_b32_e32 v1, 0x47
	s_and_saveexec_b64 s[72:73], s[8:9]
	s_cbranch_execz .LBB14_89
; %bb.88:                               ;   in Loop: Header=BB14_14 Depth=1
	v_mad_u64_u32 v[2:3], s[8:9], v2, s29, v[40:41]
	v_mul_lo_u32 v1, v2, 48
	v_add_u32_e32 v2, 0, v109
	v_add_u32_e32 v6, 0xc0, v2
	v_add_u32_e32 v8, 0x80, v110
	ds_read2st64_b32 v[2:3], v6 offset1:13
	ds_read2st64_b32 v[4:5], v8 offset1:13
	ds_read2st64_b32 v[6:7], v6 offset0:26 offset1:39
	ds_read2st64_b32 v[8:9], v8 offset0:26 offset1:39
	v_ashrrev_i32_e32 v10, 31, v1
	v_or_b32_e32 v11, 0, v10
	s_waitcnt lgkmcnt(2)
	v_cvt_f32_f16_sdwa v13, v4 dst_sel:DWORD dst_unused:UNUSED_PAD src0_sel:WORD_1
	v_cvt_f32_f16_e32 v12, v4
	v_cvt_f32_f16_sdwa v51, v5 dst_sel:DWORD dst_unused:UNUSED_PAD src0_sel:WORD_1
	v_cvt_f32_f16_e32 v50, v5
	s_waitcnt lgkmcnt(0)
	v_cvt_f32_f16_sdwa v5, v8 dst_sel:DWORD dst_unused:UNUSED_PAD src0_sel:WORD_1
	v_cvt_f32_f16_e32 v4, v8
	v_pk_fma_f32 v[12:13], v[2:3], v[12:13], 0 op_sel_hi:[0,1,0]
	v_mov_b32_e32 v2, v3
	v_pk_fma_f32 v[2:3], v[2:3], v[50:51], v[12:13] op_sel_hi:[0,1,1]
	v_pk_fma_f32 v[2:3], v[6:7], v[4:5], v[2:3] op_sel_hi:[0,1,1]
	v_cvt_f32_f16_sdwa v5, v9 dst_sel:DWORD dst_unused:UNUSED_PAD src0_sel:WORD_1
	v_cvt_f32_f16_e32 v4, v9
	v_or_b32_e32 v10, v1, v14
	v_lshlrev_b64 v[10:11], 3, v[10:11]
	v_add_co_u32_e64 v10, s[8:9], s7, v10
	v_mov_b32_e32 v1, s6
	v_mov_b32_e32 v6, v7
	v_addc_co_u32_e64 v11, s[8:9], v1, v11, s[8:9]
	v_pk_fma_f32 v[2:3], v[6:7], v[4:5], v[2:3] op_sel_hi:[0,1,1]
	v_mov_b32_e32 v1, 0
	global_store_dwordx2 v[10:11], v[2:3], off offset:256
.LBB14_89:                              ;   in Loop: Header=BB14_14 Depth=1
	s_or_b64 exec, exec, s[72:73]
	v_cmp_gt_i32_e64 s[8:9], s62, v1
	s_mov_b64 s[72:73], -1
	s_and_saveexec_b64 s[74:75], s[8:9]
; %bb.90:                               ;   in Loop: Header=BB14_14 Depth=1
	v_cmp_eq_u32_e64 s[8:9], 0, v1
	s_orn2_b64 s[72:73], s[8:9], exec
; %bb.91:                               ;   in Loop: Header=BB14_14 Depth=1
	s_or_b64 exec, exec, s[74:75]
	s_and_b64 exec, exec, s[72:73]
	s_cbranch_execz .LBB14_99
; %bb.92:                               ;   in Loop: Header=BB14_14 Depth=1
	v_add_u32_e32 v2, s92, v111
	v_cmp_gt_i32_e64 s[8:9], s28, v2
	;; [unrolled: 54-line block ×3, first 2 shown]
	s_and_b64 s[8:9], s[8:9], vcc
	s_and_b64 exec, exec, s[8:9]
	s_cbranch_execz .LBB14_99
; %bb.98:                               ;   in Loop: Header=BB14_14 Depth=1
	v_mad_u64_u32 v[2:3], s[8:9], v1, s29, v[40:41]
	v_mul_lo_u32 v1, v2, 48
	v_add_u32_e32 v2, 0, v115
	v_add_u32_e32 v6, 0xc0, v2
	;; [unrolled: 1-line block ×3, first 2 shown]
	ds_read2st64_b32 v[2:3], v6 offset1:13
	ds_read2st64_b32 v[4:5], v8 offset1:13
	ds_read2st64_b32 v[6:7], v6 offset0:26 offset1:39
	ds_read2st64_b32 v[8:9], v8 offset0:26 offset1:39
	v_ashrrev_i32_e32 v10, 31, v1
	v_or_b32_e32 v11, 0, v10
	s_waitcnt lgkmcnt(2)
	v_cvt_f32_f16_sdwa v13, v4 dst_sel:DWORD dst_unused:UNUSED_PAD src0_sel:WORD_1
	v_cvt_f32_f16_e32 v12, v4
	v_cvt_f32_f16_sdwa v51, v5 dst_sel:DWORD dst_unused:UNUSED_PAD src0_sel:WORD_1
	v_cvt_f32_f16_e32 v50, v5
	s_waitcnt lgkmcnt(0)
	v_cvt_f32_f16_sdwa v5, v8 dst_sel:DWORD dst_unused:UNUSED_PAD src0_sel:WORD_1
	v_cvt_f32_f16_e32 v4, v8
	v_pk_fma_f32 v[12:13], v[2:3], v[12:13], 0 op_sel_hi:[0,1,0]
	v_mov_b32_e32 v2, v3
	v_pk_fma_f32 v[2:3], v[2:3], v[50:51], v[12:13] op_sel_hi:[0,1,1]
	v_pk_fma_f32 v[2:3], v[6:7], v[4:5], v[2:3] op_sel_hi:[0,1,1]
	v_cvt_f32_f16_sdwa v5, v9 dst_sel:DWORD dst_unused:UNUSED_PAD src0_sel:WORD_1
	v_cvt_f32_f16_e32 v4, v9
	v_or_b32_e32 v10, v1, v14
	v_lshlrev_b64 v[10:11], 3, v[10:11]
	v_add_co_u32_e32 v10, vcc, s7, v10
	v_mov_b32_e32 v1, s6
	v_mov_b32_e32 v6, v7
	v_addc_co_u32_e32 v11, vcc, v1, v11, vcc
	v_pk_fma_f32 v[2:3], v[6:7], v[4:5], v[2:3] op_sel_hi:[0,1,1]
	global_store_dwordx2 v[10:11], v[2:3], off offset:256
.LBB14_99:                              ;   in Loop: Header=BB14_14 Depth=1
	s_or_b64 exec, exec, s[70:71]
	s_barrier
	s_branch .LBB14_13
.LBB14_100:                             ;   in Loop: Header=BB14_14 Depth=1
	s_lshl_b32 s76, s91, 3
	v_cmp_gt_i32_e32 vcc, s33, v15
	v_add_u32_e32 v1, s76, v75
	s_xor_b64 s[8:9], vcc, -1
	v_cmp_le_i32_e32 vcc, s28, v1
	s_or_b64 s[70:71], vcc, s[8:9]
	s_and_saveexec_b64 s[72:73], s[70:71]
	s_xor_b64 s[70:71], exec, s[72:73]
	s_cbranch_execz .LBB14_102
; %bb.101:                              ;   in Loop: Header=BB14_14 Depth=1
	ds_write_b32 v76, v133
                                        ; implicit-def: $vgpr1
.LBB14_102:                             ;   in Loop: Header=BB14_14 Depth=1
	s_andn2_saveexec_b64 s[70:71], s[70:71]
	s_cbranch_execz .LBB14_104
; %bb.103:                              ;   in Loop: Header=BB14_14 Depth=1
	v_mad_u64_u32 v[2:3], s[72:73], v1, s51, v[44:45]
	v_ashrrev_i32_e32 v3, 31, v2
	v_lshlrev_b64 v[2:3], 3, v[2:3]
	v_mov_b32_e32 v1, s90
	v_add_co_u32_e32 v2, vcc, s89, v2
	v_addc_co_u32_e32 v3, vcc, v1, v3, vcc
	global_load_dwordx2 v[2:3], v[2:3], off
	s_waitcnt vmcnt(0)
	v_cvt_f16_f32_e32 v1, v2
	v_cvt_f16_f32_e32 v2, v3
	v_pack_b32_f16 v1, v1, v2
	v_pk_mul_f16 v1, v35, v1
	ds_write_b32 v76, v1
.LBB14_104:                             ;   in Loop: Header=BB14_14 Depth=1
	s_or_b64 exec, exec, s[70:71]
	v_add_u32_e32 v1, s76, v77
	v_cmp_le_i32_e32 vcc, s28, v1
	s_or_b64 s[8:9], vcc, s[8:9]
	s_and_saveexec_b64 s[70:71], s[8:9]
	s_xor_b64 s[8:9], exec, s[70:71]
	s_cbranch_execz .LBB14_106
; %bb.105:                              ;   in Loop: Header=BB14_14 Depth=1
	ds_write_b32 v76, v133 offset:1664
                                        ; implicit-def: $vgpr1
.LBB14_106:                             ;   in Loop: Header=BB14_14 Depth=1
	s_andn2_saveexec_b64 s[8:9], s[8:9]
	s_cbranch_execz .LBB14_108
; %bb.107:                              ;   in Loop: Header=BB14_14 Depth=1
	v_mad_u64_u32 v[2:3], s[70:71], v1, s51, v[44:45]
	v_ashrrev_i32_e32 v3, 31, v2
	v_lshlrev_b64 v[2:3], 3, v[2:3]
	v_mov_b32_e32 v1, s90
	v_add_co_u32_e32 v2, vcc, s89, v2
	v_addc_co_u32_e32 v3, vcc, v1, v3, vcc
	global_load_dwordx2 v[2:3], v[2:3], off
	s_waitcnt vmcnt(0)
	v_cvt_f16_f32_e32 v1, v2
	v_cvt_f16_f32_e32 v2, v3
	v_pack_b32_f16 v1, v1, v2
	v_pk_mul_f16 v1, v35, v1
	ds_write_b32 v76, v1 offset:1664
.LBB14_108:                             ;   in Loop: Header=BB14_14 Depth=1
	s_or_b64 exec, exec, s[8:9]
	v_add_u32_e32 v1, s76, v73
	v_or_b32_e32 v2, s88, v132
	v_cmp_gt_i32_e32 vcc, s28, v1
	v_cmp_gt_i32_e64 s[8:9], s33, v2
	s_and_b64 s[70:71], vcc, s[8:9]
	v_mov_b32_e32 v2, 0
	s_and_saveexec_b64 s[8:9], s[70:71]
	s_cbranch_execz .LBB14_110
; %bb.109:                              ;   in Loop: Header=BB14_14 Depth=1
	v_mad_u64_u32 v[2:3], s[70:71], v1, s51, v[34:35]
	v_ashrrev_i32_e32 v3, 31, v2
	v_lshlrev_b64 v[2:3], 3, v[2:3]
	v_mov_b32_e32 v1, s90
	v_add_co_u32_e32 v2, vcc, s89, v2
	v_addc_co_u32_e32 v3, vcc, v1, v3, vcc
	global_load_dwordx2 v[2:3], v[2:3], off
	s_waitcnt vmcnt(0)
	v_cvt_f16_f32_e32 v1, v2
	v_cvt_f16_f32_e32 v2, v3
	v_pack_b32_f16 v1, v1, v2
	v_pk_mul_f16 v2, v35, v1
.LBB14_110:                             ;   in Loop: Header=BB14_14 Depth=1
	s_or_b64 exec, exec, s[8:9]
	ds_write_b32 v74, v2 offset:128
	s_waitcnt lgkmcnt(0)
	s_barrier
	ds_read2_b64 v[10:13], v55 offset1:4
	ds_read2_b64 v[6:9], v55 offset0:8 offset1:12
	ds_read2_b64 v[2:5], v55 offset0:16 offset1:20
	s_cmp_gt_i32 s78, 1
	s_waitcnt lgkmcnt(0)
	s_barrier
	s_cbranch_scc1 .LBB14_112
; %bb.111:                              ;   in Loop: Header=BB14_14 Depth=1
	v_mbcnt_hi_u32_b32 v53, -1, v140
	v_and_b32_e32 v1, 64, v53
	s_mov_b32 s70, 0
	v_add_u32_e32 v144, 64, v1
	v_xor_b32_e32 v145, 32, v53
	v_xor_b32_e32 v146, 16, v53
	s_mov_b64 s[8:9], 0
	s_mov_b32 s71, 0xfeffffff
	s_branch .LBB14_113
.LBB14_112:                             ;   in Loop: Header=BB14_14 Depth=1
	s_mov_b64 s[8:9], -1
                                        ; implicit-def: $sgpr70
                                        ; implicit-def: $sgpr71
                                        ; implicit-def: $vgpr53
                                        ; implicit-def: $vgpr144
                                        ; implicit-def: $vgpr145
                                        ; implicit-def: $vgpr146
.LBB14_113:                             ;   in Loop: Header=BB14_14 Depth=1
	v_add_u32_e32 v1, s76, v49
	v_mul_hi_u32 v15, s40, v1
	v_add_u32_e32 v15, v1, v15
	v_lshrrev_b32_e32 v15, s41, v15
	v_mul_lo_u32 v15, v15, s28
	v_sub_u32_e32 v148, v1, v15
	s_andn2_b64 vcc, exec, s[8:9]
	v_mov_b32_e32 v62, s70
	v_mov_b32_e32 v147, s70
	;; [unrolled: 1-line block ×14, first 2 shown]
	s_cbranch_vccnz .LBB14_116
; %bb.114:                              ;   in Loop: Header=BB14_14 Depth=1
	v_mbcnt_hi_u32_b32 v53, -1, v140
	v_and_b32_e32 v1, 64, v53
	v_add_u32_e32 v144, 64, v1
	v_xor_b32_e32 v145, 32, v53
	v_readlane_b32 s8, v177, 21
	v_cmp_lt_i32_e32 vcc, v145, v144
	v_xor_b32_e32 v146, 16, v53
	v_readlane_b32 s9, v177, 22
	s_add_i32 s70, s78, -1
	v_cndmask_b32_e32 v1, v53, v145, vcc
	v_cmp_lt_i32_e32 vcc, v146, v144
	v_mad_i64_i32 v[46:47], s[8:9], s8, v148, v[46:47]
	v_lshlrev_b32_e32 v149, 2, v1
	v_cndmask_b32_e32 v1, v53, v146, vcc
	v_add_co_u32_e32 v46, vcc, v117, v46
	s_add_u32 s8, s44, s45
	v_addc_co_u32_e32 v47, vcc, v118, v47, vcc
	s_addc_u32 s9, s56, s38
	v_lshlrev_b32_e32 v150, 2, v1
	v_mov_b32_e32 v1, s9
	v_add_co_u32_e32 v50, vcc, s8, v119
	v_addc_co_u32_e32 v51, vcc, v120, v1, vcc
	v_add_co_u32_e32 v52, vcc, s8, v121
	v_addc_co_u32_e32 v1, vcc, v122, v1, vcc
	v_mov_b32_e32 v15, s9
	v_add_co_u32_e32 v54, vcc, s8, v123
	s_add_u32 s8, s59, s60
	v_addc_co_u32_e32 v15, vcc, v124, v15, vcc
	s_addc_u32 s9, s58, s61
	v_mov_b32_e32 v17, s9
	v_add_co_u32_e32 v56, vcc, s8, v125
	v_addc_co_u32_e32 v57, vcc, v126, v17, vcc
	v_add_co_u32_e32 v58, vcc, s8, v127
	v_addc_co_u32_e32 v17, vcc, v128, v17, vcc
	v_mov_b32_e32 v25, s9
	v_add_co_u32_e32 v60, vcc, s8, v129
	v_mov_b32_e32 v151, 0
	v_addc_co_u32_e32 v25, vcc, v130, v25, vcc
	v_mov_b32_e32 v147, 0
	v_mov_b32_e32 v48, 0xfeffffff
	s_mov_b32 s8, s70
	v_mov_b32_e32 v158, 0
	v_mov_b32_e32 v157, 0
	;; [unrolled: 1-line block ×11, first 2 shown]
.LBB14_115:                             ;   Parent Loop BB14_14 Depth=1
                                        ; =>  This Inner Loop Header: Depth=2
	v_mov_b32_e32 v161, v48
	global_load_dword v48, v[46:47], off
	global_load_dwordx4 v[162:165], v[56:57], off
	v_mov_b32_e32 v170, v147
	s_add_i32 s8, s8, -1
	s_cmp_lg_u32 s8, 0
	s_waitcnt vmcnt(1)
	ds_write_b32 v59, v48 offset:13312
	s_waitcnt vmcnt(0)
	ds_write_b128 v61, v[162:165]
	v_add_co_u32_e32 v162, vcc, v58, v42
	v_addc_co_u32_e32 v163, vcc, 0, v17, vcc
	global_load_dwordx4 v[162:165], v[162:163], off
	v_add_u32_e32 v48, 0x3400, v66
	s_waitcnt vmcnt(0)
	ds_write_b128 v64, v[162:165]
	v_add_co_u32_e32 v162, vcc, v60, v42
	v_addc_co_u32_e32 v163, vcc, 0, v25, vcc
	global_load_dwordx4 v[162:165], v[162:163], off
	s_waitcnt vmcnt(0)
	ds_write_b128 v134, v[162:165]
	s_waitcnt lgkmcnt(0)
	s_barrier
	ds_read2_b64 v[162:165], v65 offset1:4
	s_waitcnt lgkmcnt(0)
	v_mfma_f32_16x16x16f16 v[166:169], v[162:163], v[10:11], 0
	v_mfma_f32_16x16x16f16 v[162:165], v[164:165], v[12:13], v[166:169]
	s_nop 7
	s_nop 1
	ds_read2_b64 v[166:169], v65 offset0:8 offset1:12
	s_waitcnt lgkmcnt(0)
	v_mfma_f32_16x16x16f16 v[162:165], v[166:167], v[6:7], v[162:165]
	v_mfma_f32_16x16x16f16 v[162:165], v[168:169], v[8:9], v[162:165]
	ds_read2_b64 v[166:169], v65 offset0:16 offset1:20
	s_waitcnt lgkmcnt(0)
	s_barrier
	v_mfma_f32_16x16x16f16 v[162:165], v[166:167], v[2:3], v[162:165]
	ds_read2_b32 v[166:167], v48 offset1:1
	v_mfma_f32_16x16x16f16 v[162:165], v[168:169], v[4:5], v[162:165]
	s_waitcnt lgkmcnt(0)
	v_cvt_f32_f16_e32 v168, v166
	v_cvt_f32_f16_sdwa v169, v166 dst_sel:DWORD dst_unused:UNUSED_PAD src0_sel:WORD_1
	v_cvt_f32_f16_e32 v166, v167
	v_cvt_f32_f16_sdwa v167, v167 dst_sel:DWORD dst_unused:UNUSED_PAD src0_sel:WORD_1
	s_nop 5
	v_pk_add_f32 v[162:163], v[162:163], v[168:169]
	v_add_f32_e32 v48, 0x40051340, v162
	v_add_f32_e32 v147, 0x40051340, v163
	v_pk_add_f32 v[164:165], v[164:165], v[166:167]
	v_max3_f32 v48, v161, v48, v147
	v_add_f32_e32 v147, 0x40051340, v164
	v_add_f32_e32 v166, 0x40051340, v165
	v_max3_f32 v48, v48, v147, v166
	ds_bpermute_b32 v147, v149, v48
	s_waitcnt lgkmcnt(0)
	v_max_f32_e32 v147, v147, v147
	v_max_f32_e32 v48, v48, v147
	ds_bpermute_b32 v147, v150, v48
	s_waitcnt lgkmcnt(0)
	v_max_f32_e32 v147, v147, v147
	v_max_f32_e32 v48, v48, v147
	v_pk_add_f32 v[162:163], v[162:163], v[48:49] op_sel_hi:[1,0] neg_lo:[0,1] neg_hi:[0,1]
	v_mul_f32_e32 v147, 0x3fb8aa3b, v163
	v_fma_f32 v166, v163, s11, -v147
	v_rndne_f32_e32 v167, v147
	v_fmac_f32_e32 v166, 0x32a5705f, v163
	v_sub_f32_e32 v147, v147, v167
	v_add_f32_e32 v147, v147, v166
	v_exp_f32_e32 v147, v147
	v_cvt_i32_f32_e32 v166, v167
	v_cmp_ngt_f32_e32 vcc, s63, v163
	v_sub_f32_e32 v161, v161, v48
	v_ldexp_f32 v147, v147, v166
	v_cndmask_b32_e32 v147, 0, v147, vcc
	v_cmp_nlt_f32_e32 vcc, s95, v163
	v_cndmask_b32_e32 v166, v142, v147, vcc
	v_mul_f32_e32 v147, 0x3fb8aa3b, v162
	v_fma_f32 v163, v162, s11, -v147
	v_rndne_f32_e32 v167, v147
	v_fmac_f32_e32 v163, 0x32a5705f, v162
	v_sub_f32_e32 v147, v147, v167
	v_add_f32_e32 v147, v147, v163
	v_exp_f32_e32 v147, v147
	v_cvt_i32_f32_e32 v163, v167
	v_cmp_ngt_f32_e32 vcc, s63, v162
	v_ldexp_f32 v147, v147, v163
	v_cndmask_b32_e32 v147, 0, v147, vcc
	v_cmp_nlt_f32_e32 vcc, s95, v162
	v_pk_add_f32 v[162:163], v[164:165], v[48:49] op_sel_hi:[1,0] neg_lo:[0,1] neg_hi:[0,1]
	v_cndmask_b32_e32 v167, v142, v147, vcc
	v_mul_f32_e32 v147, 0x3fb8aa3b, v163
	v_fma_f32 v164, v163, s11, -v147
	v_rndne_f32_e32 v165, v147
	v_fmac_f32_e32 v164, 0x32a5705f, v163
	v_sub_f32_e32 v147, v147, v165
	v_add_f32_e32 v147, v147, v164
	v_exp_f32_e32 v147, v147
	v_cvt_i32_f32_e32 v164, v165
	v_cmp_ngt_f32_e32 vcc, s63, v163
	v_ldexp_f32 v147, v147, v164
	v_cndmask_b32_e32 v147, 0, v147, vcc
	v_cmp_nlt_f32_e32 vcc, s95, v163
	v_cndmask_b32_e32 v163, v142, v147, vcc
	v_mul_f32_e32 v147, 0x3fb8aa3b, v162
	v_fma_f32 v164, v162, s11, -v147
	v_rndne_f32_e32 v165, v147
	v_fmac_f32_e32 v164, 0x32a5705f, v162
	v_sub_f32_e32 v147, v147, v165
	v_add_f32_e32 v147, v147, v164
	v_exp_f32_e32 v147, v147
	v_cvt_i32_f32_e32 v164, v165
	v_cmp_ngt_f32_e32 vcc, s63, v162
	v_ldexp_f32 v147, v147, v164
	v_mul_f32_e32 v164, 0x3fb8aa3b, v161
	v_fma_f32 v165, v161, s11, -v164
	v_rndne_f32_e32 v168, v164
	v_fmac_f32_e32 v165, 0x32a5705f, v161
	v_sub_f32_e32 v164, v164, v168
	v_add_f32_e32 v164, v164, v165
	v_exp_f32_e32 v164, v164
	v_cvt_i32_f32_e32 v165, v168
	v_cndmask_b32_e32 v147, 0, v147, vcc
	v_cmp_nlt_f32_e32 vcc, s95, v162
	v_cndmask_b32_e32 v162, v142, v147, vcc
	v_ldexp_f32 v164, v164, v165
	v_cmp_ngt_f32_e32 vcc, s63, v161
	v_add_f32_e32 v147, v167, v166
	v_cndmask_b32_e32 v164, 0, v164, vcc
	v_cmp_nlt_f32_e32 vcc, s95, v161
	v_add_f32_e32 v147, v162, v147
	v_cndmask_b32_e32 v164, v142, v164, vcc
	v_cmp_le_f32_e32 vcc, s52, v161
	v_add_f32_e32 v147, v163, v147
	v_cndmask_b32_e32 v161, 0, v164, vcc
	v_fmac_f32_e32 v147, v170, v161
	v_cvt_f16_f32_e32 v161, v161
	v_pk_mul_f16 v175, v161, v63 op_sel_hi:[0,1]
	v_pk_mul_f16 v176, v161, v62 op_sel_hi:[0,1]
	v_cvt_f16_f32_e32 v62, v167
	v_cvt_f16_f32_e32 v63, v166
	v_pk_mul_f16 v165, v161, v152 op_sel_hi:[0,1]
	v_cvt_f16_f32_e32 v152, v162
	v_pk_mul_f16 v164, v161, v153 op_sel_hi:[0,1]
	v_pack_b32_f16 v62, v62, v63
	v_cvt_f16_f32_e32 v63, v163
	v_pk_mul_f16 v168, v161, v155 op_sel_hi:[0,1]
	v_pk_mul_f16 v169, v161, v154 op_sel_hi:[0,1]
	v_pk_mul_f16 v170, v161, v157 op_sel_hi:[0,1]
	v_pack_b32_f16 v63, v152, v63
	global_load_dwordx4 v[152:155], v[50:51], off
	v_pk_mul_f16 v171, v161, v156 op_sel_hi:[0,1]
	v_pk_mul_f16 v172, v161, v158 op_sel_hi:[0,1]
	;; [unrolled: 1-line block ×5, first 2 shown]
	s_waitcnt vmcnt(0)
	ds_write_b128 v61, v[152:155]
	v_add_co_u32_e32 v152, vcc, v52, v42
	v_addc_co_u32_e32 v153, vcc, 0, v1, vcc
	global_load_dwordx4 v[152:155], v[152:153], off
	s_waitcnt vmcnt(0)
	ds_write_b128 v64, v[152:155]
	v_add_co_u32_e32 v152, vcc, v54, v42
	v_addc_co_u32_e32 v153, vcc, 0, v15, vcc
	global_load_dwordx4 v[152:155], v[152:153], off
	v_add_co_u32_e32 v46, vcc, s53, v46
	v_addc_co_u32_e32 v47, vcc, 0, v47, vcc
	v_add_co_u32_e32 v50, vcc, s64, v50
	s_waitcnt vmcnt(0)
	ds_write_b128 v134, v[152:155]
	s_waitcnt lgkmcnt(0)
	s_barrier
	ds_read_u16 v156, v68 offset:208
	ds_read_u16 v157, v68 offset:416
	ds_read_u16 v158, v69
	ds_read_u16 v159, v69 offset:32
	v_cvt_f32_f16_e32 v152, v164
	v_cvt_f32_f16_sdwa v153, v164 dst_sel:DWORD dst_unused:UNUSED_PAD src0_sel:WORD_1
	v_cvt_f32_f16_e32 v154, v165
	s_waitcnt lgkmcnt(1)
	v_perm_b32 v157, v158, v157, s55
	ds_read_u16 v158, v67
	ds_read_u16 v160, v67 offset:32
	v_cvt_f32_f16_sdwa v155, v165 dst_sel:DWORD dst_unused:UNUSED_PAD src0_sel:WORD_1
	s_waitcnt lgkmcnt(1)
	v_perm_b32 v156, v156, v158, s55
	s_nop 1
	v_mfma_f32_16x16x16f16 v[152:155], v[156:157], v[62:63], v[152:155]
	ds_read_u16 v158, v135 offset:208
	ds_read_u16 v161, v135 offset:416
	v_cvt_f32_f16_e32 v156, v169
	v_cvt_f32_f16_sdwa v157, v169 dst_sel:DWORD dst_unused:UNUSED_PAD src0_sel:WORD_1
	s_waitcnt lgkmcnt(1)
	v_perm_b32 v158, v158, v160, s55
	s_waitcnt lgkmcnt(0)
	v_perm_b32 v159, v159, v161, s55
	ds_read_u16 v160, v67 offset:64
	ds_read_u16 v162, v136 offset:208
	;; [unrolled: 1-line block ×4, first 2 shown]
	v_cvt_f16_f32_e32 v152, v152
	v_cvt_f16_f32_e32 v153, v153
	;; [unrolled: 1-line block ×4, first 2 shown]
	s_waitcnt lgkmcnt(0)
	v_perm_b32 v161, v163, v161, s55
	v_pack_b32_f16 v153, v152, v153
	v_perm_b32 v160, v162, v160, s55
	v_pack_b32_f16 v152, v154, v155
	v_cvt_f32_f16_e32 v154, v168
	v_cvt_f32_f16_sdwa v155, v168 dst_sel:DWORD dst_unused:UNUSED_PAD src0_sel:WORD_1
	ds_read_u16 v162, v67 offset:96
	ds_read_u16 v164, v137 offset:208
	;; [unrolled: 1-line block ×4, first 2 shown]
	v_mfma_f32_16x16x16f16 v[154:157], v[158:159], v[62:63], v[154:157]
	v_cvt_f32_f16_e32 v158, v171
	v_cvt_f32_f16_sdwa v159, v171 dst_sel:DWORD dst_unused:UNUSED_PAD src0_sel:WORD_1
	s_waitcnt lgkmcnt(0)
	v_perm_b32 v163, v165, v163, s55
	v_perm_b32 v162, v164, v162, s55
	s_nop 5
	v_cvt_f16_f32_e32 v154, v154
	v_cvt_f16_f32_e32 v155, v155
	;; [unrolled: 1-line block ×4, first 2 shown]
	v_pack_b32_f16 v155, v154, v155
	v_pack_b32_f16 v154, v156, v157
	v_cvt_f32_f16_e32 v156, v170
	v_cvt_f32_f16_sdwa v157, v170 dst_sel:DWORD dst_unused:UNUSED_PAD src0_sel:WORD_1
	s_nop 1
	v_mfma_f32_16x16x16f16 v[156:159], v[160:161], v[62:63], v[156:159]
	v_cvt_f32_f16_e32 v160, v172
	v_cvt_f32_f16_sdwa v161, v172 dst_sel:DWORD dst_unused:UNUSED_PAD src0_sel:WORD_1
	s_nop 7
	s_nop 0
	v_cvt_f16_f32_e32 v156, v156
	v_cvt_f16_f32_e32 v157, v157
	;; [unrolled: 1-line block ×4, first 2 shown]
	v_pack_b32_f16 v157, v156, v157
	v_pack_b32_f16 v156, v158, v159
	v_cvt_f32_f16_e32 v158, v151
	v_cvt_f32_f16_sdwa v159, v151 dst_sel:DWORD dst_unused:UNUSED_PAD src0_sel:WORD_1
	s_nop 1
	v_mfma_f32_16x16x16f16 v[158:161], v[162:163], v[62:63], v[158:161]
	v_cvt_f32_f16_e32 v162, v174
	v_cvt_f32_f16_sdwa v163, v174 dst_sel:DWORD dst_unused:UNUSED_PAD src0_sel:WORD_1
	s_nop 7
	s_nop 0
	v_cvt_f16_f32_e32 v151, v158
	v_cvt_f16_f32_e32 v158, v159
	;; [unrolled: 1-line block ×4, first 2 shown]
	v_cvt_f32_f16_sdwa v161, v173 dst_sel:DWORD dst_unused:UNUSED_PAD src0_sel:WORD_1
	v_pack_b32_f16 v151, v151, v158
	v_pack_b32_f16 v158, v159, v160
	ds_read_u16 v159, v67 offset:128
	ds_read_u16 v164, v138 offset:208
	ds_read_u16 v165, v138 offset:416
	ds_read_u16 v166, v69 offset:128
	v_cvt_f32_f16_e32 v160, v173
	s_waitcnt lgkmcnt(2)
	v_perm_b32 v164, v164, v159, s55
	s_waitcnt lgkmcnt(0)
	v_perm_b32 v165, v166, v165, s55
	s_nop 1
	v_mfma_f32_16x16x16f16 v[160:163], v[164:165], v[62:63], v[160:163]
	v_cvt_f32_f16_e32 v164, v176
	v_cvt_f32_f16_sdwa v165, v176 dst_sel:DWORD dst_unused:UNUSED_PAD src0_sel:WORD_1
	s_nop 7
	s_nop 0
	v_cvt_f16_f32_e32 v159, v160
	v_cvt_f16_f32_e32 v160, v161
	;; [unrolled: 1-line block ×4, first 2 shown]
	v_cvt_f32_f16_sdwa v163, v175 dst_sel:DWORD dst_unused:UNUSED_PAD src0_sel:WORD_1
	v_pack_b32_f16 v160, v159, v160
	v_pack_b32_f16 v159, v161, v162
	ds_read_u16 v161, v67 offset:160
	ds_read_u16 v166, v139 offset:208
	;; [unrolled: 1-line block ×4, first 2 shown]
	v_cvt_f32_f16_e32 v162, v175
	s_waitcnt lgkmcnt(0)
	v_perm_b32 v166, v166, v161, s55
	s_barrier
	v_perm_b32 v167, v168, v167, s55
	s_nop 1
	v_mfma_f32_16x16x16f16 v[162:165], v[166:167], v[62:63], v[162:165]
	s_nop 7
	s_nop 2
	v_cvt_f16_f32_e32 v62, v162
	v_cvt_f16_f32_e32 v63, v163
	;; [unrolled: 1-line block ×4, first 2 shown]
	v_pack_b32_f16 v63, v62, v63
	v_pack_b32_f16 v62, v161, v162
	v_mov_b32_e32 v161, s65
	v_addc_co_u32_e32 v51, vcc, v51, v161, vcc
	v_add_co_u32_e32 v52, vcc, s64, v52
	v_addc_co_u32_e32 v1, vcc, v1, v161, vcc
	v_add_co_u32_e32 v54, vcc, s64, v54
	;; [unrolled: 2-line block ×3, first 2 shown]
	v_mov_b32_e32 v161, s67
	v_addc_co_u32_e32 v57, vcc, v57, v161, vcc
	v_add_co_u32_e32 v58, vcc, s66, v58
	v_addc_co_u32_e32 v17, vcc, v17, v161, vcc
	v_add_co_u32_e32 v60, vcc, s66, v60
	v_addc_co_u32_e32 v25, vcc, v25, v161, vcc
	s_cbranch_scc1 .LBB14_115
.LBB14_116:                             ;   in Loop: Header=BB14_14 Depth=1
	v_mad_i64_i32 v[46:47], s[8:9], v148, s10, 0
	s_lshl_b32 s56, s70, 6
	s_lshl_b64 s[8:9], s[56:57], 1
	v_mov_b32_e32 v1, s9
	v_add_co_u32_e32 v15, vcc, s8, v45
	v_addc_co_u32_e32 v1, vcc, v143, v1, vcc
	v_lshlrev_b64 v[46:47], 1, v[46:47]
	s_mul_i32 s8, s35, s56
	s_mul_hi_u32 s9, s34, s56
	v_add_co_u32_e32 v15, vcc, v15, v46
	s_add_i32 s9, s9, s8
	s_mul_i32 s8, s34, s56
	v_addc_co_u32_e32 v1, vcc, v1, v47, vcc
	v_lshlrev_b32_e32 v17, 1, v16
	s_lshl_b64 s[8:9], s[8:9], 2
	v_add_co_u32_e32 v46, vcc, v15, v17
	s_add_u32 s8, s80, s8
	v_addc_co_u32_e32 v47, vcc, 0, v1, vcc
	s_addc_u32 s9, s81, s9
	v_mov_b32_e32 v15, s9
	v_add_co_u32_e32 v17, vcc, s8, v22
	v_addc_co_u32_e32 v15, vcc, v15, v23, vcc
	global_load_dword v1, v[46:47], off
	v_add_co_u32_e32 v46, vcc, v17, v71
	v_addc_co_u32_e32 v47, vcc, 0, v15, vcc
	v_mov_b32_e32 v15, s9
	v_add_co_u32_e32 v17, vcc, s8, v30
	v_addc_co_u32_e32 v15, vcc, v15, v31, vcc
	v_add_co_u32_e32 v50, vcc, v17, v72
	v_addc_co_u32_e32 v51, vcc, 0, v15, vcc
	v_mov_b32_e32 v15, s9
	v_add_co_u32_e32 v17, vcc, s8, v32
	global_load_dwordx4 v[162:165], v[46:47], off offset:128
	global_load_dwordx4 v[166:169], v[50:51], off
	v_addc_co_u32_e32 v15, vcc, v15, v33, vcc
	v_add_co_u32_e32 v46, vcc, v17, v72
	v_addc_co_u32_e32 v47, vcc, 0, v15, vcc
	global_load_dwordx4 v[170:173], v[46:47], off
	v_cmp_lt_i32_e32 vcc, v145, v144
	v_cndmask_b32_e32 v15, v53, v145, vcc
	v_cmp_lt_i32_e32 vcc, v146, v144
	v_lshlrev_b32_e32 v17, 2, v15
	s_mul_i32 s9, s31, s56
	s_mul_hi_u32 s38, s30, s56
	s_mul_i32 s8, s30, s56
	s_add_i32 s9, s38, s9
	s_lshl_b64 s[8:9], s[8:9], 2
	s_add_u32 s8, s49, s8
	s_addc_u32 s9, s79, s9
	v_mov_b32_e32 v25, s9
	v_mov_b32_e32 v45, s9
	;; [unrolled: 1-line block ×3, first 2 shown]
	s_cmp_eq_u64 s[68:69], 0
	s_waitcnt vmcnt(3)
	ds_write_b32 v59, v1 offset:13312
	s_waitcnt vmcnt(2)
	ds_write_b128 v61, v[162:165]
	s_waitcnt vmcnt(1)
	ds_write_b128 v64, v[166:169]
	;; [unrolled: 2-line block ×3, first 2 shown]
	s_waitcnt lgkmcnt(0)
	s_barrier
	ds_read2_b64 v[162:165], v65 offset1:4
	s_waitcnt lgkmcnt(0)
	v_mfma_f32_16x16x16f16 v[166:169], v[162:163], v[10:11], 0
	v_cndmask_b32_e32 v10, v53, v146, vcc
	ds_read2_b64 v[50:53], v65 offset0:8 offset1:12
	v_lshlrev_b32_e32 v15, 2, v10
	v_add_u32_e32 v1, 0x3400, v66
	v_add_co_u32_e32 v47, vcc, s8, v20
	v_addc_co_u32_e32 v25, vcc, v25, v21, vcc
	v_mfma_f32_16x16x16f16 v[10:13], v[164:165], v[12:13], v[166:169]
	ds_read2_b64 v[162:165], v65 offset0:16 offset1:20
	s_waitcnt lgkmcnt(0)
	s_barrier
	v_mfma_f32_16x16x16f16 v[10:13], v[50:51], v[6:7], v[10:13]
	v_add_co_u32_e32 v50, vcc, s8, v26
	v_addc_co_u32_e32 v45, vcc, v45, v27, vcc
	v_add_co_u32_e32 v51, vcc, s8, v28
	s_cselect_b64 s[8:9], -1, 0
	v_mfma_f32_16x16x16f16 v[6:9], v[52:53], v[8:9], v[10:13]
	v_addc_co_u32_e32 v52, vcc, v46, v29, vcc
	s_xor_b64 s[44:45], s[0:1], -1
	s_or_b64 s[8:9], s[44:45], s[8:9]
	v_mfma_f32_16x16x16f16 v[6:9], v[162:163], v[2:3], v[6:9]
	s_nop 2
	ds_read2_b32 v[10:11], v1 offset1:1
	v_add_co_u32_e32 v12, vcc, v47, v71
	v_addc_co_u32_e32 v13, vcc, 0, v25, vcc
	s_waitcnt lgkmcnt(0)
	v_cvt_f32_f16_e32 v46, v10
	v_cvt_f32_f16_sdwa v47, v10 dst_sel:DWORD dst_unused:UNUSED_PAD src0_sel:WORD_1
	v_mfma_f32_16x16x16f16 v[2:5], v[164:165], v[4:5], v[6:9]
	v_cvt_f32_f16_e32 v10, v11
	v_cvt_f32_f16_sdwa v11, v11 dst_sel:DWORD dst_unused:UNUSED_PAD src0_sel:WORD_1
	s_nop 7
	s_nop 0
	v_pk_add_f32 v[46:47], v[2:3], v[46:47]
	v_pk_add_f32 v[56:57], v[4:5], v[10:11]
	v_add_f32_e32 v1, 0x40051340, v46
	v_add_f32_e32 v2, 0x40051340, v47
	v_add_f32_e32 v3, 0x40051340, v56
	v_add_f32_e32 v4, 0x40051340, v57
	v_max3_f32 v1, v48, v1, v2
	v_max3_f32 v1, v1, v3, v4
	ds_bpermute_b32 v4, v17, v1
	v_add_co_u32_e32 v2, vcc, v50, v72
	v_addc_co_u32_e32 v3, vcc, 0, v45, vcc
	v_add_co_u32_e32 v50, vcc, v51, v72
	s_waitcnt lgkmcnt(0)
	v_max_f32_e32 v4, v4, v4
	v_addc_co_u32_e32 v51, vcc, 0, v52, vcc
	v_max_f32_e32 v1, v1, v4
	global_load_dwordx4 v[4:7], v[12:13], off offset:128
	global_load_dwordx4 v[8:11], v[2:3], off
	s_nop 0
	global_load_dwordx4 v[50:53], v[50:51], off
	ds_bpermute_b32 v25, v15, v1
	s_waitcnt vmcnt(2)
	ds_write_b128 v61, v[4:7]
	s_waitcnt vmcnt(1)
	ds_write_b128 v64, v[8:11]
	;; [unrolled: 2-line block ×3, first 2 shown]
	s_waitcnt lgkmcnt(3)
	v_max_f32_e32 v2, v25, v25
	v_max_f32_e32 v2, v1, v2
	v_pk_add_f32 v[12:13], v[46:47], v[2:3] op_sel_hi:[1,0] neg_lo:[0,1] neg_hi:[0,1]
	v_mul_f32_e32 v1, 0x3fb8aa3b, v13
	v_pk_add_f32 v[46:47], v[56:57], v[2:3] op_sel_hi:[1,0] neg_lo:[0,1] neg_hi:[0,1]
	v_mul_f32_e32 v3, 0x3fb8aa3b, v12
	v_fma_f32 v45, v13, s11, -v1
	v_rndne_f32_e32 v54, v1
	v_fma_f32 v56, v12, s11, -v3
	v_rndne_f32_e32 v57, v3
	v_fmac_f32_e32 v45, 0x32a5705f, v13
	v_sub_f32_e32 v1, v1, v54
	v_fmac_f32_e32 v56, 0x32a5705f, v12
	v_sub_f32_e32 v3, v3, v57
	v_add_f32_e32 v1, v1, v45
	v_cvt_i32_f32_e32 v54, v54
	v_add_f32_e32 v3, v3, v56
	v_exp_f32_e32 v1, v1
	v_cvt_i32_f32_e32 v57, v57
	v_exp_f32_e32 v3, v3
	v_cmp_ngt_f32_e32 vcc, s63, v13
	v_ldexp_f32 v1, v1, v54
	v_cndmask_b32_e32 v1, 0, v1, vcc
	v_ldexp_f32 v3, v3, v57
	v_cmp_ngt_f32_e32 vcc, s63, v12
	v_cndmask_b32_e32 v3, 0, v3, vcc
	v_cmp_nlt_f32_e32 vcc, s95, v13
	v_cndmask_b32_e32 v1, v142, v1, vcc
	v_cmp_nlt_f32_e32 vcc, s95, v12
	v_mul_f32_e32 v12, 0x3fb8aa3b, v46
	v_mul_f32_e32 v25, 0x3fb8aa3b, v47
	v_fma_f32 v13, v46, s11, -v12
	v_rndne_f32_e32 v45, v12
	v_fma_f32 v58, v47, s11, -v25
	v_rndne_f32_e32 v60, v25
	v_fmac_f32_e32 v13, 0x32a5705f, v46
	v_sub_f32_e32 v12, v12, v45
	v_fmac_f32_e32 v58, 0x32a5705f, v47
	v_sub_f32_e32 v25, v25, v60
	v_add_f32_e32 v12, v12, v13
	v_add_f32_e32 v25, v25, v58
	v_exp_f32_e32 v12, v12
	v_cvt_i32_f32_e32 v13, v45
	v_cvt_i32_f32_e32 v60, v60
	v_exp_f32_e32 v25, v25
	v_cndmask_b32_e32 v3, v142, v3, vcc
	v_ldexp_f32 v12, v12, v13
	v_sub_f32_e32 v13, v48, v2
	v_ldexp_f32 v25, v25, v60
	v_cmp_ngt_f32_e32 vcc, s63, v47
	v_mul_f32_e32 v45, 0x3fb8aa3b, v13
	v_cndmask_b32_e32 v25, 0, v25, vcc
	v_cmp_nlt_f32_e32 vcc, s95, v47
	v_fma_f32 v47, v13, s11, -v45
	v_rndne_f32_e32 v48, v45
	v_fmac_f32_e32 v47, 0x32a5705f, v13
	v_sub_f32_e32 v45, v45, v48
	v_add_f32_e32 v45, v45, v47
	v_exp_f32_e32 v45, v45
	v_cvt_i32_f32_e32 v47, v48
	v_cndmask_b32_e32 v25, v142, v25, vcc
	v_cmp_ngt_f32_e32 vcc, s63, v46
	v_cndmask_b32_e32 v12, 0, v12, vcc
	v_cmp_nlt_f32_e32 vcc, s95, v46
	v_cndmask_b32_e32 v12, v142, v12, vcc
	v_ldexp_f32 v45, v45, v47
	v_cmp_ngt_f32_e32 vcc, s63, v13
	v_cndmask_b32_e32 v45, 0, v45, vcc
	v_cmp_nlt_f32_e32 vcc, s95, v13
	v_cndmask_b32_e32 v45, v142, v45, vcc
	v_cmp_le_f32_e32 vcc, s52, v13
	v_cndmask_b32_e32 v13, 0, v45, vcc
	v_cvt_f16_f32_e32 v45, v13
	v_add_f32_e32 v46, v3, v1
	s_waitcnt lgkmcnt(0)
	s_barrier
	ds_read_u16 v7, v68 offset:208
	ds_read_u16 v8, v68 offset:416
	v_add_f32_e32 v46, v12, v46
	v_add_f32_e32 v48, v25, v46
	v_fmac_f32_e32 v48, v147, v13
	v_pk_mul_f16 v13, v45, v153 op_sel_hi:[0,1]
	v_cvt_f32_f16_e32 v4, v13
	v_cvt_f32_f16_sdwa v5, v13 dst_sel:DWORD dst_unused:UNUSED_PAD src0_sel:WORD_1
	ds_read_u16 v11, v135 offset:416
	ds_read_u16 v9, v69
	ds_read_u16 v13, v69 offset:32
	ds_read_u16 v50, v69 offset:64
	;; [unrolled: 1-line block ×6, first 2 shown]
	v_pk_mul_f16 v60, v45, v151 op_sel_hi:[0,1]
	s_waitcnt lgkmcnt(6)
	v_perm_b32 v9, v9, v8, s55
	ds_read_u16 v8, v67
	ds_read_u16 v52, v67 offset:32
	ds_read_u16 v148, v67 offset:64
	;; [unrolled: 1-line block ×5, first 2 shown]
	v_pk_mul_f16 v46, v45, v152 op_sel_hi:[0,1]
	v_cvt_f16_f32_e32 v3, v3
	v_cvt_f16_f32_e32 v1, v1
	;; [unrolled: 1-line block ×4, first 2 shown]
	s_waitcnt lgkmcnt(5)
	v_perm_b32 v8, v7, v8, s55
	v_cvt_f32_f16_e32 v6, v46
	v_cvt_f32_f16_sdwa v7, v46 dst_sel:DWORD dst_unused:UNUSED_PAD src0_sel:WORD_1
	v_pack_b32_f16 v46, v3, v1
	v_pack_b32_f16 v47, v12, v25
	v_pk_mul_f16 v54, v45, v155 op_sel_hi:[0,1]
	v_pk_mul_f16 v56, v45, v154 op_sel_hi:[0,1]
	v_mfma_f32_16x16x16f16 v[4:7], v[8:9], v[46:47], v[4:7]
	v_perm_b32 v13, v13, v11, s55
	s_waitcnt lgkmcnt(4)
	v_perm_b32 v12, v51, v52, s55
	v_cvt_f32_f16_e32 v8, v54
	v_cvt_f32_f16_sdwa v9, v54 dst_sel:DWORD dst_unused:UNUSED_PAD src0_sel:WORD_1
	v_cvt_f32_f16_e32 v10, v56
	v_cvt_f32_f16_sdwa v11, v56 dst_sel:DWORD dst_unused:UNUSED_PAD src0_sel:WORD_1
	v_pk_mul_f16 v57, v45, v157 op_sel_hi:[0,1]
	s_nop 2
	v_cvt_f16_f32_e32 v3, v5
	v_cvt_f16_f32_e32 v5, v6
	;; [unrolled: 1-line block ×3, first 2 shown]
	v_mfma_f32_16x16x16f16 v[6:9], v[12:13], v[46:47], v[8:11]
	v_cvt_f16_f32_e32 v1, v4
	v_pk_mul_f16 v58, v45, v156 op_sel_hi:[0,1]
	v_pk_mul_f16 v143, v45, v158 op_sel_hi:[0,1]
	v_pk_mul_f16 v144, v45, v160 op_sel_hi:[0,1]
	v_pk_mul_f16 v145, v45, v159 op_sel_hi:[0,1]
	v_pk_mul_f16 v63, v45, v63 op_sel_hi:[0,1]
	v_pk_mul_f16 v45, v45, v62 op_sel_hi:[0,1]
	v_pack_b32_f16 v4, v1, v3
	s_nop 2
	v_cvt_f16_f32_e32 v3, v6
	v_cvt_f16_f32_e32 v6, v7
	;; [unrolled: 1-line block ×4, first 2 shown]
	v_cvt_f32_f16_e32 v8, v57
	v_cvt_f32_f16_sdwa v9, v57 dst_sel:DWORD dst_unused:UNUSED_PAD src0_sel:WORD_1
	ds_read_u16 v1, v136 offset:208
	ds_read_u16 v11, v136 offset:416
	;; [unrolled: 1-line block ×8, first 2 shown]
	s_waitcnt lgkmcnt(6)
	v_perm_b32 v13, v50, v11, s55
	v_perm_b32 v12, v1, v148, s55
	v_cvt_f32_f16_e32 v10, v58
	v_cvt_f32_f16_sdwa v11, v58 dst_sel:DWORD dst_unused:UNUSED_PAD src0_sel:WORD_1
	v_pack_b32_f16 v1, v5, v25
	v_pack_b32_f16 v5, v7, v51
	v_mfma_f32_16x16x16f16 v[8:11], v[12:13], v[46:47], v[8:11]
	s_waitcnt lgkmcnt(4)
	v_perm_b32 v13, v53, v56, s55
	v_perm_b32 v12, v54, v149, s55
	v_cvt_f32_f16_e32 v50, v60
	v_cvt_f32_f16_sdwa v51, v60 dst_sel:DWORD dst_unused:UNUSED_PAD src0_sel:WORD_1
	v_cvt_f32_f16_e32 v52, v143
	v_cvt_f32_f16_sdwa v53, v143 dst_sel:DWORD dst_unused:UNUSED_PAD src0_sel:WORD_1
	v_pack_b32_f16 v6, v3, v6
	s_nop 2
	v_cvt_f16_f32_e32 v7, v9
	v_cvt_f16_f32_e32 v9, v10
	;; [unrolled: 1-line block ×3, first 2 shown]
	v_mfma_f32_16x16x16f16 v[10:13], v[12:13], v[46:47], v[50:53]
	v_cvt_f16_f32_e32 v3, v8
	s_waitcnt lgkmcnt(0)
	s_barrier
	v_pack_b32_f16 v8, v3, v7
	s_nop 2
	v_cvt_f32_f16_e32 v50, v144
	v_cvt_f32_f16_sdwa v51, v144 dst_sel:DWORD dst_unused:UNUSED_PAD src0_sel:WORD_1
	s_nop 1
	v_cvt_f16_f32_e32 v3, v10
	v_cvt_f16_f32_e32 v10, v11
	;; [unrolled: 1-line block ×4, first 2 shown]
	v_perm_b32 v13, v146, v62, s55
	v_perm_b32 v12, v57, v150, s55
	v_cvt_f32_f16_e32 v52, v145
	v_cvt_f32_f16_sdwa v53, v145 dst_sel:DWORD dst_unused:UNUSED_PAD src0_sel:WORD_1
	v_pack_b32_f16 v7, v9, v25
	v_pack_b32_f16 v10, v3, v10
	v_mfma_f32_16x16x16f16 v[50:53], v[12:13], v[46:47], v[50:53]
	v_pack_b32_f16 v9, v11, v54
	v_cvt_f32_f16_e32 v144, v63
	v_cvt_f32_f16_sdwa v145, v63 dst_sel:DWORD dst_unused:UNUSED_PAD src0_sel:WORD_1
	v_cvt_f32_f16_e32 v146, v45
	s_nop 6
	v_cvt_f16_f32_e32 v3, v50
	v_cvt_f16_f32_e32 v11, v51
	v_perm_b32 v51, v147, v153, s55
	v_perm_b32 v50, v152, v151, s55
	v_cvt_f32_f16_sdwa v147, v45 dst_sel:DWORD dst_unused:UNUSED_PAD src0_sel:WORD_1
	v_cvt_f16_f32_e32 v13, v52
	v_cvt_f16_f32_e32 v25, v53
	v_mfma_f32_16x16x16f16 v[50:53], v[50:51], v[46:47], v[144:147]
	ds_bpermute_b32 v47, v17, v48
	v_pack_b32_f16 v12, v3, v11
	v_pack_b32_f16 v11, v13, v25
	s_nop 7
	v_cvt_f16_f32_e32 v3, v50
	v_cvt_f16_f32_e32 v45, v51
	;; [unrolled: 1-line block ×4, first 2 shown]
	v_pack_b32_f16 v46, v3, v45
	s_waitcnt lgkmcnt(0)
	v_add_f32_e32 v3, v48, v47
	ds_bpermute_b32 v45, v15, v3
	v_pack_b32_f16 v13, v13, v25
	s_waitcnt lgkmcnt(0)
	v_add_f32_e32 v3, v3, v45
	s_and_saveexec_b64 s[44:45], s[8:9]
	s_xor_b64 s[8:9], exec, s[44:45]
	s_andn2_saveexec_b64 s[8:9], s[8:9]
	s_cbranch_execz .LBB14_118
; %bb.117:                              ;   in Loop: Header=BB14_14 Depth=1
	v_lshlrev_b32_e32 v25, 2, v36
	global_load_dword v25, v25, s[68:69]
	v_max_f32_e32 v45, v2, v2
	s_waitcnt vmcnt(0)
	v_max_f32_e32 v47, v25, v25
	v_max_f32_e32 v50, v45, v47
	v_sub_f32_e32 v2, v2, v50
	v_sub_f32_e32 v25, v25, v50
	v_mul_f32_e32 v45, 0x3fb8aa3b, v2
	v_mul_f32_e32 v47, 0x3fb8aa3b, v25
	v_fma_f32 v48, v2, s11, -v45
	v_rndne_f32_e32 v51, v45
	v_fma_f32 v52, v25, s11, -v47
	v_rndne_f32_e32 v53, v47
	v_fmac_f32_e32 v48, 0x32a5705f, v2
	v_sub_f32_e32 v45, v45, v51
	v_fmac_f32_e32 v52, 0x32a5705f, v25
	v_sub_f32_e32 v47, v47, v53
	v_add_f32_e32 v45, v45, v48
	v_cvt_i32_f32_e32 v51, v51
	v_add_f32_e32 v47, v47, v52
	v_exp_f32_e32 v45, v45
	v_cvt_i32_f32_e32 v53, v53
	v_exp_f32_e32 v47, v47
	v_cmp_ngt_f32_e32 vcc, s63, v2
	v_ldexp_f32 v45, v45, v51
	v_cndmask_b32_e32 v45, 0, v45, vcc
	v_ldexp_f32 v47, v47, v53
	v_cmp_ngt_f32_e32 vcc, s63, v25
	v_cndmask_b32_e32 v47, 0, v47, vcc
	v_cmp_nlt_f32_e32 vcc, s95, v2
	v_cndmask_b32_e32 v45, v142, v45, vcc
	v_cmp_le_f32_e32 vcc, s52, v2
	v_cndmask_b32_e32 v2, 0, v45, vcc
	v_cvt_f16_f32_e32 v45, v2
	v_cmp_nlt_f32_e32 vcc, s95, v25
	v_cndmask_b32_e32 v51, v142, v47, vcc
	v_fmac_f32_e32 v51, v3, v2
	v_pk_mul_f16 v4, v45, v4 op_sel_hi:[0,1]
	v_pk_mul_f16 v1, v45, v1 op_sel_hi:[0,1]
	;; [unrolled: 1-line block ×12, first 2 shown]
	v_pk_mov_b32 v[2:3], v[50:51], v[50:51] op_sel:[0,1]
.LBB14_118:                             ;   in Loop: Header=BB14_14 Depth=1
	s_or_b64 exec, exec, s[8:9]
	s_and_saveexec_b64 s[8:9], s[4:5]
	s_cbranch_execz .LBB14_120
; %bb.119:                              ;   in Loop: Header=BB14_14 Depth=1
	v_add_u32_e32 v25, 0, v78
	ds_write2_b32 v25, v2, v3 offset0:48 offset1:49
.LBB14_120:                             ;   in Loop: Header=BB14_14 Depth=1
	s_or_b64 exec, exec, s[8:9]
	s_waitcnt lgkmcnt(0)
	s_barrier
	s_and_saveexec_b64 s[8:9], s[2:3]
	s_xor_b64 s[8:9], exec, s[8:9]
	s_cbranch_execz .LBB14_122
; %bb.121:                              ;   in Loop: Header=BB14_14 Depth=1
	s_barrier
	s_waitcnt lgkmcnt(0)
                                        ; implicit-def: $vgpr17
                                        ; implicit-def: $vgpr15
.LBB14_122:                             ;   in Loop: Header=BB14_14 Depth=1
	s_andn2_saveexec_b64 s[8:9], s[8:9]
	s_cbranch_execz .LBB14_124
; %bb.123:                              ;   in Loop: Header=BB14_14 Depth=1
	v_add_u32_e32 v25, 0, v79
	ds_read_b64 v[2:3], v25 offset:192
	s_waitcnt lgkmcnt(0)
	s_barrier
	ds_bpermute_b32 v45, v17, v2
	v_max_f32_e32 v47, v2, v2
	s_waitcnt lgkmcnt(0)
	v_max_f32_e32 v45, v45, v45
	v_max_f32_e32 v45, v47, v45
	ds_bpermute_b32 v47, v15, v45
	s_waitcnt lgkmcnt(0)
	v_max_f32_e32 v47, v47, v47
	v_max_f32_e32 v45, v45, v47
	v_sub_f32_e32 v2, v2, v45
	v_mul_f32_e32 v45, 0x3fb8aa3b, v2
	v_fma_f32 v47, v2, s11, -v45
	v_rndne_f32_e32 v48, v45
	v_fmac_f32_e32 v47, 0x32a5705f, v2
	v_sub_f32_e32 v45, v45, v48
	v_add_f32_e32 v45, v45, v47
	v_cvt_i32_f32_e32 v48, v48
	v_exp_f32_e32 v45, v45
	v_cmp_ngt_f32_e32 vcc, s63, v2
	v_ldexp_f32 v45, v45, v48
	v_cndmask_b32_e32 v45, 0, v45, vcc
	v_cmp_nlt_f32_e32 vcc, s95, v2
	v_cndmask_b32_e32 v2, v142, v45, vcc
	v_mul_f32_e32 v45, v3, v2
	ds_bpermute_b32 v17, v17, v45
	s_waitcnt lgkmcnt(0)
	v_fmac_f32_e32 v17, v3, v2
	ds_bpermute_b32 v3, v15, v17
	s_waitcnt lgkmcnt(0)
	v_add_f32_e32 v3, v17, v3
	ds_write_b64 v25, v[2:3] offset:192
.LBB14_124:                             ;   in Loop: Header=BB14_14 Depth=1
	s_or_b64 exec, exec, s[8:9]
	ds_write2_b32 v80, v4, v1 offset1:1
	ds_write2_b32 v80, v6, v5 offset0:8 offset1:9
	ds_write2_b32 v80, v8, v7 offset0:16 offset1:17
	ds_write2_b32 v80, v10, v9 offset0:24 offset1:25
	ds_write2_b32 v80, v12, v11 offset0:32 offset1:33
	ds_write2_b32 v80, v46, v13 offset0:40 offset1:41
	s_waitcnt lgkmcnt(0)
	s_barrier
	s_and_saveexec_b64 s[68:69], s[0:1]
	s_cbranch_execz .LBB14_12
; %bb.125:                              ;   in Loop: Header=BB14_14 Depth=1
	v_add_u32_e32 v2, s76, v81
	v_or_b32_e32 v1, s88, v38
	v_cmp_gt_i32_e32 vcc, s28, v2
	v_cmp_gt_i32_e64 s[8:9], s33, v1
	s_and_b64 s[44:45], vcc, s[8:9]
	v_mov_b32_e32 v1, 0x47
	s_and_saveexec_b64 s[70:71], s[44:45]
	s_cbranch_execz .LBB14_127
; %bb.126:                              ;   in Loop: Header=BB14_14 Depth=1
	ds_read2st64_b32 v[4:5], v83 offset1:13
	v_add_u32_e32 v1, 0, v82
	v_mad_u64_u32 v[2:3], s[44:45], v2, s29, v[38:39]
	v_add_u32_e32 v3, 0xc0, v1
	ds_read2st64_b32 v[6:7], v3 offset0:13 offset1:26
	ds_read2st64_b32 v[8:9], v83 offset0:26 offset1:39
	ds_read2_b32 v[10:11], v1 offset0:48 offset1:49
	ds_read_b32 v12, v1 offset:10176
	s_waitcnt lgkmcnt(4)
	v_cvt_f32_f16_sdwa v47, v4 dst_sel:DWORD dst_unused:UNUSED_PAD src0_sel:WORD_1
	v_cvt_f32_f16_e32 v46, v4
	v_cvt_f32_f16_sdwa v51, v5 dst_sel:DWORD dst_unused:UNUSED_PAD src0_sel:WORD_1
	v_cvt_f32_f16_e32 v50, v5
	s_waitcnt lgkmcnt(2)
	v_cvt_f32_f16_sdwa v5, v8 dst_sel:DWORD dst_unused:UNUSED_PAD src0_sel:WORD_1
	v_cvt_f32_f16_e32 v4, v8
	v_cvt_f32_f16_sdwa v53, v9 dst_sel:DWORD dst_unused:UNUSED_PAD src0_sel:WORD_1
	v_cvt_f32_f16_e32 v52, v9
	s_waitcnt lgkmcnt(1)
	v_pk_fma_f32 v[46:47], v[10:11], v[46:47], 0 op_sel_hi:[0,1,0]
	v_pk_fma_f32 v[8:9], v[6:7], v[50:51], v[46:47] op_sel_hi:[0,1,1]
	v_mov_b32_e32 v6, v7
	v_pk_fma_f32 v[4:5], v[6:7], v[4:5], v[8:9] op_sel_hi:[0,1,1]
	s_waitcnt lgkmcnt(0)
	v_pk_fma_f32 v[4:5], v[12:13], v[52:53], v[4:5] op_sel_hi:[0,1,1]
	v_div_scale_f32 v6, s[44:45], v11, v11, v5
	v_mad_u64_u32 v[2:3], s[44:45], v2, 48, v[24:25]
	v_rcp_f32_e32 v7, v6
	v_ashrrev_i32_e32 v3, 31, v2
	v_lshlrev_b64 v[2:3], 3, v[2:3]
	v_mov_b32_e32 v1, s6
	v_add_co_u32_e32 v2, vcc, s7, v2
	v_addc_co_u32_e32 v3, vcc, v1, v3, vcc
	v_fma_f32 v1, -v6, v7, 1.0
	v_fmac_f32_e32 v7, v1, v7
	v_div_scale_f32 v1, vcc, v5, v11, v5
	v_mul_f32_e32 v8, v1, v7
	v_fma_f32 v9, -v6, v8, v1
	v_fmac_f32_e32 v8, v9, v7
	v_fma_f32 v1, -v6, v8, v1
	v_div_scale_f32 v6, s[44:45], v11, v11, v4
	v_rcp_f32_e32 v9, v6
	v_div_fmas_f32 v1, v1, v7, v8
	v_div_fixup_f32 v5, v1, v11, v5
	v_fma_f32 v1, -v6, v9, 1.0
	v_fmac_f32_e32 v9, v1, v9
	v_div_scale_f32 v1, vcc, v4, v11, v4
	v_mul_f32_e32 v7, v1, v9
	v_fma_f32 v8, -v6, v7, v1
	v_fmac_f32_e32 v7, v8, v9
	v_fma_f32 v1, -v6, v7, v1
	v_div_fmas_f32 v1, v1, v9, v7
	v_div_fixup_f32 v4, v1, v11, v4
	v_mov_b32_e32 v1, 0
	global_store_dwordx2 v[2:3], v[4:5], off
.LBB14_127:                             ;   in Loop: Header=BB14_14 Depth=1
	s_or_b64 exec, exec, s[70:71]
	v_cmp_gt_i32_e32 vcc, s62, v1
	s_mov_b64 s[72:73], -1
	s_and_saveexec_b64 s[70:71], vcc
; %bb.128:                              ;   in Loop: Header=BB14_14 Depth=1
	v_cmp_eq_u32_e32 vcc, 0, v1
	s_orn2_b64 s[72:73], vcc, exec
; %bb.129:                              ;   in Loop: Header=BB14_14 Depth=1
	s_or_b64 exec, exec, s[70:71]
	s_and_saveexec_b64 s[70:71], s[72:73]
	s_cbranch_execz .LBB14_162
; %bb.130:                              ;   in Loop: Header=BB14_14 Depth=1
	v_add_u32_e32 v2, s76, v84
	v_cmp_gt_i32_e32 vcc, s28, v2
	s_and_b64 s[44:45], vcc, s[8:9]
	v_mov_b32_e32 v1, 0x47
	s_and_saveexec_b64 s[72:73], s[44:45]
	s_cbranch_execz .LBB14_132
; %bb.131:                              ;   in Loop: Header=BB14_14 Depth=1
	ds_read2st64_b32 v[4:5], v86 offset1:13
	v_add_u32_e32 v1, 0, v85
	v_mad_u64_u32 v[2:3], s[44:45], v2, s29, v[38:39]
	v_add_u32_e32 v3, 0xc0, v1
	ds_read2st64_b32 v[6:7], v3 offset0:13 offset1:26
	ds_read2st64_b32 v[8:9], v86 offset0:26 offset1:39
	ds_read2_b32 v[10:11], v1 offset0:48 offset1:49
	ds_read_b32 v12, v1 offset:10176
	s_waitcnt lgkmcnt(4)
	v_cvt_f32_f16_sdwa v47, v4 dst_sel:DWORD dst_unused:UNUSED_PAD src0_sel:WORD_1
	v_cvt_f32_f16_e32 v46, v4
	v_cvt_f32_f16_sdwa v51, v5 dst_sel:DWORD dst_unused:UNUSED_PAD src0_sel:WORD_1
	v_cvt_f32_f16_e32 v50, v5
	s_waitcnt lgkmcnt(2)
	v_cvt_f32_f16_sdwa v5, v8 dst_sel:DWORD dst_unused:UNUSED_PAD src0_sel:WORD_1
	v_cvt_f32_f16_e32 v4, v8
	v_cvt_f32_f16_sdwa v53, v9 dst_sel:DWORD dst_unused:UNUSED_PAD src0_sel:WORD_1
	v_cvt_f32_f16_e32 v52, v9
	s_waitcnt lgkmcnt(1)
	v_pk_fma_f32 v[46:47], v[10:11], v[46:47], 0 op_sel_hi:[0,1,0]
	v_pk_fma_f32 v[8:9], v[6:7], v[50:51], v[46:47] op_sel_hi:[0,1,1]
	v_mov_b32_e32 v6, v7
	v_pk_fma_f32 v[4:5], v[6:7], v[4:5], v[8:9] op_sel_hi:[0,1,1]
	s_waitcnt lgkmcnt(0)
	v_pk_fma_f32 v[4:5], v[12:13], v[52:53], v[4:5] op_sel_hi:[0,1,1]
	v_div_scale_f32 v6, s[44:45], v11, v11, v5
	v_mad_u64_u32 v[2:3], s[44:45], v2, 48, v[24:25]
	v_rcp_f32_e32 v7, v6
	v_ashrrev_i32_e32 v3, 31, v2
	v_lshlrev_b64 v[2:3], 3, v[2:3]
	v_mov_b32_e32 v1, s6
	v_add_co_u32_e32 v2, vcc, s7, v2
	v_addc_co_u32_e32 v3, vcc, v1, v3, vcc
	v_fma_f32 v1, -v6, v7, 1.0
	v_fmac_f32_e32 v7, v1, v7
	v_div_scale_f32 v1, vcc, v5, v11, v5
	v_mul_f32_e32 v8, v1, v7
	v_fma_f32 v9, -v6, v8, v1
	v_fmac_f32_e32 v8, v9, v7
	v_fma_f32 v1, -v6, v8, v1
	v_div_scale_f32 v6, s[44:45], v11, v11, v4
	v_rcp_f32_e32 v9, v6
	v_div_fmas_f32 v1, v1, v7, v8
	v_div_fixup_f32 v5, v1, v11, v5
	v_fma_f32 v1, -v6, v9, 1.0
	v_fmac_f32_e32 v9, v1, v9
	v_div_scale_f32 v1, vcc, v4, v11, v4
	v_mul_f32_e32 v7, v1, v9
	v_fma_f32 v8, -v6, v7, v1
	v_fmac_f32_e32 v7, v8, v9
	v_fma_f32 v1, -v6, v7, v1
	v_div_fmas_f32 v1, v1, v9, v7
	v_div_fixup_f32 v4, v1, v11, v4
	v_mov_b32_e32 v1, 0
	global_store_dwordx2 v[2:3], v[4:5], off
.LBB14_132:                             ;   in Loop: Header=BB14_14 Depth=1
	s_or_b64 exec, exec, s[72:73]
	v_cmp_gt_i32_e32 vcc, s62, v1
	s_mov_b64 s[72:73], -1
	s_and_saveexec_b64 s[74:75], vcc
; %bb.133:                              ;   in Loop: Header=BB14_14 Depth=1
	v_cmp_eq_u32_e32 vcc, 0, v1
	s_orn2_b64 s[72:73], vcc, exec
; %bb.134:                              ;   in Loop: Header=BB14_14 Depth=1
	s_or_b64 exec, exec, s[74:75]
	s_and_b64 exec, exec, s[72:73]
	s_cbranch_execz .LBB14_162
; %bb.135:                              ;   in Loop: Header=BB14_14 Depth=1
	v_add_u32_e32 v2, s76, v87
	v_cmp_gt_i32_e32 vcc, s28, v2
	s_and_b64 s[44:45], vcc, s[8:9]
	v_mov_b32_e32 v1, 0x47
	s_and_saveexec_b64 s[72:73], s[44:45]
	s_cbranch_execz .LBB14_137
; %bb.136:                              ;   in Loop: Header=BB14_14 Depth=1
	ds_read2st64_b32 v[4:5], v89 offset1:13
	v_add_u32_e32 v1, 0, v88
	v_mad_u64_u32 v[2:3], s[44:45], v2, s29, v[38:39]
	v_add_u32_e32 v3, 0xc0, v1
	ds_read2st64_b32 v[6:7], v3 offset0:13 offset1:26
	ds_read2st64_b32 v[8:9], v89 offset0:26 offset1:39
	ds_read2_b32 v[10:11], v1 offset0:48 offset1:49
	ds_read_b32 v12, v1 offset:10176
	s_waitcnt lgkmcnt(4)
	v_cvt_f32_f16_sdwa v47, v4 dst_sel:DWORD dst_unused:UNUSED_PAD src0_sel:WORD_1
	v_cvt_f32_f16_e32 v46, v4
	v_cvt_f32_f16_sdwa v51, v5 dst_sel:DWORD dst_unused:UNUSED_PAD src0_sel:WORD_1
	v_cvt_f32_f16_e32 v50, v5
	s_waitcnt lgkmcnt(2)
	v_cvt_f32_f16_sdwa v5, v8 dst_sel:DWORD dst_unused:UNUSED_PAD src0_sel:WORD_1
	v_cvt_f32_f16_e32 v4, v8
	v_cvt_f32_f16_sdwa v53, v9 dst_sel:DWORD dst_unused:UNUSED_PAD src0_sel:WORD_1
	v_cvt_f32_f16_e32 v52, v9
	s_waitcnt lgkmcnt(1)
	v_pk_fma_f32 v[46:47], v[10:11], v[46:47], 0 op_sel_hi:[0,1,0]
	v_pk_fma_f32 v[8:9], v[6:7], v[50:51], v[46:47] op_sel_hi:[0,1,1]
	v_mov_b32_e32 v6, v7
	v_pk_fma_f32 v[4:5], v[6:7], v[4:5], v[8:9] op_sel_hi:[0,1,1]
	s_waitcnt lgkmcnt(0)
	v_pk_fma_f32 v[4:5], v[12:13], v[52:53], v[4:5] op_sel_hi:[0,1,1]
	v_div_scale_f32 v6, s[44:45], v11, v11, v5
	v_mad_u64_u32 v[2:3], s[44:45], v2, 48, v[24:25]
	v_rcp_f32_e32 v7, v6
	v_ashrrev_i32_e32 v3, 31, v2
	v_lshlrev_b64 v[2:3], 3, v[2:3]
	v_mov_b32_e32 v1, s6
	v_add_co_u32_e32 v2, vcc, s7, v2
	v_addc_co_u32_e32 v3, vcc, v1, v3, vcc
	v_fma_f32 v1, -v6, v7, 1.0
	v_fmac_f32_e32 v7, v1, v7
	v_div_scale_f32 v1, vcc, v5, v11, v5
	v_mul_f32_e32 v8, v1, v7
	v_fma_f32 v9, -v6, v8, v1
	v_fmac_f32_e32 v8, v9, v7
	v_fma_f32 v1, -v6, v8, v1
	v_div_scale_f32 v6, s[44:45], v11, v11, v4
	v_rcp_f32_e32 v9, v6
	v_div_fmas_f32 v1, v1, v7, v8
	v_div_fixup_f32 v5, v1, v11, v5
	v_fma_f32 v1, -v6, v9, 1.0
	v_fmac_f32_e32 v9, v1, v9
	v_div_scale_f32 v1, vcc, v4, v11, v4
	v_mul_f32_e32 v7, v1, v9
	v_fma_f32 v8, -v6, v7, v1
	v_fmac_f32_e32 v7, v8, v9
	v_fma_f32 v1, -v6, v7, v1
	v_div_fmas_f32 v1, v1, v9, v7
	v_div_fixup_f32 v4, v1, v11, v4
	v_mov_b32_e32 v1, 0
	global_store_dwordx2 v[2:3], v[4:5], off
.LBB14_137:                             ;   in Loop: Header=BB14_14 Depth=1
	s_or_b64 exec, exec, s[72:73]
	v_cmp_gt_i32_e32 vcc, s62, v1
	s_mov_b64 s[72:73], -1
	s_and_saveexec_b64 s[74:75], vcc
; %bb.138:                              ;   in Loop: Header=BB14_14 Depth=1
	v_cmp_eq_u32_e32 vcc, 0, v1
	s_orn2_b64 s[72:73], vcc, exec
; %bb.139:                              ;   in Loop: Header=BB14_14 Depth=1
	s_or_b64 exec, exec, s[74:75]
	s_and_b64 exec, exec, s[72:73]
	s_cbranch_execz .LBB14_162
; %bb.140:                              ;   in Loop: Header=BB14_14 Depth=1
	v_add_u32_e32 v2, s76, v90
	v_cmp_gt_i32_e32 vcc, s28, v2
	s_and_b64 s[44:45], vcc, s[8:9]
	v_mov_b32_e32 v1, 0x47
	s_and_saveexec_b64 s[72:73], s[44:45]
	s_cbranch_execz .LBB14_142
; %bb.141:                              ;   in Loop: Header=BB14_14 Depth=1
	ds_read2st64_b32 v[4:5], v92 offset1:13
	v_add_u32_e32 v1, 0, v91
	v_mad_u64_u32 v[2:3], s[44:45], v2, s29, v[38:39]
	v_add_u32_e32 v3, 0xc0, v1
	ds_read2st64_b32 v[6:7], v3 offset0:13 offset1:26
	ds_read2st64_b32 v[8:9], v92 offset0:26 offset1:39
	ds_read2_b32 v[10:11], v1 offset0:48 offset1:49
	ds_read_b32 v12, v1 offset:10176
	s_waitcnt lgkmcnt(4)
	v_cvt_f32_f16_sdwa v47, v4 dst_sel:DWORD dst_unused:UNUSED_PAD src0_sel:WORD_1
	v_cvt_f32_f16_e32 v46, v4
	v_cvt_f32_f16_sdwa v51, v5 dst_sel:DWORD dst_unused:UNUSED_PAD src0_sel:WORD_1
	v_cvt_f32_f16_e32 v50, v5
	s_waitcnt lgkmcnt(2)
	v_cvt_f32_f16_sdwa v5, v8 dst_sel:DWORD dst_unused:UNUSED_PAD src0_sel:WORD_1
	v_cvt_f32_f16_e32 v4, v8
	v_cvt_f32_f16_sdwa v53, v9 dst_sel:DWORD dst_unused:UNUSED_PAD src0_sel:WORD_1
	v_cvt_f32_f16_e32 v52, v9
	s_waitcnt lgkmcnt(1)
	v_pk_fma_f32 v[46:47], v[10:11], v[46:47], 0 op_sel_hi:[0,1,0]
	v_pk_fma_f32 v[8:9], v[6:7], v[50:51], v[46:47] op_sel_hi:[0,1,1]
	v_mov_b32_e32 v6, v7
	v_pk_fma_f32 v[4:5], v[6:7], v[4:5], v[8:9] op_sel_hi:[0,1,1]
	s_waitcnt lgkmcnt(0)
	v_pk_fma_f32 v[4:5], v[12:13], v[52:53], v[4:5] op_sel_hi:[0,1,1]
	v_div_scale_f32 v6, s[44:45], v11, v11, v5
	v_mad_u64_u32 v[2:3], s[44:45], v2, 48, v[24:25]
	v_rcp_f32_e32 v7, v6
	v_ashrrev_i32_e32 v3, 31, v2
	v_lshlrev_b64 v[2:3], 3, v[2:3]
	v_mov_b32_e32 v1, s6
	v_add_co_u32_e32 v2, vcc, s7, v2
	v_addc_co_u32_e32 v3, vcc, v1, v3, vcc
	v_fma_f32 v1, -v6, v7, 1.0
	v_fmac_f32_e32 v7, v1, v7
	v_div_scale_f32 v1, vcc, v5, v11, v5
	v_mul_f32_e32 v8, v1, v7
	v_fma_f32 v9, -v6, v8, v1
	v_fmac_f32_e32 v8, v9, v7
	v_fma_f32 v1, -v6, v8, v1
	v_div_scale_f32 v6, s[44:45], v11, v11, v4
	v_rcp_f32_e32 v9, v6
	v_div_fmas_f32 v1, v1, v7, v8
	v_div_fixup_f32 v5, v1, v11, v5
	v_fma_f32 v1, -v6, v9, 1.0
	v_fmac_f32_e32 v9, v1, v9
	v_div_scale_f32 v1, vcc, v4, v11, v4
	v_mul_f32_e32 v7, v1, v9
	v_fma_f32 v8, -v6, v7, v1
	v_fmac_f32_e32 v7, v8, v9
	v_fma_f32 v1, -v6, v7, v1
	v_div_fmas_f32 v1, v1, v9, v7
	v_div_fixup_f32 v4, v1, v11, v4
	v_mov_b32_e32 v1, 0
	global_store_dwordx2 v[2:3], v[4:5], off
.LBB14_142:                             ;   in Loop: Header=BB14_14 Depth=1
	s_or_b64 exec, exec, s[72:73]
	v_cmp_gt_i32_e32 vcc, s62, v1
	s_mov_b64 s[72:73], -1
	s_and_saveexec_b64 s[74:75], vcc
; %bb.143:                              ;   in Loop: Header=BB14_14 Depth=1
	v_cmp_eq_u32_e32 vcc, 0, v1
	s_orn2_b64 s[72:73], vcc, exec
; %bb.144:                              ;   in Loop: Header=BB14_14 Depth=1
	s_or_b64 exec, exec, s[74:75]
	s_and_b64 exec, exec, s[72:73]
	s_cbranch_execz .LBB14_162
; %bb.145:                              ;   in Loop: Header=BB14_14 Depth=1
	v_add_u32_e32 v2, s76, v93
	v_cmp_gt_i32_e32 vcc, s28, v2
	s_and_b64 s[44:45], vcc, s[8:9]
	v_mov_b32_e32 v1, 0x47
	s_and_saveexec_b64 s[72:73], s[44:45]
	s_cbranch_execz .LBB14_147
; %bb.146:                              ;   in Loop: Header=BB14_14 Depth=1
	ds_read2st64_b32 v[4:5], v95 offset1:13
	v_add_u32_e32 v1, 0, v94
	v_mad_u64_u32 v[2:3], s[44:45], v2, s29, v[38:39]
	v_add_u32_e32 v3, 0xc0, v1
	ds_read2st64_b32 v[6:7], v3 offset0:13 offset1:26
	ds_read2st64_b32 v[8:9], v95 offset0:26 offset1:39
	ds_read2_b32 v[10:11], v1 offset0:48 offset1:49
	ds_read_b32 v12, v1 offset:10176
	s_waitcnt lgkmcnt(4)
	v_cvt_f32_f16_sdwa v47, v4 dst_sel:DWORD dst_unused:UNUSED_PAD src0_sel:WORD_1
	v_cvt_f32_f16_e32 v46, v4
	v_cvt_f32_f16_sdwa v51, v5 dst_sel:DWORD dst_unused:UNUSED_PAD src0_sel:WORD_1
	v_cvt_f32_f16_e32 v50, v5
	s_waitcnt lgkmcnt(2)
	v_cvt_f32_f16_sdwa v5, v8 dst_sel:DWORD dst_unused:UNUSED_PAD src0_sel:WORD_1
	v_cvt_f32_f16_e32 v4, v8
	v_cvt_f32_f16_sdwa v53, v9 dst_sel:DWORD dst_unused:UNUSED_PAD src0_sel:WORD_1
	v_cvt_f32_f16_e32 v52, v9
	s_waitcnt lgkmcnt(1)
	v_pk_fma_f32 v[46:47], v[10:11], v[46:47], 0 op_sel_hi:[0,1,0]
	v_pk_fma_f32 v[8:9], v[6:7], v[50:51], v[46:47] op_sel_hi:[0,1,1]
	v_mov_b32_e32 v6, v7
	v_pk_fma_f32 v[4:5], v[6:7], v[4:5], v[8:9] op_sel_hi:[0,1,1]
	s_waitcnt lgkmcnt(0)
	v_pk_fma_f32 v[4:5], v[12:13], v[52:53], v[4:5] op_sel_hi:[0,1,1]
	v_div_scale_f32 v6, s[44:45], v11, v11, v5
	v_mad_u64_u32 v[2:3], s[44:45], v2, 48, v[24:25]
	v_rcp_f32_e32 v7, v6
	v_ashrrev_i32_e32 v3, 31, v2
	v_lshlrev_b64 v[2:3], 3, v[2:3]
	v_mov_b32_e32 v1, s6
	v_add_co_u32_e32 v2, vcc, s7, v2
	v_addc_co_u32_e32 v3, vcc, v1, v3, vcc
	v_fma_f32 v1, -v6, v7, 1.0
	v_fmac_f32_e32 v7, v1, v7
	v_div_scale_f32 v1, vcc, v5, v11, v5
	v_mul_f32_e32 v8, v1, v7
	v_fma_f32 v9, -v6, v8, v1
	v_fmac_f32_e32 v8, v9, v7
	v_fma_f32 v1, -v6, v8, v1
	v_div_scale_f32 v6, s[44:45], v11, v11, v4
	v_rcp_f32_e32 v9, v6
	v_div_fmas_f32 v1, v1, v7, v8
	v_div_fixup_f32 v5, v1, v11, v5
	v_fma_f32 v1, -v6, v9, 1.0
	v_fmac_f32_e32 v9, v1, v9
	v_div_scale_f32 v1, vcc, v4, v11, v4
	v_mul_f32_e32 v7, v1, v9
	v_fma_f32 v8, -v6, v7, v1
	v_fmac_f32_e32 v7, v8, v9
	v_fma_f32 v1, -v6, v7, v1
	v_div_fmas_f32 v1, v1, v9, v7
	v_div_fixup_f32 v4, v1, v11, v4
	v_mov_b32_e32 v1, 0
	global_store_dwordx2 v[2:3], v[4:5], off
.LBB14_147:                             ;   in Loop: Header=BB14_14 Depth=1
	s_or_b64 exec, exec, s[72:73]
	v_cmp_gt_i32_e32 vcc, s62, v1
	s_mov_b64 s[72:73], -1
	s_and_saveexec_b64 s[74:75], vcc
; %bb.148:                              ;   in Loop: Header=BB14_14 Depth=1
	v_cmp_eq_u32_e32 vcc, 0, v1
	s_orn2_b64 s[72:73], vcc, exec
; %bb.149:                              ;   in Loop: Header=BB14_14 Depth=1
	s_or_b64 exec, exec, s[74:75]
	s_and_b64 exec, exec, s[72:73]
	s_cbranch_execz .LBB14_162
; %bb.150:                              ;   in Loop: Header=BB14_14 Depth=1
	v_add_u32_e32 v2, s76, v96
	v_cmp_gt_i32_e32 vcc, s28, v2
	s_and_b64 s[44:45], vcc, s[8:9]
	v_mov_b32_e32 v1, 0x47
	s_and_saveexec_b64 s[72:73], s[44:45]
	s_cbranch_execz .LBB14_152
; %bb.151:                              ;   in Loop: Header=BB14_14 Depth=1
	ds_read2st64_b32 v[4:5], v98 offset1:13
	v_add_u32_e32 v1, 0, v97
	v_mad_u64_u32 v[2:3], s[44:45], v2, s29, v[38:39]
	v_add_u32_e32 v3, 0xc0, v1
	ds_read2st64_b32 v[6:7], v3 offset0:13 offset1:26
	ds_read2st64_b32 v[8:9], v98 offset0:26 offset1:39
	ds_read2_b32 v[10:11], v1 offset0:48 offset1:49
	ds_read_b32 v12, v1 offset:10176
	s_waitcnt lgkmcnt(4)
	v_cvt_f32_f16_sdwa v47, v4 dst_sel:DWORD dst_unused:UNUSED_PAD src0_sel:WORD_1
	v_cvt_f32_f16_e32 v46, v4
	v_cvt_f32_f16_sdwa v51, v5 dst_sel:DWORD dst_unused:UNUSED_PAD src0_sel:WORD_1
	v_cvt_f32_f16_e32 v50, v5
	s_waitcnt lgkmcnt(2)
	v_cvt_f32_f16_sdwa v5, v8 dst_sel:DWORD dst_unused:UNUSED_PAD src0_sel:WORD_1
	v_cvt_f32_f16_e32 v4, v8
	v_cvt_f32_f16_sdwa v53, v9 dst_sel:DWORD dst_unused:UNUSED_PAD src0_sel:WORD_1
	v_cvt_f32_f16_e32 v52, v9
	s_waitcnt lgkmcnt(1)
	v_pk_fma_f32 v[46:47], v[10:11], v[46:47], 0 op_sel_hi:[0,1,0]
	v_pk_fma_f32 v[8:9], v[6:7], v[50:51], v[46:47] op_sel_hi:[0,1,1]
	v_mov_b32_e32 v6, v7
	v_pk_fma_f32 v[4:5], v[6:7], v[4:5], v[8:9] op_sel_hi:[0,1,1]
	s_waitcnt lgkmcnt(0)
	v_pk_fma_f32 v[4:5], v[12:13], v[52:53], v[4:5] op_sel_hi:[0,1,1]
	v_div_scale_f32 v6, s[44:45], v11, v11, v5
	v_mad_u64_u32 v[2:3], s[44:45], v2, 48, v[24:25]
	v_rcp_f32_e32 v7, v6
	v_ashrrev_i32_e32 v3, 31, v2
	v_lshlrev_b64 v[2:3], 3, v[2:3]
	v_mov_b32_e32 v1, s6
	v_add_co_u32_e32 v2, vcc, s7, v2
	v_addc_co_u32_e32 v3, vcc, v1, v3, vcc
	v_fma_f32 v1, -v6, v7, 1.0
	v_fmac_f32_e32 v7, v1, v7
	v_div_scale_f32 v1, vcc, v5, v11, v5
	v_mul_f32_e32 v8, v1, v7
	v_fma_f32 v9, -v6, v8, v1
	v_fmac_f32_e32 v8, v9, v7
	v_fma_f32 v1, -v6, v8, v1
	v_div_scale_f32 v6, s[44:45], v11, v11, v4
	v_rcp_f32_e32 v9, v6
	v_div_fmas_f32 v1, v1, v7, v8
	v_div_fixup_f32 v5, v1, v11, v5
	v_fma_f32 v1, -v6, v9, 1.0
	v_fmac_f32_e32 v9, v1, v9
	v_div_scale_f32 v1, vcc, v4, v11, v4
	v_mul_f32_e32 v7, v1, v9
	v_fma_f32 v8, -v6, v7, v1
	v_fmac_f32_e32 v7, v8, v9
	v_fma_f32 v1, -v6, v7, v1
	v_div_fmas_f32 v1, v1, v9, v7
	v_div_fixup_f32 v4, v1, v11, v4
	v_mov_b32_e32 v1, 0
	global_store_dwordx2 v[2:3], v[4:5], off
.LBB14_152:                             ;   in Loop: Header=BB14_14 Depth=1
	s_or_b64 exec, exec, s[72:73]
	v_cmp_gt_i32_e32 vcc, s62, v1
	s_mov_b64 s[72:73], -1
	s_and_saveexec_b64 s[74:75], vcc
; %bb.153:                              ;   in Loop: Header=BB14_14 Depth=1
	v_cmp_eq_u32_e32 vcc, 0, v1
	s_orn2_b64 s[72:73], vcc, exec
; %bb.154:                              ;   in Loop: Header=BB14_14 Depth=1
	s_or_b64 exec, exec, s[74:75]
	s_and_b64 exec, exec, s[72:73]
	s_cbranch_execz .LBB14_162
; %bb.155:                              ;   in Loop: Header=BB14_14 Depth=1
	v_add_u32_e32 v2, s76, v99
	v_cmp_gt_i32_e32 vcc, s28, v2
	s_and_b64 s[44:45], vcc, s[8:9]
	v_mov_b32_e32 v1, 0x47
	s_and_saveexec_b64 s[72:73], s[44:45]
	s_cbranch_execz .LBB14_157
; %bb.156:                              ;   in Loop: Header=BB14_14 Depth=1
	ds_read2st64_b32 v[4:5], v101 offset1:13
	v_add_u32_e32 v1, 0, v100
	v_mad_u64_u32 v[2:3], s[44:45], v2, s29, v[38:39]
	v_add_u32_e32 v3, 0xc0, v1
	ds_read2st64_b32 v[6:7], v3 offset0:13 offset1:26
	ds_read2st64_b32 v[8:9], v101 offset0:26 offset1:39
	ds_read2_b32 v[10:11], v1 offset0:48 offset1:49
	ds_read_b32 v12, v1 offset:10176
	s_waitcnt lgkmcnt(4)
	v_cvt_f32_f16_sdwa v47, v4 dst_sel:DWORD dst_unused:UNUSED_PAD src0_sel:WORD_1
	v_cvt_f32_f16_e32 v46, v4
	v_cvt_f32_f16_sdwa v51, v5 dst_sel:DWORD dst_unused:UNUSED_PAD src0_sel:WORD_1
	v_cvt_f32_f16_e32 v50, v5
	s_waitcnt lgkmcnt(2)
	v_cvt_f32_f16_sdwa v5, v8 dst_sel:DWORD dst_unused:UNUSED_PAD src0_sel:WORD_1
	v_cvt_f32_f16_e32 v4, v8
	v_cvt_f32_f16_sdwa v53, v9 dst_sel:DWORD dst_unused:UNUSED_PAD src0_sel:WORD_1
	v_cvt_f32_f16_e32 v52, v9
	s_waitcnt lgkmcnt(1)
	v_pk_fma_f32 v[46:47], v[10:11], v[46:47], 0 op_sel_hi:[0,1,0]
	v_pk_fma_f32 v[8:9], v[6:7], v[50:51], v[46:47] op_sel_hi:[0,1,1]
	v_mov_b32_e32 v6, v7
	v_pk_fma_f32 v[4:5], v[6:7], v[4:5], v[8:9] op_sel_hi:[0,1,1]
	s_waitcnt lgkmcnt(0)
	v_pk_fma_f32 v[4:5], v[12:13], v[52:53], v[4:5] op_sel_hi:[0,1,1]
	v_div_scale_f32 v6, s[44:45], v11, v11, v5
	v_mad_u64_u32 v[2:3], s[44:45], v2, 48, v[24:25]
	v_rcp_f32_e32 v7, v6
	v_ashrrev_i32_e32 v3, 31, v2
	v_lshlrev_b64 v[2:3], 3, v[2:3]
	v_mov_b32_e32 v1, s6
	v_add_co_u32_e32 v2, vcc, s7, v2
	v_addc_co_u32_e32 v3, vcc, v1, v3, vcc
	v_fma_f32 v1, -v6, v7, 1.0
	v_fmac_f32_e32 v7, v1, v7
	v_div_scale_f32 v1, vcc, v5, v11, v5
	v_mul_f32_e32 v8, v1, v7
	v_fma_f32 v9, -v6, v8, v1
	v_fmac_f32_e32 v8, v9, v7
	v_fma_f32 v1, -v6, v8, v1
	v_div_scale_f32 v6, s[44:45], v11, v11, v4
	v_rcp_f32_e32 v9, v6
	v_div_fmas_f32 v1, v1, v7, v8
	v_div_fixup_f32 v5, v1, v11, v5
	v_fma_f32 v1, -v6, v9, 1.0
	v_fmac_f32_e32 v9, v1, v9
	v_div_scale_f32 v1, vcc, v4, v11, v4
	v_mul_f32_e32 v7, v1, v9
	v_fma_f32 v8, -v6, v7, v1
	v_fmac_f32_e32 v7, v8, v9
	v_fma_f32 v1, -v6, v7, v1
	v_div_fmas_f32 v1, v1, v9, v7
	v_div_fixup_f32 v4, v1, v11, v4
	v_mov_b32_e32 v1, 0
	global_store_dwordx2 v[2:3], v[4:5], off
.LBB14_157:                             ;   in Loop: Header=BB14_14 Depth=1
	s_or_b64 exec, exec, s[72:73]
	v_cmp_gt_i32_e32 vcc, s62, v1
	s_mov_b64 s[72:73], -1
	s_and_saveexec_b64 s[74:75], vcc
; %bb.158:                              ;   in Loop: Header=BB14_14 Depth=1
	v_cmp_eq_u32_e32 vcc, 0, v1
	s_orn2_b64 s[72:73], vcc, exec
; %bb.159:                              ;   in Loop: Header=BB14_14 Depth=1
	s_or_b64 exec, exec, s[74:75]
	s_and_b64 exec, exec, s[72:73]
	s_cbranch_execz .LBB14_162
; %bb.160:                              ;   in Loop: Header=BB14_14 Depth=1
	v_add_u32_e32 v1, s76, v102
	v_cmp_gt_i32_e32 vcc, s28, v1
	s_and_b64 s[8:9], vcc, s[8:9]
	s_and_b64 exec, exec, s[8:9]
	s_cbranch_execz .LBB14_162
; %bb.161:                              ;   in Loop: Header=BB14_14 Depth=1
	ds_read2st64_b32 v[4:5], v104 offset1:13
	v_add_u32_e32 v12, 0, v103
	v_mad_u64_u32 v[2:3], s[8:9], v1, s29, v[38:39]
	v_add_u32_e32 v1, 0xc0, v12
	ds_read2st64_b32 v[6:7], v1 offset0:13 offset1:26
	ds_read2st64_b32 v[8:9], v104 offset0:26 offset1:39
	ds_read2_b32 v[10:11], v12 offset0:48 offset1:49
	ds_read_b32 v12, v12 offset:10176
	s_waitcnt lgkmcnt(4)
	v_cvt_f32_f16_sdwa v47, v4 dst_sel:DWORD dst_unused:UNUSED_PAD src0_sel:WORD_1
	v_cvt_f32_f16_e32 v46, v4
	v_cvt_f32_f16_sdwa v51, v5 dst_sel:DWORD dst_unused:UNUSED_PAD src0_sel:WORD_1
	v_cvt_f32_f16_e32 v50, v5
	s_waitcnt lgkmcnt(2)
	v_cvt_f32_f16_sdwa v5, v8 dst_sel:DWORD dst_unused:UNUSED_PAD src0_sel:WORD_1
	v_cvt_f32_f16_e32 v4, v8
	v_cvt_f32_f16_sdwa v53, v9 dst_sel:DWORD dst_unused:UNUSED_PAD src0_sel:WORD_1
	v_cvt_f32_f16_e32 v52, v9
	s_waitcnt lgkmcnt(1)
	v_pk_fma_f32 v[46:47], v[10:11], v[46:47], 0 op_sel_hi:[0,1,0]
	v_pk_fma_f32 v[8:9], v[6:7], v[50:51], v[46:47] op_sel_hi:[0,1,1]
	v_mov_b32_e32 v6, v7
	v_pk_fma_f32 v[4:5], v[6:7], v[4:5], v[8:9] op_sel_hi:[0,1,1]
	s_waitcnt lgkmcnt(0)
	v_pk_fma_f32 v[4:5], v[12:13], v[52:53], v[4:5] op_sel_hi:[0,1,1]
	v_div_scale_f32 v6, s[8:9], v11, v11, v5
	v_mad_u64_u32 v[2:3], s[8:9], v2, 48, v[24:25]
	v_rcp_f32_e32 v7, v6
	v_ashrrev_i32_e32 v3, 31, v2
	v_lshlrev_b64 v[2:3], 3, v[2:3]
	v_mov_b32_e32 v1, s6
	v_add_co_u32_e32 v2, vcc, s7, v2
	v_addc_co_u32_e32 v3, vcc, v1, v3, vcc
	v_fma_f32 v1, -v6, v7, 1.0
	v_fmac_f32_e32 v7, v1, v7
	v_div_scale_f32 v1, vcc, v5, v11, v5
	v_mul_f32_e32 v8, v1, v7
	v_fma_f32 v9, -v6, v8, v1
	v_fmac_f32_e32 v8, v9, v7
	v_fma_f32 v1, -v6, v8, v1
	v_div_scale_f32 v6, s[8:9], v11, v11, v4
	v_rcp_f32_e32 v9, v6
	v_div_fmas_f32 v1, v1, v7, v8
	v_div_fixup_f32 v5, v1, v11, v5
	v_fma_f32 v1, -v6, v9, 1.0
	v_fmac_f32_e32 v9, v1, v9
	v_div_scale_f32 v1, vcc, v4, v11, v4
	v_mul_f32_e32 v7, v1, v9
	v_fma_f32 v8, -v6, v7, v1
	v_fmac_f32_e32 v7, v8, v9
	v_fma_f32 v1, -v6, v7, v1
	v_div_fmas_f32 v1, v1, v9, v7
	v_div_fixup_f32 v4, v1, v11, v4
	global_store_dwordx2 v[2:3], v[4:5], off
.LBB14_162:                             ;   in Loop: Header=BB14_14 Depth=1
	s_or_b64 exec, exec, s[70:71]
	v_add_u32_e32 v2, s76, v105
	v_or_b32_e32 v1, s88, v40
	v_cmp_gt_i32_e32 vcc, s28, v2
	v_cmp_gt_i32_e64 s[8:9], s33, v1
	s_and_b64 s[44:45], vcc, s[8:9]
	v_mov_b32_e32 v1, 0x47
	s_and_saveexec_b64 s[70:71], s[44:45]
	s_cbranch_execz .LBB14_164
; %bb.163:                              ;   in Loop: Header=BB14_14 Depth=1
	v_mad_u64_u32 v[2:3], s[44:45], v2, s29, v[40:41]
	v_add_u32_e32 v6, 0x80, v107
	v_mul_lo_u32 v11, v2, 48
	ds_read2st64_b32 v[2:3], v6 offset1:13
	v_add_u32_e32 v1, 0, v106
	v_add_u32_e32 v4, 0xc0, v1
	ds_read2st64_b32 v[4:5], v4 offset0:13 offset1:26
	ds_read2st64_b32 v[6:7], v6 offset0:26 offset1:39
	ds_read2_b32 v[8:9], v1 offset0:48 offset1:49
	ds_read_b32 v10, v1 offset:10176
	v_ashrrev_i32_e32 v1, 31, v11
	s_waitcnt lgkmcnt(4)
	v_cvt_f32_f16_sdwa v47, v2 dst_sel:DWORD dst_unused:UNUSED_PAD src0_sel:WORD_1
	v_cvt_f32_f16_e32 v46, v2
	v_cvt_f32_f16_sdwa v51, v3 dst_sel:DWORD dst_unused:UNUSED_PAD src0_sel:WORD_1
	v_cvt_f32_f16_e32 v50, v3
	s_waitcnt lgkmcnt(2)
	v_cvt_f32_f16_sdwa v3, v6 dst_sel:DWORD dst_unused:UNUSED_PAD src0_sel:WORD_1
	v_cvt_f32_f16_e32 v2, v6
	v_cvt_f32_f16_sdwa v53, v7 dst_sel:DWORD dst_unused:UNUSED_PAD src0_sel:WORD_1
	v_cvt_f32_f16_e32 v52, v7
	s_waitcnt lgkmcnt(1)
	v_pk_fma_f32 v[46:47], v[8:9], v[46:47], 0 op_sel_hi:[0,1,0]
	v_pk_fma_f32 v[6:7], v[4:5], v[50:51], v[46:47] op_sel_hi:[0,1,1]
	v_mov_b32_e32 v4, v5
	v_pk_fma_f32 v[2:3], v[4:5], v[2:3], v[6:7] op_sel_hi:[0,1,1]
	s_waitcnt lgkmcnt(0)
	v_pk_fma_f32 v[2:3], v[10:11], v[52:53], v[2:3] op_sel_hi:[0,1,1]
	v_div_scale_f32 v6, s[44:45], v9, v9, v3
	v_rcp_f32_e32 v7, v6
	v_or_b32_e32 v13, 0, v1
	v_or_b32_e32 v12, v11, v14
	v_lshlrev_b64 v[12:13], 3, v[12:13]
	v_mov_b32_e32 v1, s6
	v_add_co_u32_e32 v4, vcc, s7, v12
	v_addc_co_u32_e32 v5, vcc, v1, v13, vcc
	v_fma_f32 v1, -v6, v7, 1.0
	v_fmac_f32_e32 v7, v1, v7
	v_div_scale_f32 v1, vcc, v3, v9, v3
	v_mul_f32_e32 v8, v1, v7
	v_fma_f32 v10, -v6, v8, v1
	v_fmac_f32_e32 v8, v10, v7
	v_fma_f32 v1, -v6, v8, v1
	v_div_scale_f32 v6, s[44:45], v9, v9, v2
	v_rcp_f32_e32 v10, v6
	v_div_fmas_f32 v1, v1, v7, v8
	v_div_fixup_f32 v3, v1, v9, v3
	v_fma_f32 v1, -v6, v10, 1.0
	v_fmac_f32_e32 v10, v1, v10
	v_div_scale_f32 v1, vcc, v2, v9, v2
	v_mul_f32_e32 v7, v1, v10
	v_fma_f32 v8, -v6, v7, v1
	v_fmac_f32_e32 v7, v8, v10
	v_fma_f32 v1, -v6, v7, v1
	v_div_fmas_f32 v1, v1, v10, v7
	v_div_fixup_f32 v2, v1, v9, v2
	v_mov_b32_e32 v1, 0
	global_store_dwordx2 v[4:5], v[2:3], off offset:256
.LBB14_164:                             ;   in Loop: Header=BB14_14 Depth=1
	s_or_b64 exec, exec, s[70:71]
	v_cmp_gt_i32_e32 vcc, s62, v1
	s_mov_b64 s[70:71], -1
	s_and_saveexec_b64 s[72:73], vcc
; %bb.165:                              ;   in Loop: Header=BB14_14 Depth=1
	v_cmp_eq_u32_e32 vcc, 0, v1
	s_orn2_b64 s[70:71], vcc, exec
; %bb.166:                              ;   in Loop: Header=BB14_14 Depth=1
	s_or_b64 exec, exec, s[72:73]
	s_and_b64 exec, exec, s[70:71]
	s_cbranch_execz .LBB14_12
; %bb.167:                              ;   in Loop: Header=BB14_14 Depth=1
	v_add_u32_e32 v2, s76, v108
	v_cmp_gt_i32_e32 vcc, s28, v2
	s_and_b64 s[44:45], vcc, s[8:9]
	v_mov_b32_e32 v1, 0x47
	s_and_saveexec_b64 s[70:71], s[44:45]
	s_cbranch_execz .LBB14_169
; %bb.168:                              ;   in Loop: Header=BB14_14 Depth=1
	v_mad_u64_u32 v[2:3], s[44:45], v2, s29, v[40:41]
	v_add_u32_e32 v6, 0x80, v110
	v_mul_lo_u32 v11, v2, 48
	ds_read2st64_b32 v[2:3], v6 offset1:13
	v_add_u32_e32 v1, 0, v109
	v_add_u32_e32 v4, 0xc0, v1
	ds_read2st64_b32 v[4:5], v4 offset0:13 offset1:26
	ds_read2st64_b32 v[6:7], v6 offset0:26 offset1:39
	ds_read2_b32 v[8:9], v1 offset0:48 offset1:49
	ds_read_b32 v10, v1 offset:10176
	v_ashrrev_i32_e32 v1, 31, v11
	s_waitcnt lgkmcnt(4)
	v_cvt_f32_f16_sdwa v47, v2 dst_sel:DWORD dst_unused:UNUSED_PAD src0_sel:WORD_1
	v_cvt_f32_f16_e32 v46, v2
	v_cvt_f32_f16_sdwa v51, v3 dst_sel:DWORD dst_unused:UNUSED_PAD src0_sel:WORD_1
	v_cvt_f32_f16_e32 v50, v3
	s_waitcnt lgkmcnt(2)
	v_cvt_f32_f16_sdwa v3, v6 dst_sel:DWORD dst_unused:UNUSED_PAD src0_sel:WORD_1
	v_cvt_f32_f16_e32 v2, v6
	v_cvt_f32_f16_sdwa v53, v7 dst_sel:DWORD dst_unused:UNUSED_PAD src0_sel:WORD_1
	v_cvt_f32_f16_e32 v52, v7
	s_waitcnt lgkmcnt(1)
	v_pk_fma_f32 v[46:47], v[8:9], v[46:47], 0 op_sel_hi:[0,1,0]
	v_pk_fma_f32 v[6:7], v[4:5], v[50:51], v[46:47] op_sel_hi:[0,1,1]
	v_mov_b32_e32 v4, v5
	v_pk_fma_f32 v[2:3], v[4:5], v[2:3], v[6:7] op_sel_hi:[0,1,1]
	s_waitcnt lgkmcnt(0)
	v_pk_fma_f32 v[2:3], v[10:11], v[52:53], v[2:3] op_sel_hi:[0,1,1]
	v_div_scale_f32 v6, s[44:45], v9, v9, v3
	v_rcp_f32_e32 v7, v6
	v_or_b32_e32 v13, 0, v1
	v_or_b32_e32 v12, v11, v14
	v_lshlrev_b64 v[12:13], 3, v[12:13]
	v_mov_b32_e32 v1, s6
	v_add_co_u32_e32 v4, vcc, s7, v12
	v_addc_co_u32_e32 v5, vcc, v1, v13, vcc
	v_fma_f32 v1, -v6, v7, 1.0
	v_fmac_f32_e32 v7, v1, v7
	v_div_scale_f32 v1, vcc, v3, v9, v3
	v_mul_f32_e32 v8, v1, v7
	v_fma_f32 v10, -v6, v8, v1
	v_fmac_f32_e32 v8, v10, v7
	v_fma_f32 v1, -v6, v8, v1
	v_div_scale_f32 v6, s[44:45], v9, v9, v2
	v_rcp_f32_e32 v10, v6
	v_div_fmas_f32 v1, v1, v7, v8
	v_div_fixup_f32 v3, v1, v9, v3
	v_fma_f32 v1, -v6, v10, 1.0
	v_fmac_f32_e32 v10, v1, v10
	v_div_scale_f32 v1, vcc, v2, v9, v2
	v_mul_f32_e32 v7, v1, v10
	v_fma_f32 v8, -v6, v7, v1
	v_fmac_f32_e32 v7, v8, v10
	v_fma_f32 v1, -v6, v7, v1
	v_div_fmas_f32 v1, v1, v10, v7
	v_div_fixup_f32 v2, v1, v9, v2
	v_mov_b32_e32 v1, 0
	global_store_dwordx2 v[4:5], v[2:3], off offset:256
.LBB14_169:                             ;   in Loop: Header=BB14_14 Depth=1
	s_or_b64 exec, exec, s[70:71]
	v_cmp_gt_i32_e32 vcc, s62, v1
	s_mov_b64 s[70:71], -1
	s_and_saveexec_b64 s[72:73], vcc
; %bb.170:                              ;   in Loop: Header=BB14_14 Depth=1
	v_cmp_eq_u32_e32 vcc, 0, v1
	s_orn2_b64 s[70:71], vcc, exec
; %bb.171:                              ;   in Loop: Header=BB14_14 Depth=1
	s_or_b64 exec, exec, s[72:73]
	s_and_b64 exec, exec, s[70:71]
	s_cbranch_execz .LBB14_12
; %bb.172:                              ;   in Loop: Header=BB14_14 Depth=1
	v_add_u32_e32 v2, s76, v111
	v_cmp_gt_i32_e32 vcc, s28, v2
	s_and_b64 s[44:45], vcc, s[8:9]
	v_mov_b32_e32 v1, 0x47
	s_and_saveexec_b64 s[70:71], s[44:45]
	s_cbranch_execz .LBB14_174
; %bb.173:                              ;   in Loop: Header=BB14_14 Depth=1
	v_mad_u64_u32 v[2:3], s[44:45], v2, s29, v[40:41]
	v_add_u32_e32 v6, 0x80, v113
	v_mul_lo_u32 v11, v2, 48
	ds_read2st64_b32 v[2:3], v6 offset1:13
	v_add_u32_e32 v1, 0, v112
	v_add_u32_e32 v4, 0xc0, v1
	ds_read2st64_b32 v[4:5], v4 offset0:13 offset1:26
	ds_read2st64_b32 v[6:7], v6 offset0:26 offset1:39
	ds_read2_b32 v[8:9], v1 offset0:48 offset1:49
	ds_read_b32 v10, v1 offset:10176
	v_ashrrev_i32_e32 v1, 31, v11
	s_waitcnt lgkmcnt(4)
	v_cvt_f32_f16_sdwa v47, v2 dst_sel:DWORD dst_unused:UNUSED_PAD src0_sel:WORD_1
	v_cvt_f32_f16_e32 v46, v2
	v_cvt_f32_f16_sdwa v51, v3 dst_sel:DWORD dst_unused:UNUSED_PAD src0_sel:WORD_1
	v_cvt_f32_f16_e32 v50, v3
	s_waitcnt lgkmcnt(2)
	v_cvt_f32_f16_sdwa v3, v6 dst_sel:DWORD dst_unused:UNUSED_PAD src0_sel:WORD_1
	v_cvt_f32_f16_e32 v2, v6
	v_cvt_f32_f16_sdwa v53, v7 dst_sel:DWORD dst_unused:UNUSED_PAD src0_sel:WORD_1
	v_cvt_f32_f16_e32 v52, v7
	s_waitcnt lgkmcnt(1)
	v_pk_fma_f32 v[46:47], v[8:9], v[46:47], 0 op_sel_hi:[0,1,0]
	v_pk_fma_f32 v[6:7], v[4:5], v[50:51], v[46:47] op_sel_hi:[0,1,1]
	v_mov_b32_e32 v4, v5
	v_pk_fma_f32 v[2:3], v[4:5], v[2:3], v[6:7] op_sel_hi:[0,1,1]
	s_waitcnt lgkmcnt(0)
	v_pk_fma_f32 v[2:3], v[10:11], v[52:53], v[2:3] op_sel_hi:[0,1,1]
	v_div_scale_f32 v6, s[44:45], v9, v9, v3
	v_rcp_f32_e32 v7, v6
	v_or_b32_e32 v13, 0, v1
	v_or_b32_e32 v12, v11, v14
	v_lshlrev_b64 v[12:13], 3, v[12:13]
	v_mov_b32_e32 v1, s6
	v_add_co_u32_e32 v4, vcc, s7, v12
	v_addc_co_u32_e32 v5, vcc, v1, v13, vcc
	v_fma_f32 v1, -v6, v7, 1.0
	v_fmac_f32_e32 v7, v1, v7
	v_div_scale_f32 v1, vcc, v3, v9, v3
	v_mul_f32_e32 v8, v1, v7
	v_fma_f32 v10, -v6, v8, v1
	v_fmac_f32_e32 v8, v10, v7
	v_fma_f32 v1, -v6, v8, v1
	v_div_scale_f32 v6, s[44:45], v9, v9, v2
	v_rcp_f32_e32 v10, v6
	v_div_fmas_f32 v1, v1, v7, v8
	v_div_fixup_f32 v3, v1, v9, v3
	v_fma_f32 v1, -v6, v10, 1.0
	v_fmac_f32_e32 v10, v1, v10
	v_div_scale_f32 v1, vcc, v2, v9, v2
	v_mul_f32_e32 v7, v1, v10
	v_fma_f32 v8, -v6, v7, v1
	v_fmac_f32_e32 v7, v8, v10
	v_fma_f32 v1, -v6, v7, v1
	v_div_fmas_f32 v1, v1, v10, v7
	v_div_fixup_f32 v2, v1, v9, v2
	v_mov_b32_e32 v1, 0
	global_store_dwordx2 v[4:5], v[2:3], off offset:256
.LBB14_174:                             ;   in Loop: Header=BB14_14 Depth=1
	s_or_b64 exec, exec, s[70:71]
	v_cmp_gt_i32_e32 vcc, s62, v1
	s_mov_b64 s[70:71], -1
	s_and_saveexec_b64 s[72:73], vcc
; %bb.175:                              ;   in Loop: Header=BB14_14 Depth=1
	v_cmp_eq_u32_e32 vcc, 0, v1
	s_orn2_b64 s[70:71], vcc, exec
; %bb.176:                              ;   in Loop: Header=BB14_14 Depth=1
	s_or_b64 exec, exec, s[72:73]
	s_and_b64 exec, exec, s[70:71]
	s_cbranch_execz .LBB14_12
; %bb.177:                              ;   in Loop: Header=BB14_14 Depth=1
	v_add_u32_e32 v1, s76, v114
	v_cmp_gt_i32_e32 vcc, s28, v1
	s_and_b64 s[8:9], vcc, s[8:9]
	s_and_b64 exec, exec, s[8:9]
	s_cbranch_execz .LBB14_12
; %bb.178:                              ;   in Loop: Header=BB14_14 Depth=1
	v_mad_u64_u32 v[2:3], s[8:9], v1, s29, v[40:41]
	v_add_u32_e32 v6, 0x80, v116
	v_mul_lo_u32 v1, v2, 48
	ds_read2st64_b32 v[2:3], v6 offset1:13
	v_add_u32_e32 v10, 0, v115
	v_add_u32_e32 v4, 0xc0, v10
	ds_read2st64_b32 v[4:5], v4 offset0:13 offset1:26
	ds_read2st64_b32 v[6:7], v6 offset0:26 offset1:39
	ds_read2_b32 v[8:9], v10 offset0:48 offset1:49
	ds_read_b32 v10, v10 offset:10176
	v_ashrrev_i32_e32 v11, 31, v1
	s_waitcnt lgkmcnt(4)
	v_cvt_f32_f16_sdwa v47, v2 dst_sel:DWORD dst_unused:UNUSED_PAD src0_sel:WORD_1
	v_cvt_f32_f16_e32 v46, v2
	v_cvt_f32_f16_sdwa v51, v3 dst_sel:DWORD dst_unused:UNUSED_PAD src0_sel:WORD_1
	v_cvt_f32_f16_e32 v50, v3
	s_waitcnt lgkmcnt(2)
	v_cvt_f32_f16_sdwa v3, v6 dst_sel:DWORD dst_unused:UNUSED_PAD src0_sel:WORD_1
	v_cvt_f32_f16_e32 v2, v6
	v_cvt_f32_f16_sdwa v53, v7 dst_sel:DWORD dst_unused:UNUSED_PAD src0_sel:WORD_1
	v_cvt_f32_f16_e32 v52, v7
	s_waitcnt lgkmcnt(1)
	v_pk_fma_f32 v[46:47], v[8:9], v[46:47], 0 op_sel_hi:[0,1,0]
	v_pk_fma_f32 v[6:7], v[4:5], v[50:51], v[46:47] op_sel_hi:[0,1,1]
	v_mov_b32_e32 v4, v5
	v_pk_fma_f32 v[2:3], v[4:5], v[2:3], v[6:7] op_sel_hi:[0,1,1]
	s_waitcnt lgkmcnt(0)
	v_pk_fma_f32 v[2:3], v[10:11], v[52:53], v[2:3] op_sel_hi:[0,1,1]
	v_div_scale_f32 v6, s[8:9], v9, v9, v3
	v_rcp_f32_e32 v7, v6
	v_or_b32_e32 v13, 0, v11
	v_or_b32_e32 v12, v1, v14
	v_lshlrev_b64 v[12:13], 3, v[12:13]
	v_mov_b32_e32 v1, s6
	v_add_co_u32_e32 v4, vcc, s7, v12
	v_addc_co_u32_e32 v5, vcc, v1, v13, vcc
	v_fma_f32 v1, -v6, v7, 1.0
	v_fmac_f32_e32 v7, v1, v7
	v_div_scale_f32 v1, vcc, v3, v9, v3
	v_mul_f32_e32 v8, v1, v7
	v_fma_f32 v10, -v6, v8, v1
	v_fmac_f32_e32 v8, v10, v7
	v_fma_f32 v1, -v6, v8, v1
	v_div_scale_f32 v6, s[6:7], v9, v9, v2
	v_rcp_f32_e32 v10, v6
	v_div_fmas_f32 v1, v1, v7, v8
	v_div_fixup_f32 v3, v1, v9, v3
	v_fma_f32 v1, -v6, v10, 1.0
	v_fmac_f32_e32 v10, v1, v10
	v_div_scale_f32 v1, vcc, v2, v9, v2
	v_mul_f32_e32 v7, v1, v10
	v_fma_f32 v8, -v6, v7, v1
	v_fmac_f32_e32 v7, v8, v10
	v_fma_f32 v1, -v6, v7, v1
	v_div_fmas_f32 v1, v1, v10, v7
	v_div_fixup_f32 v2, v1, v9, v2
	global_store_dwordx2 v[4:5], v[2:3], off offset:256
	s_branch .LBB14_12
.LBB14_179:
	v_readlane_b32 s44, v177, 14
	v_readlane_b32 s35, v177, 9
	;; [unrolled: 1-line block ×5, first 2 shown]
	s_andn2_b64 vcc, exec, s[8:9]
	s_cbranch_vccnz .LBB14_10
.LBB14_180:
	v_readlane_b32 s6, v177, 3
	s_abs_i32 s0, s6
	v_cvt_f32_u32_e32 v1, s0
	s_sub_i32 s3, 0, s0
	s_abs_i32 s2, s50
	s_xor_b32 s1, s50, s6
	v_rcp_iflag_f32_e32 v1, v1
	s_ashr_i32 s1, s1, 31
	v_readlane_b32 s8, v177, 2
	v_readlane_b32 s9, v177, 1
	v_mul_f32_e32 v1, 0x4f7ffffe, v1
	v_cvt_u32_f32_e32 v1, v1
	v_mov_b32_e32 v12, s78
	v_readfirstlane_b32 s4, v1
	s_mul_i32 s3, s3, s4
	s_mul_hi_u32 s3, s4, s3
	s_add_i32 s4, s4, s3
	s_mul_hi_u32 s3, s2, s4
	s_mul_i32 s4, s3, s0
	s_sub_i32 s2, s2, s4
	s_add_i32 s5, s3, 1
	s_sub_i32 s4, s2, s0
	s_cmp_ge_u32 s2, s0
	s_cselect_b32 s3, s5, s3
	s_cselect_b32 s2, s4, s2
	s_add_i32 s4, s3, 1
	s_cmp_ge_u32 s2, s0
	s_cselect_b32 s0, s4, s3
	s_abs_i32 s2, s8
	v_cvt_f32_u32_e32 v1, s2
	s_xor_b32 s0, s0, s1
	s_sub_i32 s4, s0, s1
	s_sub_i32 s3, 0, s2
	v_rcp_iflag_f32_e32 v1, v1
	s_mul_i32 s0, s4, s6
	s_sub_i32 s0, s50, s0
	s_abs_i32 s5, s0
	v_mul_f32_e32 v1, 0x4f7ffffe, v1
	v_cvt_u32_f32_e32 v1, v1
	s_xor_b32 s1, s0, s8
	s_ashr_i32 s1, s1, 31
	v_readfirstlane_b32 s6, v1
	s_mul_i32 s3, s3, s6
	s_mul_hi_u32 s3, s6, s3
	s_add_i32 s6, s6, s3
	s_mul_hi_u32 s3, s5, s6
	s_mul_i32 s6, s3, s2
	s_sub_i32 s5, s5, s6
	s_add_i32 s7, s3, 1
	s_sub_i32 s6, s5, s2
	s_cmp_ge_u32 s5, s2
	s_cselect_b32 s3, s7, s3
	s_cselect_b32 s5, s6, s5
	s_add_i32 s6, s3, 1
	s_cmp_ge_u32 s5, s2
	s_cselect_b32 s2, s6, s3
	s_abs_i32 s3, s9
	v_cvt_f32_u32_e32 v1, s3
	s_xor_b32 s2, s2, s1
	s_sub_i32 s6, 0, s3
	s_sub_i32 s5, s2, s1
	v_rcp_iflag_f32_e32 v1, v1
	s_mul_i32 s1, s5, s8
	s_sub_i32 s1, s0, s1
	s_abs_i32 s2, s1
	v_mul_f32_e32 v1, 0x4f7ffffe, v1
	v_cvt_u32_f32_e32 v1, v1
	s_xor_b32 s0, s1, s9
	s_ashr_i32 s0, s0, 31
	v_readfirstlane_b32 s7, v1
	s_mul_i32 s6, s6, s7
	s_mul_hi_u32 s6, s7, s6
	s_add_i32 s7, s7, s6
	s_mul_hi_u32 s6, s2, s7
	s_mul_i32 s7, s6, s3
	s_sub_i32 s2, s2, s7
	s_add_i32 s8, s6, 1
	s_sub_i32 s7, s2, s3
	s_cmp_ge_u32 s2, s3
	s_cselect_b32 s6, s8, s6
	s_cselect_b32 s2, s7, s2
	s_add_i32 s7, s6, 1
	s_cmp_ge_u32 s2, s3
	s_cselect_b32 s2, s7, s6
	s_xor_b32 s2, s2, s0
	s_sub_i32 s0, s2, s0
	s_mul_i32 s2, s0, s9
	s_sub_i32 s1, s1, s2
	s_ashr_i32 s2, s1, 31
	v_readlane_b32 s3, v177, 8
	s_abs_i32 s1, s1
	s_xor_b32 s2, s2, s3
	s_mul_hi_u32 s3, s1, s48
	s_mul_i32 s6, s3, s83
	s_sub_i32 s1, s1, s6
	s_add_i32 s6, s3, 1
	s_sub_i32 s7, s1, s83
	s_cmp_ge_u32 s1, s83
	s_cselect_b32 s3, s6, s3
	s_cselect_b32 s1, s7, s1
	s_add_i32 s6, s3, 1
	s_cmp_ge_u32 s1, s83
	s_cselect_b32 s1, s6, s3
	s_abs_i32 s6, s52
	v_cvt_f32_u32_e32 v1, s6
	s_xor_b32 s1, s1, s2
	s_sub_i32 s1, s1, s2
	s_cmp_eq_u64 s[22:23], 0
	v_rcp_iflag_f32_e32 v1, v1
	v_mul_f32_e32 v1, 0x4f7ffffe, v1
	v_cvt_u32_f32_e32 v1, v1
	v_readfirstlane_b32 s20, v1
	s_cbranch_scc1 .LBB14_182
; %bb.181:
	v_readlane_b32 s2, v177, 0
	s_mul_i32 s2, s4, s2
	s_add_i32 s2, s1, s2
	s_ashr_i32 s3, s2, 31
	s_lshl_b64 s[2:3], s[2:3], 2
	s_add_u32 s2, s22, s2
	s_addc_u32 s3, s23, s3
	v_mov_b32_e32 v1, 0
	global_load_dword v1, v1, s[2:3]
	s_waitcnt vmcnt(0)
	v_ashrrev_i32_e32 v2, 31, v1
	v_lshrrev_b32_e32 v2, 26, v2
	v_add_u32_e32 v1, v1, v2
	v_ashrrev_i32_e32 v1, 6, v1
	v_min_i32_e32 v12, s78, v1
.LBB14_182:
	v_readlane_b32 s8, v177, 4
	s_mul_i32 s2, s5, s33
	s_lshl_b32 s11, s0, 1
	v_readlane_b32 s9, v177, 5
	s_add_i32 s0, s11, s2
	s_mul_i32 s2, s4, s9
	s_sub_i32 s21, 0, s6
	s_ashr_i32 s3, s2, 31
	s_add_u32 s2, s12, s2
	s_mul_i32 s0, s0, s8
	v_and_b32_e32 v38, 0x3ff, v0
	s_addc_u32 s3, s13, s3
	s_ashr_i32 s8, s0, 31
	v_bfe_u32 v0, v38, 5, 1
	s_add_u32 s7, s2, s0
	v_lshrrev_b32_e32 v27, 5, v38
	v_and_b32_e32 v26, 31, v38
	v_or_b32_e32 v1, s11, v0
	s_addc_u32 s9, s3, s8
	v_cmp_gt_i32_e32 vcc, s33, v1
	v_mad_u64_u32 v[0:1], s[2:3], s45, v0, v[26:27]
	v_add_u16_e32 v1, v27, v43
	s_lshl_b32 s8, s1, 3
	v_lshrrev_b16_e32 v1, 1, v1
	v_add_u32_e32 v1, s8, v1
	s_xor_b64 s[0:1], vcc, -1
	v_cmp_le_i32_e32 vcc, s28, v1
	v_add_u32_e32 v36, v27, v43
	s_or_b64 s[2:3], vcc, s[0:1]
	s_and_saveexec_b64 s[12:13], s[2:3]
	s_xor_b64 s[2:3], exec, s[12:13]
	s_cbranch_execz .LBB14_184
; %bb.183:
	v_mad_u32_u24 v1, v36, 52, v26
	v_lshl_add_u32 v1, v1, 2, 0
	v_mov_b32_e32 v2, 0
	ds_write_b32 v1, v2
                                        ; implicit-def: $vgpr1
.LBB14_184:
	s_or_saveexec_b64 s[2:3], s[2:3]
	s_mul_i32 s21, s21, s20
	s_xor_b64 exec, exec, s[2:3]
	s_cbranch_execz .LBB14_186
; %bb.185:
	v_mad_u64_u32 v[2:3], s[12:13], v1, s51, v[0:1]
	v_ashrrev_i32_e32 v3, 31, v2
	v_lshlrev_b64 v[2:3], 3, v[2:3]
	v_mov_b32_e32 v1, s9
	v_add_co_u32_e32 v2, vcc, s7, v2
	v_addc_co_u32_e32 v3, vcc, v1, v3, vcc
	global_load_dwordx2 v[2:3], v[2:3], off
	s_waitcnt vmcnt(0)
	v_cvt_f16_f32_e32 v1, v2
	v_cvt_f16_f32_e32 v2, v3
	v_mad_u32_u24 v3, v36, 52, v26
	v_pack_b32_f16 v1, v1, v2
	v_pk_mul_f16 v1, v35, v1
	v_lshl_add_u32 v2, v3, 2, 0
	ds_write_b32 v2, v1
.LBB14_186:
	s_or_b64 exec, exec, s[2:3]
	v_add_u32_e32 v1, 8, v36
	v_lshrrev_b32_e32 v2, 1, v1
	v_add_u32_e32 v2, s8, v2
	v_cmp_le_i32_e32 vcc, s28, v2
	s_mul_hi_u32 s3, s20, s21
	s_or_b64 s[0:1], vcc, s[0:1]
	s_and_saveexec_b64 s[12:13], s[0:1]
	s_xor_b64 s[0:1], exec, s[12:13]
	s_cbranch_execz .LBB14_188
; %bb.187:
	v_mad_u32_u24 v0, v1, 52, v26
	v_lshl_add_u32 v0, v0, 2, 0
	v_mov_b32_e32 v1, 0
	ds_write_b32 v0, v1
                                        ; implicit-def: $vgpr0_vgpr1
                                        ; implicit-def: $vgpr2
                                        ; implicit-def: $vgpr1
.LBB14_188:
	s_or_saveexec_b64 s[0:1], s[0:1]
	s_abs_i32 s2, s4
	s_add_i32 s20, s20, s3
	s_xor_b64 exec, exec, s[0:1]
	s_cbranch_execz .LBB14_190
; %bb.189:
	v_mad_u64_u32 v[2:3], s[12:13], v2, s51, v[0:1]
	v_ashrrev_i32_e32 v3, 31, v2
	v_lshlrev_b64 v[2:3], 3, v[2:3]
	v_mov_b32_e32 v0, s9
	v_add_co_u32_e32 v2, vcc, s7, v2
	v_addc_co_u32_e32 v3, vcc, v0, v3, vcc
	global_load_dwordx2 v[2:3], v[2:3], off
	v_mad_u32_u24 v1, v1, 52, v26
	v_lshl_add_u32 v1, v1, 2, 0
	s_waitcnt vmcnt(0)
	v_cvt_f16_f32_e32 v0, v2
	v_cvt_f16_f32_e32 v2, v3
	v_pack_b32_f16 v0, v0, v2
	v_pk_mul_f16 v0, v35, v0
	ds_write_b32 v1, v0
.LBB14_190:
	s_or_b64 exec, exec, s[0:1]
	v_lshrrev_b32_e32 v25, 4, v38
	v_add_u32_e32 v0, v39, v25
	v_lshrrev_b32_e32 v2, 1, v0
	v_and_b32_e32 v1, 1, v25
	v_add_u32_e32 v2, s8, v2
	v_or_b32_e32 v3, s11, v1
	v_cmp_le_i32_e32 vcc, s28, v2
	v_cmp_le_i32_e64 s[0:1], s33, v3
	s_mul_hi_u32 s3, s2, s20
	s_or_b64 s[0:1], vcc, s[0:1]
                                        ; implicit-def: $vgpr24
	s_and_saveexec_b64 s[12:13], s[0:1]
	s_xor_b64 s[0:1], exec, s[12:13]
	s_cbranch_execz .LBB14_192
; %bb.191:
	v_and_b32_e32 v24, 15, v38
	v_mad_u32_u24 v0, v0, 52, v24
	v_lshl_add_u32 v0, v0, 2, 0
	v_mov_b32_e32 v1, 0
	ds_write_b32 v0, v1 offset:128
                                        ; implicit-def: $vgpr2
                                        ; implicit-def: $vgpr1
                                        ; implicit-def: $vgpr35
                                        ; implicit-def: $vgpr0
.LBB14_192:
	s_or_saveexec_b64 s[0:1], s[0:1]
	s_ashr_i32 s11, s4, 31
	s_xor_b64 exec, exec, s[0:1]
	s_cbranch_execz .LBB14_194
; %bb.193:
	v_and_b32_e32 v24, 15, v38
	v_mul_lo_u32 v4, v2, s51
	v_mad_u64_u32 v[2:3], s[12:13], s45, v1, v[24:25]
	v_add3_u32 v2, v2, v4, 32
	v_ashrrev_i32_e32 v3, 31, v2
	v_lshlrev_b64 v[2:3], 3, v[2:3]
	v_mov_b32_e32 v1, s9
	v_add_co_u32_e32 v2, vcc, s7, v2
	v_addc_co_u32_e32 v3, vcc, v1, v3, vcc
	global_load_dwordx2 v[2:3], v[2:3], off
	v_mad_u32_u24 v0, v0, 52, v24
	v_lshl_add_u32 v0, v0, 2, 0
	s_waitcnt vmcnt(0)
	v_cvt_f16_f32_e32 v1, v2
	v_cvt_f16_f32_e32 v2, v3
	v_pack_b32_f16 v1, v1, v2
	v_pk_mul_f16 v1, v35, v1
	ds_write_b32 v0, v1 offset:128
.LBB14_194:
	s_or_b64 exec, exec, s[0:1]
	s_mul_i32 s0, s4, s37
	s_mul_hi_u32 s1, s4, s36
	s_add_i32 s0, s1, s0
	s_mul_i32 s1, s11, s36
	v_readlane_b32 s12, v177, 6
	s_add_i32 s0, s0, s1
	s_mul_i32 s1, s4, s36
	v_readlane_b32 s13, v177, 7
	s_add_u32 s1, s14, s1
	s_mul_i32 s7, s5, s13
	s_addc_u32 s0, s15, s0
	s_ashr_i32 s9, s7, 31
	s_add_u32 s20, s1, s7
	s_mul_i32 s3, s3, s6
	s_addc_u32 s21, s0, s9
	s_sub_i32 s0, s2, s3
	s_sub_i32 s1, s0, s6
	s_cmp_ge_u32 s0, s6
	s_cselect_b32 s0, s1, s0
	s_sub_i32 s1, s0, s6
	s_cmp_ge_u32 s0, s6
	s_cselect_b32 s0, s1, s0
	s_xor_b32 s0, s0, s11
	s_sub_i32 s0, s0, s11
	s_ashr_i32 s1, s0, 31
	s_mul_i32 s2, s0, s47
	s_mul_hi_u32 s3, s0, s46
	s_add_i32 s2, s3, s2
	s_mul_i32 s1, s1, s46
	s_add_i32 s2, s2, s1
	s_mul_i32 s0, s0, s46
	s_add_u32 s18, s18, s0
	s_mul_i32 s0, s4, s43
	s_mul_hi_u32 s1, s4, s42
	s_addc_u32 s19, s19, s2
	s_add_i32 s0, s1, s0
	s_mul_i32 s11, s11, s42
	s_add_i32 s0, s0, s11
	s_mul_i32 s4, s4, s42
	s_add_u32 s1, s16, s4
	s_mul_i32 s5, s5, s39
	s_addc_u32 s0, s17, s0
	s_ashr_i32 s2, s5, 31
	s_add_u32 s6, s1, s5
	v_lshrrev_b32_e32 v80, 3, v38
	s_addc_u32 s7, s0, s2
	v_and_b32_e32 v83, 0xff0, v39
	s_movk_i32 s0, 0xd0
	v_and_b32_e32 v40, 0x7e, v80
	v_mad_u32_u24 v0, v83, s0, 0
	v_mul_u32_u24_e32 v48, 0xd0, v24
	v_lshlrev_b32_e32 v49, 2, v40
	v_add3_u32 v0, v0, v48, v49
	s_waitcnt lgkmcnt(0)
	s_barrier
	ds_read2_b64 v[8:11], v0 offset1:4
	ds_read2_b64 v[4:7], v0 offset0:8 offset1:12
	ds_read2_b64 v[0:3], v0 offset0:16 offset1:20
	v_add_u32_e32 v74, -1, v12
	v_add_u32_e32 v12, s8, v36
	v_mul_hi_u32 v13, s40, v12
	v_add_u32_e32 v13, v12, v13
	v_lshrrev_b32_e32 v13, s41, v13
	v_cmp_lt_i32_e32 vcc, s72, v74
	v_mul_lo_u32 v13, v13, s28
	v_sub_u32_e32 v77, v12, v13
	s_waitcnt lgkmcnt(0)
	s_barrier
	s_cbranch_vccnz .LBB14_197
; %bb.195:
	v_lshlrev_b32_e32 v15, 2, v38
	v_lshlrev_b32_e32 v42, 4, v37
	v_lshrrev_b32_e32 v43, 2, v38
	v_and_or_b32 v20, v15, 12, 32
	v_lshl_add_u32 v16, v37, 3, v80
	v_and_b32_e32 v28, 28, v15
	v_mov_b32_e32 v15, 0x1a00
	v_mad_u32_u24 v63, v16, s0, v15
	v_and_b32_e32 v15, 48, v42
	v_and_b32_e32 v45, 0xfc, v43
	v_mul_u32_u24_e32 v67, 0xd0, v15
	v_add_u16_e32 v15, v15, v45
	v_lshrrev_b16_e32 v54, 1, v15
	v_mbcnt_lo_u32_b32 v15, -1, 0
	v_add_u32_e32 v14, v42, v43
	v_mul_u32_u24_e32 v62, 0xd0, v16
	v_mul_lo_u32 v32, s34, v16
	v_and_or_b32 v17, v38, 14, v83
	v_mbcnt_hi_u32_b32 v69, -1, v15
	v_mul_lo_u32 v16, s30, v16
	v_lshlrev_b32_e32 v12, 1, v38
	v_mov_b32_e32 v13, 0
	v_mul_u32_u24_e32 v61, 0xd0, v14
	v_mul_lo_u32 v30, s34, v14
	v_lshl_add_u32 v34, s34, 5, v32
	v_lshrrev_b32_e32 v17, 1, v17
	v_and_b32_e32 v15, 64, v69
	v_mul_lo_u32 v14, s30, v14
	v_lshl_add_u32 v18, s30, 5, v16
	v_mul_u32_u24_e32 v46, 0x68, v45
	v_or_b32_e32 v43, 3, v43
	v_and_b32_e32 v12, 62, v12
	s_mov_b32 s2, 0
	v_mad_i64_i32 v[22:23], s[4:5], v77, s10, 0
	s_ashr_i32 s15, s34, 31
	v_ashrrev_i32_e32 v31, 31, v30
	v_mov_b32_e32 v21, v13
	v_mov_b32_e32 v29, v13
	v_ashrrev_i32_e32 v33, 31, v32
	v_ashrrev_i32_e32 v35, 31, v34
	v_mul_u32_u24_e32 v68, 0x90, v17
	v_or_b32_e32 v56, 1, v54
	v_add_u32_e32 v70, 64, v15
	v_xor_b32_e32 v71, 32, v69
	v_xor_b32_e32 v72, 16, v69
	s_ashr_i32 s13, s30, 31
	v_ashrrev_i32_e32 v15, 31, v14
	v_ashrrev_i32_e32 v17, 31, v16
	;; [unrolled: 1-line block ×3, first 2 shown]
	v_or_b32_e32 v44, v46, v24
	v_mul_u32_u24_e32 v45, 0xd0, v45
	v_add3_u32 v46, v46, v24, s0
	v_mul_u32_u24_e32 v47, 0xd0, v43
	s_mov_b64 s[0:1], 0
	s_mov_b32 s3, 0xfeffffff
	s_branch .LBB14_198
.LBB14_196:
                                        ; implicit-def: $sgpr54_sgpr55
	s_load_dwordx2 s[40:41], s[4:5], 0x5c
	s_branch .LBB14_7
.LBB14_197:
	s_mov_b64 s[0:1], -1
                                        ; implicit-def: $sgpr2
                                        ; implicit-def: $sgpr3
                                        ; implicit-def: $vgpr12
                                        ; implicit-def: $vgpr22_vgpr23
                                        ; implicit-def: $vgpr42
                                        ; implicit-def: $vgpr61
                                        ; implicit-def: $vgpr30_vgpr31
                                        ; implicit-def: $vgpr20
                                        ; implicit-def: $vgpr62
                                        ; implicit-def: $vgpr28
                                        ; implicit-def: $vgpr32_vgpr33
                                        ; implicit-def: $vgpr63
                                        ; implicit-def: $vgpr34_vgpr35
                                        ; implicit-def: $vgpr67
                                        ; implicit-def: $vgpr68
                                        ; implicit-def: $vgpr54
                                        ; implicit-def: $vgpr56
                                        ; implicit-def: $vgpr69
                                        ; implicit-def: $vgpr70
                                        ; implicit-def: $vgpr71
                                        ; implicit-def: $vgpr72
                                        ; implicit-def: $vgpr14_vgpr15
                                        ; implicit-def: $vgpr16_vgpr17
                                        ; implicit-def: $vgpr18_vgpr19
                                        ; implicit-def: $vgpr44
                                        ; implicit-def: $vgpr45
                                        ; implicit-def: $vgpr46
                                        ; implicit-def: $vgpr47
                                        ; implicit-def: $sgpr14_sgpr15
                                        ; implicit-def: $sgpr12_sgpr13
.LBB14_198:
	v_mul_u32_u24_e32 v73, 0x90, v36
	s_andn2_b64 vcc, exec, s[0:1]
	v_mov_b32_e32 v50, s2
	v_mov_b32_e32 v75, s2
	v_mov_b32_e32 v36, s3
	v_lshlrev_b32_e32 v43, 1, v24
	v_mov_b32_e32 v51, s2
	v_mov_b32_e32 v52, s2
	;; [unrolled: 1-line block ×11, first 2 shown]
	s_cbranch_vccnz .LBB14_201
; %bb.199:
	v_mad_i64_i32 v[22:23], s[0:1], v77, s10, 0
	v_lshlrev_b32_e32 v12, 1, v38
	v_lshlrev_b64 v[14:15], 1, v[22:23]
	v_and_b32_e32 v12, 62, v12
	v_mov_b32_e32 v17, s19
	v_add_co_u32_e32 v14, vcc, s18, v14
	v_lshlrev_b32_e32 v16, 1, v12
	v_addc_co_u32_e32 v15, vcc, v17, v15, vcc
	v_add3_u32 v76, 0, v73, v16
	v_add_co_u32_e32 v77, vcc, v14, v16
	v_lshlrev_b32_e32 v42, 4, v37
	v_lshrrev_b32_e32 v36, 2, v38
	v_lshlrev_b32_e32 v16, 2, v38
	v_add_u32_e32 v14, v42, v36
	s_movk_i32 s0, 0xd0
	v_and_b32_e32 v50, 12, v16
	v_addc_co_u32_e32 v78, vcc, 0, v15, vcc
	v_mad_u32_u24 v15, v14, s0, 0
	v_lshlrev_b32_e32 v17, 2, v50
	s_movk_i32 s1, 0x80
	v_add3_u32 v79, v15, v17, s1
	v_lshl_add_u32 v17, v37, 3, v80
	v_and_b32_e32 v28, 28, v16
	v_mul_u32_u24_e32 v62, 0xd0, v17
	v_lshlrev_b32_e32 v15, 2, v28
	v_add3_u32 v80, 0, v62, v15
	v_mov_b32_e32 v15, 0x1a00
	v_mad_u32_u24 v63, v17, s0, v15
	v_and_b32_e32 v15, 48, v42
	v_and_b32_e32 v45, 0xfc, v36
	v_mul_u32_u24_e32 v67, 0xd0, v15
	v_mad_u32_u24 v51, v15, s0, 0
	v_and_or_b32 v16, v38, 14, v83
	v_add_u16_e32 v15, v15, v45
	v_lshrrev_b32_e32 v16, 1, v16
	v_lshrrev_b16_e32 v54, 1, v15
	v_mul_u32_u24_e32 v68, 0x90, v16
	v_lshlrev_b32_e32 v15, 2, v54
	v_add3_u32 v52, 0, v68, v15
	v_mbcnt_lo_u32_b32 v15, -1, 0
	v_mbcnt_hi_u32_b32 v69, -1, v15
	v_and_b32_e32 v15, 64, v69
	v_add_u32_e32 v70, 64, v15
	v_xor_b32_e32 v71, 32, v69
	v_cmp_lt_i32_e32 vcc, v71, v70
	v_xor_b32_e32 v72, 16, v69
	v_mul_lo_u32 v32, s34, v17
	v_cndmask_b32_e32 v15, v69, v71, vcc
	v_cmp_lt_i32_e32 vcc, v72, v70
	v_mul_lo_u32 v16, s30, v17
	v_mul_u32_u24_e32 v46, 0x68, v45
	v_mul_u32_u24_e32 v45, 0xd0, v45
	v_or_b32_e32 v36, 3, v36
	v_mov_b32_e32 v13, 0
	v_mul_u32_u24_e32 v61, 0xd0, v14
	v_mul_lo_u32 v30, s34, v14
	v_lshl_add_u32 v34, s34, 5, v32
	v_lshlrev_b32_e32 v83, 2, v15
	v_cndmask_b32_e32 v15, v69, v72, vcc
	v_mul_lo_u32 v14, s30, v14
	v_lshl_add_u32 v18, s30, 5, v16
	v_or_b32_e32 v44, v46, v24
	v_mul_u32_u24_e32 v47, 0xd0, v36
	v_add3_u32 v86, v51, v45, v43
	s_ashr_i32 s15, s34, 31
	v_ashrrev_i32_e32 v31, 31, v30
	v_or_b32_e32 v20, 32, v50
	v_mov_b32_e32 v21, v13
	v_mov_b32_e32 v29, v13
	v_ashrrev_i32_e32 v33, 31, v32
	v_add_u32_e32 v81, 0x1a00, v80
	v_ashrrev_i32_e32 v35, 31, v34
	v_add3_u32 v82, v51, v48, v49
	v_or_b32_e32 v56, 1, v54
	v_lshlrev_b32_e32 v84, 2, v15
	s_ashr_i32 s13, s30, 31
	v_ashrrev_i32_e32 v15, 31, v14
	v_ashrrev_i32_e32 v17, 31, v16
	;; [unrolled: 1-line block ×3, first 2 shown]
	v_add3_u32 v46, v46, v24, s0
	v_lshl_add_u32 v85, v44, 1, v51
	v_add3_u32 v87, v51, v47, v43
	v_add_u32_e32 v88, 32, v86
	v_add_u32_e32 v89, 64, v86
	v_add_u32_e32 v90, 0x60, v86
	v_add_u32_e32 v91, 0x80, v86
	v_add_u32_e32 v92, 0xa0, v86
	s_lshl_b32 s16, s72, 6
	v_mov_b32_e32 v36, 0xfeffffff
	v_lshlrev_b32_e32 v93, 2, v50
	v_lshlrev_b32_e32 v94, 2, v28
	v_add_u32_e32 v95, 0x3400, v52
	s_mov_b32 s12, 0x3fb8aa3b
	s_mov_b32 s14, 0xc2ce8ed0
	;; [unrolled: 1-line block ×5, first 2 shown]
	v_mov_b32_e32 v96, 0x7f800000
	v_mov_b32_e32 v75, v13
	;; [unrolled: 1-line block ×14, first 2 shown]
.LBB14_200:                             ; =>This Inner Loop Header: Depth=1
	s_ashr_i32 s17, s16, 31
	s_mul_hi_i32 s1, s16, s34
	s_mul_i32 s0, s16, s34
	s_lshl_b64 s[4:5], s[16:17], 1
	s_lshl_b64 s[0:1], s[0:1], 2
	v_mov_b32_e32 v126, v36
	v_mov_b32_e32 v36, s5
	s_add_u32 s8, s20, s0
	v_add_co_u32_e32 v104, vcc, s4, v77
	v_lshlrev_b64 v[98:99], 2, v[30:31]
	v_lshlrev_b64 v[100:101], 2, v[32:33]
	s_mul_hi_i32 s3, s16, s30
	s_mul_i32 s2, s16, s30
	v_addc_co_u32_e32 v105, vcc, v78, v36, vcc
	s_addc_u32 s0, s21, s1
	v_mov_b32_e32 v97, v75
	v_lshlrev_b64 v[102:103], 2, v[34:35]
	s_lshl_b64 s[4:5], s[2:3], 2
	global_load_dword v36, v[104:105], off
	v_mov_b32_e32 v75, s0
	v_mov_b32_e32 v104, s0
	v_add_co_u32_e32 v100, vcc, s8, v100
	v_add_co_u32_e64 v98, s[2:3], s8, v98
	v_mov_b32_e32 v105, s0
	v_add_co_u32_e64 v102, s[0:1], s8, v102
	v_addc_co_u32_e64 v75, s[2:3], v75, v99, s[2:3]
	v_addc_co_u32_e32 v99, vcc, v104, v101, vcc
	v_add_co_u32_e32 v116, vcc, v100, v94
	v_addc_co_u32_e64 v100, s[0:1], v105, v103, s[0:1]
	v_add_co_u32_e64 v120, s[2:3], v98, v93
	v_add_co_u32_e64 v118, s[0:1], v102, v94
	v_addc_co_u32_e64 v121, s[2:3], 0, v75, s[2:3]
	v_addc_co_u32_e32 v117, vcc, 0, v99, vcc
	v_addc_co_u32_e64 v119, vcc, 0, v100, s[0:1]
	global_load_dwordx4 v[98:101], v[120:121], off offset:128
	global_load_dwordx4 v[102:105], v[116:117], off
	global_load_dwordx4 v[106:109], v[118:119], off
	s_add_u32 s4, s6, s4
	v_lshlrev_b64 v[110:111], 2, v[14:15]
	v_lshlrev_b64 v[112:113], 2, v[16:17]
	;; [unrolled: 1-line block ×3, first 2 shown]
	s_addc_u32 s5, s7, s5
	s_add_i32 s72, s72, 1
	v_mov_b32_e32 v75, s5
	v_add_co_u32_e32 v110, vcc, s4, v110
	v_mov_b32_e32 v122, s5
	v_add_co_u32_e64 v112, s[0:1], s4, v112
	v_mov_b32_e32 v123, s5
	v_add_co_u32_e64 v114, s[2:3], s4, v114
	v_cmp_lt_i32_e64 s[4:5], s72, v74
	v_addc_co_u32_e32 v75, vcc, v75, v111, vcc
	v_addc_co_u32_e64 v111, vcc, v122, v113, s[0:1]
	v_add_co_u32_e64 v118, s[0:1], v112, v94
	v_addc_co_u32_e64 v119, s[0:1], 0, v111, s[0:1]
	s_add_i32 s16, s16, 64
	s_waitcnt vmcnt(3)
	ds_write_b32 v76, v36 offset:13312
	s_waitcnt vmcnt(2)
	ds_write_b128 v79, v[98:101]
	s_waitcnt vmcnt(1)
	ds_write_b128 v80, v[102:105]
	;; [unrolled: 2-line block ×3, first 2 shown]
	s_waitcnt lgkmcnt(0)
	s_barrier
	ds_read2_b64 v[98:101], v82 offset1:4
	s_waitcnt lgkmcnt(0)
	v_mfma_f32_16x16x16f16 v[102:105], v[98:99], v[8:9], 0
	v_addc_co_u32_e64 v36, vcc, v123, v115, s[2:3]
	s_and_b64 vcc, exec, s[4:5]
	v_add_co_u32_e64 v122, s[4:5], v110, v93
	v_add_co_u32_e64 v120, s[2:3], v114, v94
	v_mfma_f32_16x16x16f16 v[98:101], v[100:101], v[10:11], v[102:105]
	v_addc_co_u32_e64 v123, s[4:5], 0, v75, s[4:5]
	v_addc_co_u32_e64 v121, s[0:1], 0, v36, s[2:3]
	s_nop 4
	ds_read2_b64 v[102:105], v82 offset0:8 offset1:12
	s_waitcnt lgkmcnt(0)
	v_mfma_f32_16x16x16f16 v[98:101], v[102:103], v[4:5], v[98:101]
	v_mfma_f32_16x16x16f16 v[98:101], v[104:105], v[6:7], v[98:101]
	ds_read2_b64 v[102:105], v82 offset0:16 offset1:20
	s_waitcnt lgkmcnt(0)
	s_barrier
	ds_read2_b32 v[124:125], v95 offset1:1
	global_load_dwordx4 v[106:109], v[122:123], off offset:128
	global_load_dwordx4 v[110:113], v[118:119], off
	global_load_dwordx4 v[114:117], v[120:121], off
	s_waitcnt vmcnt(2)
	ds_write_b128 v79, v[106:109]
	s_waitcnt vmcnt(1)
	ds_write_b128 v80, v[110:113]
	;; [unrolled: 2-line block ×3, first 2 shown]
	v_mfma_f32_16x16x16f16 v[98:101], v[102:103], v[0:1], v[98:101]
	s_waitcnt lgkmcnt(3)
	v_cvt_f32_f16_e32 v102, v124
	v_cvt_f32_f16_sdwa v103, v124 dst_sel:DWORD dst_unused:UNUSED_PAD src0_sel:WORD_1
	v_cvt_f32_f16_e32 v118, v125
	v_cvt_f32_f16_sdwa v119, v125 dst_sel:DWORD dst_unused:UNUSED_PAD src0_sel:WORD_1
	s_waitcnt lgkmcnt(0)
	s_barrier
	v_mfma_f32_16x16x16f16 v[98:101], v[104:105], v[2:3], v[98:101]
	s_nop 7
	s_nop 2
	v_pk_add_f32 v[98:99], v[98:99], v[102:103]
	v_pk_add_f32 v[100:101], v[100:101], v[118:119]
	v_add_f32_e32 v36, 0x40051340, v98
	v_add_f32_e32 v75, 0x40051340, v99
	;; [unrolled: 1-line block ×4, first 2 shown]
	v_max3_f32 v36, v126, v36, v75
	v_max3_f32 v36, v36, v102, v103
	ds_bpermute_b32 v75, v83, v36
	s_waitcnt lgkmcnt(0)
	v_max_f32_e32 v75, v75, v75
	v_max_f32_e32 v36, v36, v75
	ds_bpermute_b32 v75, v84, v36
	s_waitcnt lgkmcnt(0)
	v_max_f32_e32 v75, v75, v75
	v_max_f32_e32 v36, v36, v75
	v_pk_add_f32 v[98:99], v[98:99], v[36:37] op_sel_hi:[1,0] neg_lo:[0,1] neg_hi:[0,1]
	v_pk_add_f32 v[100:101], v[100:101], v[36:37] op_sel_hi:[1,0] neg_lo:[0,1] neg_hi:[0,1]
	v_sub_f32_e32 v75, v126, v36
	v_mul_f32_e32 v102, 0x3fb8aa3b, v99
	v_mul_f32_e32 v103, 0x3fb8aa3b, v98
	;; [unrolled: 1-line block ×5, first 2 shown]
	v_fma_f32 v119, v99, s12, -v102
	v_rndne_f32_e32 v120, v102
	v_fma_f32 v121, v98, s12, -v103
	v_rndne_f32_e32 v122, v103
	;; [unrolled: 2-line block ×5, first 2 shown]
	v_fmac_f32_e32 v119, 0x32a5705f, v99
	v_sub_f32_e32 v102, v102, v120
	v_fmac_f32_e32 v121, 0x32a5705f, v98
	v_sub_f32_e32 v103, v103, v122
	;; [unrolled: 2-line block ×5, first 2 shown]
	v_add_f32_e32 v102, v102, v119
	v_add_f32_e32 v103, v103, v121
	;; [unrolled: 1-line block ×5, first 2 shown]
	v_cvt_i32_f32_e32 v120, v120
	v_cvt_i32_f32_e32 v122, v122
	;; [unrolled: 1-line block ×5, first 2 shown]
	v_exp_f32_e32 v102, v102
	v_exp_f32_e32 v103, v103
	;; [unrolled: 1-line block ×5, first 2 shown]
	v_ldexp_f32 v102, v102, v120
	v_ldexp_f32 v103, v103, v122
	v_cmp_ngt_f32_e64 s[0:1], s14, v98
	v_ldexp_f32 v104, v104, v124
	v_cmp_ngt_f32_e64 s[2:3], s14, v101
	;; [unrolled: 2-line block ×4, first 2 shown]
	v_cmp_ngt_f32_e64 s[10:11], s14, v99
	ds_read_u16 v106, v86 offset:416
	ds_read_u16 v107, v88 offset:416
	ds_read_u16 v108, v85
	ds_read_u16 v109, v85 offset:32
	ds_read_u16 v110, v85 offset:64
	;; [unrolled: 1-line block ×4, first 2 shown]
	ds_read_u16 v111, v87
	ds_read_u16 v114, v87 offset:32
	ds_read_u16 v115, v87 offset:64
	;; [unrolled: 1-line block ×16, first 2 shown]
	v_cndmask_b32_e64 v120, 0, v102, s[10:11]
	v_cndmask_b32_e64 v122, 0, v103, s[0:1]
	v_cmp_nlt_f32_e64 s[0:1], s22, v98
	v_cndmask_b32_e64 v98, 0, v104, s[2:3]
	v_cndmask_b32_e64 v104, 0, v105, s[4:5]
	;; [unrolled: 1-line block ×3, first 2 shown]
	v_cmp_nlt_f32_e64 s[8:9], s22, v75
	v_cmp_nlt_f32_e64 s[10:11], s22, v99
	;; [unrolled: 1-line block ×3, first 2 shown]
	s_waitcnt lgkmcnt(11)
	v_perm_b32 v100, v119, v108, s24
	v_cndmask_b32_e64 v99, v96, v120, s[10:11]
	v_cndmask_b32_e64 v108, v96, v122, s[0:1]
	;; [unrolled: 1-line block ×3, first 2 shown]
	v_cmp_le_f32_e64 s[0:1], s23, v75
	v_cndmask_b32_e64 v104, v96, v104, s[4:5]
	v_add_f32_e32 v75, v108, v99
	v_cndmask_b32_e64 v105, 0, v105, s[0:1]
	v_cmp_nlt_f32_e64 s[2:3], s22, v101
	v_perm_b32 v101, v111, v106, s24
	s_waitcnt lgkmcnt(9)
	v_perm_b32 v106, v123, v110, s24
	s_waitcnt lgkmcnt(7)
	v_perm_b32 v110, v127, v112, s24
	v_cvt_f16_f32_e32 v112, v104
	v_add_f32_e32 v75, v104, v75
	v_cvt_f16_f32_e32 v104, v105
	v_cndmask_b32_e64 v98, v96, v98, s[2:3]
	s_waitcnt lgkmcnt(1)
	v_perm_b32 v102, v134, v109, s24
	v_cvt_f16_f32_e32 v108, v108
	v_cvt_f16_f32_e32 v99, v99
	;; [unrolled: 1-line block ×3, first 2 shown]
	v_add_f32_e32 v75, v98, v75
	v_pk_mul_f16 v66, v104, v66 op_sel_hi:[0,1]
	v_pk_mul_f16 v65, v104, v65 op_sel_hi:[0,1]
	v_perm_b32 v103, v114, v107, s24
	v_perm_b32 v107, v115, v125, s24
	;; [unrolled: 1-line block ×5, first 2 shown]
	v_fmac_f32_e32 v75, v97, v105
	v_pk_mul_f16 v97, v104, v53 op_sel_hi:[0,1]
	v_pk_mul_f16 v113, v104, v52 op_sel_hi:[0,1]
	;; [unrolled: 1-line block ×4, first 2 shown]
	v_cvt_f32_f16_e32 v50, v66
	v_cvt_f32_f16_sdwa v51, v66 dst_sel:DWORD dst_unused:UNUSED_PAD src0_sel:WORD_1
	v_cvt_f32_f16_e32 v52, v65
	v_cvt_f32_f16_sdwa v53, v65 dst_sel:DWORD dst_unused:UNUSED_PAD src0_sel:WORD_1
	v_perm_b32 v118, v132, v121, s24
	v_pack_b32_f16 v120, v108, v99
	v_pack_b32_f16 v121, v112, v109
	v_pk_mul_f16 v64, v104, v64 op_sel_hi:[0,1]
	v_pk_mul_f16 v60, v104, v60 op_sel_hi:[0,1]
	v_mfma_f32_16x16x16f16 v[50:53], v[100:101], v[120:121], v[50:53]
	v_cvt_f32_f16_e32 v98, v64
	v_cvt_f32_f16_sdwa v99, v64 dst_sel:DWORD dst_unused:UNUSED_PAD src0_sel:WORD_1
	v_cvt_f32_f16_e32 v100, v60
	v_cvt_f32_f16_sdwa v101, v60 dst_sel:DWORD dst_unused:UNUSED_PAD src0_sel:WORD_1
	v_pk_mul_f16 v59, v104, v59 op_sel_hi:[0,1]
	v_pk_mul_f16 v58, v104, v58 op_sel_hi:[0,1]
	;; [unrolled: 1-line block ×4, first 2 shown]
	v_mfma_f32_16x16x16f16 v[98:101], v[102:103], v[120:121], v[98:101]
	v_cvt_f32_f16_e32 v102, v59
	v_cvt_f32_f16_sdwa v103, v59 dst_sel:DWORD dst_unused:UNUSED_PAD src0_sel:WORD_1
	v_cvt_f32_f16_e32 v104, v58
	v_cvt_f32_f16_sdwa v105, v58 dst_sel:DWORD dst_unused:UNUSED_PAD src0_sel:WORD_1
	;; [unrolled: 2-line block ×3, first 2 shown]
	v_cvt_f32_f16_e32 v112, v113
	v_mfma_f32_16x16x16f16 v[102:105], v[106:107], v[120:121], v[102:105]
	v_cvt_f32_f16_e32 v106, v57
	v_cvt_f32_f16_sdwa v107, v57 dst_sel:DWORD dst_unused:UNUSED_PAD src0_sel:WORD_1
	v_cvt_f32_f16_sdwa v113, v113 dst_sel:DWORD dst_unused:UNUSED_PAD src0_sel:WORD_1
	s_waitcnt lgkmcnt(0)
	v_perm_b32 v119, v135, v133, s24
	v_cvt_f16_f32_e32 v50, v50
	v_cvt_f16_f32_e32 v51, v51
	;; [unrolled: 1-line block ×3, first 2 shown]
	v_mfma_f32_16x16x16f16 v[106:109], v[110:111], v[120:121], v[106:109]
	v_cvt_f32_f16_e32 v110, v97
	v_cvt_f32_f16_sdwa v111, v97 dst_sel:DWORD dst_unused:UNUSED_PAD src0_sel:WORD_1
	v_cvt_f16_f32_e32 v53, v53
	v_cvt_f16_f32_e32 v55, v98
	;; [unrolled: 1-line block ×5, first 2 shown]
	v_mfma_f32_16x16x16f16 v[110:113], v[114:115], v[120:121], v[110:113]
	v_cvt_f32_f16_e32 v114, v116
	v_cvt_f32_f16_sdwa v115, v116 dst_sel:DWORD dst_unused:UNUSED_PAD src0_sel:WORD_1
	v_cvt_f32_f16_e32 v116, v117
	v_cvt_f32_f16_sdwa v117, v117 dst_sel:DWORD dst_unused:UNUSED_PAD src0_sel:WORD_1
	v_cvt_f16_f32_e32 v97, v102
	v_cvt_f16_f32_e32 v98, v103
	;; [unrolled: 1-line block ×3, first 2 shown]
	v_mfma_f32_16x16x16f16 v[114:117], v[118:119], v[120:121], v[114:117]
	v_cvt_f16_f32_e32 v100, v105
	v_cvt_f16_f32_e32 v101, v106
	;; [unrolled: 1-line block ×9, first 2 shown]
	s_nop 1
	v_cvt_f16_f32_e32 v109, v114
	v_cvt_f16_f32_e32 v110, v115
	;; [unrolled: 1-line block ×4, first 2 shown]
	v_pack_b32_f16 v66, v50, v51
	v_pack_b32_f16 v65, v52, v53
	;; [unrolled: 1-line block ×12, first 2 shown]
	s_barrier
	s_cbranch_vccnz .LBB14_200
.LBB14_201:
	s_lshl_b32 s0, s72, 6
	s_ashr_i32 s1, s0, 31
	s_lshl_b64 s[2:3], s[0:1], 1
	s_add_u32 s2, s18, s2
	s_addc_u32 s3, s19, s3
	v_lshlrev_b64 v[22:23], 1, v[22:23]
	v_mov_b32_e32 v74, s3
	v_add_co_u32_e32 v76, vcc, s2, v22
	s_mul_i32 s2, s34, s1
	s_mul_hi_u32 s3, s34, s0
	s_add_i32 s2, s3, s2
	s_mul_i32 s3, s15, s0
	v_addc_co_u32_e32 v74, vcc, v74, v23, vcc
	v_lshlrev_b64 v[22:23], 1, v[12:13]
	s_add_i32 s3, s2, s3
	s_mul_i32 s2, s34, s0
	v_add_co_u32_e32 v22, vcc, v76, v22
	s_lshl_b64 s[2:3], s[2:3], 2
	v_addc_co_u32_e32 v23, vcc, v74, v23, vcc
	s_add_u32 s2, s20, s2
	global_load_dword v13, v[22:23], off
	s_addc_u32 s3, s21, s3
	v_lshlrev_b64 v[22:23], 2, v[30:31]
	v_mov_b32_e32 v30, s3
	v_add_co_u32_e32 v22, vcc, s2, v22
	v_addc_co_u32_e32 v23, vcc, v30, v23, vcc
	v_lshlrev_b64 v[30:31], 2, v[20:21]
	v_add_co_u32_e32 v84, vcc, v22, v30
	v_addc_co_u32_e32 v85, vcc, v23, v31, vcc
	v_lshlrev_b64 v[22:23], 2, v[32:33]
	v_mov_b32_e32 v21, s3
	v_add_co_u32_e32 v32, vcc, s2, v22
	v_addc_co_u32_e32 v21, vcc, v21, v23, vcc
	v_lshlrev_b64 v[22:23], 2, v[28:29]
	v_add_co_u32_e32 v32, vcc, v32, v22
	v_addc_co_u32_e32 v33, vcc, v21, v23, vcc
	global_load_dwordx4 v[76:79], v[84:85], off
	global_load_dwordx4 v[80:83], v[32:33], off
	v_lshlrev_b64 v[32:33], 2, v[34:35]
	v_mov_b32_e32 v21, s3
	v_add_co_u32_e32 v29, vcc, s2, v32
	v_addc_co_u32_e32 v21, vcc, v21, v33, vcc
	v_add_co_u32_e32 v32, vcc, v29, v22
	v_addc_co_u32_e32 v33, vcc, v21, v23, vcc
	global_load_dwordx4 v[32:35], v[32:33], off
	v_lshlrev_b32_e32 v12, 1, v12
	v_add_u32_e32 v67, 0, v67
	v_cmp_lt_i32_e32 vcc, v71, v70
	v_lshlrev_b32_e32 v20, 2, v20
	v_lshlrev_b32_e32 v21, 2, v28
	v_cndmask_b32_e32 v29, v69, v71, vcc
	v_cmp_lt_i32_e32 vcc, v72, v70
	v_add3_u32 v12, 0, v73, v12
	v_add3_u32 v71, v67, v48, v49
	v_add_u32_e32 v28, 0, v68
	v_cndmask_b32_e32 v68, v69, v72, vcc
	v_add3_u32 v61, 0, v61, v20
	v_add3_u32 v69, 0, v62, v21
	;; [unrolled: 1-line block ×3, first 2 shown]
	v_lshlrev_b64 v[20:21], 2, v[14:15]
	v_lshlrev_b64 v[48:49], 2, v[16:17]
	;; [unrolled: 1-line block ×3, first 2 shown]
	s_mul_hi_u32 s5, s30, s0
	s_mul_i32 s1, s30, s1
	s_mul_i32 s8, s13, s0
	s_add_i32 s1, s5, s1
	s_mul_i32 s0, s30, s0
	s_add_i32 s1, s1, s8
	s_lshl_b64 s[0:1], s[0:1], 2
	s_add_u32 s0, s6, s0
	s_addc_u32 s1, s7, s1
	v_lshl_add_u32 v54, v54, 2, v28
	v_lshl_add_u32 v28, v56, 2, v28
	v_lshlrev_b32_e32 v29, 2, v29
	s_mov_b32 s2, 0x3fb8aa3b
	s_mov_b32 s3, 0xc2ce8ed0
	;; [unrolled: 1-line block ×3, first 2 shown]
	s_waitcnt vmcnt(3)
	ds_write_b32 v12, v13 offset:13312
	s_waitcnt vmcnt(2)
	ds_write_b128 v61, v[76:79]
	s_waitcnt vmcnt(1)
	ds_write_b128 v69, v[80:83]
	;; [unrolled: 2-line block ×3, first 2 shown]
	s_waitcnt lgkmcnt(0)
	s_barrier
	ds_read2_b64 v[32:35], v71 offset1:4
	s_waitcnt lgkmcnt(0)
	v_mfma_f32_16x16x16f16 v[12:15], v[32:33], v[8:9], 0
	ds_read2_b64 v[16:19], v71 offset0:8 offset1:12
	v_mov_b32_e32 v33, s1
	v_lshlrev_b32_e32 v32, 2, v68
	v_mfma_f32_16x16x16f16 v[8:11], v[34:35], v[10:11], v[12:15]
	s_waitcnt lgkmcnt(0)
	v_mfma_f32_16x16x16f16 v[8:11], v[16:17], v[4:5], v[8:11]
	s_nop 4
	v_mov_b32_e32 v12, s1
	v_add_co_u32_e32 v16, vcc, s0, v20
	v_addc_co_u32_e32 v17, vcc, v12, v21, vcc
	v_mov_b32_e32 v13, s1
	v_add_co_u32_e32 v20, vcc, s0, v48
	v_addc_co_u32_e32 v21, vcc, v13, v49, vcc
	ds_read2_b64 v[12:15], v71 offset0:16 offset1:20
	v_mfma_f32_16x16x16f16 v[4:7], v[18:19], v[6:7], v[8:11]
	s_waitcnt lgkmcnt(0)
	s_barrier
	s_nop 4
	ds_read_b32 v11, v54 offset:13312
	ds_read_b32 v9, v28 offset:13312
	v_add_co_u32_e32 v34, vcc, s0, v62
	v_addc_co_u32_e32 v33, vcc, v33, v63, vcc
	v_mfma_f32_16x16x16f16 v[4:7], v[12:13], v[0:1], v[4:7]
	s_waitcnt lgkmcnt(1)
	v_cvt_f32_f16_e32 v10, v11
	v_cvt_f32_f16_sdwa v11, v11 dst_sel:DWORD dst_unused:UNUSED_PAD src0_sel:WORD_1
	s_waitcnt lgkmcnt(0)
	v_cvt_f32_f16_e32 v8, v9
	v_cvt_f32_f16_sdwa v9, v9 dst_sel:DWORD dst_unused:UNUSED_PAD src0_sel:WORD_1
	v_add_co_u32_e32 v12, vcc, v16, v30
	v_addc_co_u32_e32 v13, vcc, v17, v31, vcc
	v_mfma_f32_16x16x16f16 v[0:3], v[14:15], v[2:3], v[4:7]
	v_add_co_u32_e32 v18, vcc, v20, v22
	v_addc_co_u32_e32 v19, vcc, v21, v23, vcc
	v_add_co_u32_e32 v20, vcc, v34, v22
	v_addc_co_u32_e32 v21, vcc, v33, v23, vcc
	s_nop 6
	v_pk_add_f32 v[16:17], v[0:1], v[10:11]
	v_pk_add_f32 v[14:15], v[2:3], v[8:9]
	v_add_f32_e32 v2, 0x40051340, v16
	v_add_f32_e32 v3, 0x40051340, v17
	;; [unrolled: 1-line block ×4, first 2 shown]
	v_max3_f32 v2, v36, v2, v3
	v_max3_f32 v0, v2, v0, v1
	ds_bpermute_b32 v1, v29, v0
	s_mov_b32 s0, 0xc1a00000
	s_waitcnt lgkmcnt(0)
	v_max_f32_e32 v1, v1, v1
	v_max_f32_e32 v28, v0, v1
	global_load_dwordx4 v[0:3], v[12:13], off
	global_load_dwordx4 v[4:7], v[18:19], off
	;; [unrolled: 1-line block ×3, first 2 shown]
	ds_bpermute_b32 v30, v32, v28
	s_waitcnt vmcnt(2)
	ds_write_b128 v61, v[0:3]
	s_waitcnt vmcnt(1)
	ds_write_b128 v69, v[4:7]
	;; [unrolled: 2-line block ×3, first 2 shown]
	s_waitcnt lgkmcnt(3)
	v_max_f32_e32 v12, v30, v30
	v_max_f32_e32 v28, v28, v12
	v_pk_add_f32 v[12:13], v[16:17], v[28:29] op_sel_hi:[1,0] neg_lo:[0,1] neg_hi:[0,1]
	v_mul_f32_e32 v16, 0x3fb8aa3b, v13
	v_fma_f32 v17, v13, s2, -v16
	v_rndne_f32_e32 v18, v16
	v_fmac_f32_e32 v17, 0x32a5705f, v13
	v_sub_f32_e32 v16, v16, v18
	v_add_f32_e32 v16, v16, v17
	v_cvt_i32_f32_e32 v18, v18
	v_exp_f32_e32 v16, v16
	v_mul_f32_e32 v17, 0x3fb8aa3b, v12
	v_fma_f32 v19, v12, s2, -v17
	v_fmac_f32_e32 v19, 0x32a5705f, v12
	v_ldexp_f32 v16, v16, v18
	v_rndne_f32_e32 v18, v17
	v_sub_f32_e32 v17, v17, v18
	v_add_f32_e32 v17, v17, v19
	v_exp_f32_e32 v17, v17
	v_cvt_i32_f32_e32 v18, v18
	v_cmp_ngt_f32_e32 vcc, s3, v13
	v_cndmask_b32_e32 v16, 0, v16, vcc
	v_mov_b32_e32 v19, 0x7f800000
	v_cmp_nlt_f32_e32 vcc, s4, v13
	v_pk_add_f32 v[14:15], v[14:15], v[28:29] op_sel_hi:[1,0] neg_lo:[0,1] neg_hi:[0,1]
	v_cndmask_b32_e32 v13, v19, v16, vcc
	v_ldexp_f32 v16, v17, v18
	v_mul_f32_e32 v17, 0x3fb8aa3b, v15
	v_fma_f32 v18, v15, s2, -v17
	v_rndne_f32_e32 v20, v17
	v_fmac_f32_e32 v18, 0x32a5705f, v15
	v_sub_f32_e32 v17, v17, v20
	v_add_f32_e32 v17, v17, v18
	v_exp_f32_e32 v17, v17
	v_cvt_i32_f32_e32 v18, v20
	v_cmp_ngt_f32_e32 vcc, s3, v12
	v_cndmask_b32_e32 v16, 0, v16, vcc
	v_cmp_nlt_f32_e32 vcc, s4, v12
	v_cndmask_b32_e32 v12, v19, v16, vcc
	v_ldexp_f32 v16, v17, v18
	v_mul_f32_e32 v17, 0x3fb8aa3b, v14
	v_fma_f32 v18, v14, s2, -v17
	v_rndne_f32_e32 v20, v17
	v_fmac_f32_e32 v18, 0x32a5705f, v14
	v_sub_f32_e32 v17, v17, v20
	v_add_f32_e32 v17, v17, v18
	v_cvt_i32_f32_e32 v18, v20
	v_sub_f32_e32 v20, v36, v28
	v_mul_f32_e32 v21, 0x3fb8aa3b, v20
	v_fma_f32 v22, v20, s2, -v21
	v_rndne_f32_e32 v23, v21
	v_fmac_f32_e32 v22, 0x32a5705f, v20
	v_sub_f32_e32 v21, v21, v23
	v_add_f32_e32 v21, v21, v22
	v_exp_f32_e32 v21, v21
	v_cvt_i32_f32_e32 v22, v23
	v_cmp_ngt_f32_e32 vcc, s3, v15
	v_cndmask_b32_e32 v16, 0, v16, vcc
	v_cmp_nlt_f32_e32 vcc, s4, v15
	v_cndmask_b32_e32 v23, v19, v16, vcc
	v_ldexp_f32 v16, v21, v22
	v_cmp_ngt_f32_e32 vcc, s3, v20
	v_cndmask_b32_e32 v16, 0, v16, vcc
	v_cmp_nlt_f32_e32 vcc, s4, v20
	v_exp_f32_e32 v17, v17
	v_cndmask_b32_e32 v16, v19, v16, vcc
	v_cmp_le_f32_e32 vcc, s0, v20
	v_cndmask_b32_e32 v22, 0, v16, vcc
	v_cvt_f16_f32_e32 v33, v22
	v_ldexp_f32 v15, v17, v18
	v_cmp_ngt_f32_e32 vcc, s3, v14
	v_cndmask_b32_e32 v15, 0, v15, vcc
	v_cmp_nlt_f32_e32 vcc, s4, v14
	v_cndmask_b32_e32 v14, v19, v15, vcc
	v_pk_mul_f16 v15, v33, v66 op_sel_hi:[0,1]
	v_lshl_add_u32 v5, v46, 1, v67
	s_waitcnt lgkmcnt(0)
	s_barrier
	v_lshl_add_u32 v3, v44, 1, v67
	v_add3_u32 v4, v67, v45, v43
	v_add3_u32 v6, v67, v47, v43
	v_cvt_f32_f16_e32 v0, v15
	v_cvt_f32_f16_sdwa v1, v15 dst_sel:DWORD dst_unused:UNUSED_PAD src0_sel:WORD_1
	s_mov_b32 s0, 0x5040100
	ds_read_u16 v7, v5 offset:32
	ds_read_u16 v11, v5 offset:64
	;; [unrolled: 1-line block ×7, first 2 shown]
	ds_read_u16 v8, v5
	ds_read_u16 v44, v4 offset:368
	ds_read_u16 v9, v6
	ds_read_u16 v10, v6 offset:32
	ds_read_u16 v45, v6 offset:64
	;; [unrolled: 1-line block ×6, first 2 shown]
	s_waitcnt lgkmcnt(6)
	v_perm_b32 v5, v9, v8, s0
	ds_read_u16 v6, v4 offset:208
	ds_read_u16 v8, v4 offset:240
	ds_read_u16 v4, v3
	ds_read_u16 v54, v3 offset:32
	ds_read_u16 v56, v3 offset:64
	;; [unrolled: 1-line block ×5, first 2 shown]
	v_pk_mul_f16 v16, v33, v65 op_sel_hi:[0,1]
	v_cvt_f16_f32_e32 v18, v13
	v_cvt_f16_f32_e32 v19, v12
	;; [unrolled: 1-line block ×4, first 2 shown]
	s_waitcnt lgkmcnt(5)
	v_perm_b32 v4, v6, v4, s0
	v_cvt_f32_f16_e32 v2, v16
	v_cvt_f32_f16_sdwa v3, v16 dst_sel:DWORD dst_unused:UNUSED_PAD src0_sel:WORD_1
	v_pk_mul_f16 v17, v33, v64 op_sel_hi:[0,1]
	v_pk_mul_f16 v16, v33, v60 op_sel_hi:[0,1]
	v_pack_b32_f16 v30, v19, v18
	v_pack_b32_f16 v31, v21, v20
	v_perm_b32 v9, v10, v7, s0
	s_waitcnt lgkmcnt(4)
	v_perm_b32 v8, v8, v54, s0
	v_mfma_f32_16x16x16f16 v[0:3], v[4:5], v[30:31], v[0:3]
	v_cvt_f32_f16_e32 v4, v17
	v_cvt_f32_f16_sdwa v5, v17 dst_sel:DWORD dst_unused:UNUSED_PAD src0_sel:WORD_1
	v_cvt_f32_f16_e32 v6, v16
	v_cvt_f32_f16_sdwa v7, v16 dst_sel:DWORD dst_unused:UNUSED_PAD src0_sel:WORD_1
	v_add_f32_e32 v16, v12, v13
	v_pk_mul_f16 v10, v33, v59 op_sel_hi:[0,1]
	v_pk_mul_f16 v17, v33, v58 op_sel_hi:[0,1]
	v_perm_b32 v13, v45, v11, s0
	s_waitcnt lgkmcnt(3)
	v_perm_b32 v12, v34, v56, s0
	v_mfma_f32_16x16x16f16 v[4:7], v[8:9], v[30:31], v[4:7]
	v_cvt_f32_f16_e32 v8, v10
	v_cvt_f32_f16_sdwa v9, v10 dst_sel:DWORD dst_unused:UNUSED_PAD src0_sel:WORD_1
	v_cvt_f32_f16_e32 v10, v17
	v_cvt_f32_f16_sdwa v11, v17 dst_sel:DWORD dst_unused:UNUSED_PAD src0_sel:WORD_1
	v_add_f32_e32 v18, v14, v16
	v_pk_mul_f16 v14, v33, v57 op_sel_hi:[0,1]
	v_pk_mul_f16 v19, v33, v55 op_sel_hi:[0,1]
	;; [unrolled: 11-line block ×3, first 2 shown]
	v_perm_b32 v21, v47, v43, s0
	s_waitcnt lgkmcnt(1)
	v_perm_b32 v20, v36, v62, s0
	v_mfma_f32_16x16x16f16 v[12:15], v[16:17], v[30:31], v[12:15]
	v_cvt_f32_f16_e32 v16, v18
	v_cvt_f32_f16_sdwa v17, v18 dst_sel:DWORD dst_unused:UNUSED_PAD src0_sel:WORD_1
	v_cvt_f32_f16_e32 v18, v19
	v_cvt_f32_f16_sdwa v19, v19 dst_sel:DWORD dst_unused:UNUSED_PAD src0_sel:WORD_1
	v_fmac_f32_e32 v45, v75, v22
	v_pk_mul_f16 v22, v33, v51 op_sel_hi:[0,1]
	v_pk_mul_f16 v23, v33, v50 op_sel_hi:[0,1]
	v_perm_b32 v35, v48, v49, s0
	s_waitcnt lgkmcnt(0)
	v_perm_b32 v34, v44, v63, s0
	v_mfma_f32_16x16x16f16 v[16:19], v[20:21], v[30:31], v[16:19]
	v_cvt_f32_f16_e32 v20, v22
	v_cvt_f32_f16_sdwa v21, v22 dst_sel:DWORD dst_unused:UNUSED_PAD src0_sel:WORD_1
	v_cvt_f32_f16_e32 v22, v23
	v_cvt_f32_f16_sdwa v23, v23 dst_sel:DWORD dst_unused:UNUSED_PAD src0_sel:WORD_1
	ds_bpermute_b32 v33, v29, v45
	v_cmp_gt_u32_e64 s[0:1], 16, v38
	s_waitcnt lgkmcnt(0)
	v_mfma_f32_16x16x16f16 v[20:23], v[34:35], v[30:31], v[20:23]
	s_barrier
	v_add_f32_e32 v30, v45, v33
	ds_bpermute_b32 v31, v32, v30
	s_waitcnt lgkmcnt(0)
	s_and_saveexec_b64 s[2:3], s[0:1]
	s_cbranch_execz .LBB14_203
; %bb.202:
	v_add_f32_e32 v30, v30, v31
	v_or_b32_e32 v31, v42, v38
	s_movk_i32 s4, 0xd0
	v_mad_i32_i24 v31, v31, s4, 0
	ds_write2_b32 v31, v28, v30 offset0:48 offset1:49
.LBB14_203:
	s_or_b64 exec, exec, s[2:3]
	v_cmp_eq_u32_e32 vcc, 0, v41
	v_cmp_ne_u32_e64 s[2:3], 0, v41
	s_waitcnt lgkmcnt(0)
	s_barrier
	s_and_saveexec_b64 s[4:5], s[2:3]
	s_xor_b64 s[2:3], exec, s[4:5]
	s_cbranch_execz .LBB14_205
; %bb.204:
	s_barrier
	s_waitcnt lgkmcnt(0)
                                        ; implicit-def: $vgpr38
                                        ; implicit-def: $vgpr29
                                        ; implicit-def: $vgpr32
                                        ; implicit-def: $vgpr39
.LBB14_205:
	s_andn2_saveexec_b64 s[4:5], s[2:3]
	s_cbranch_execz .LBB14_209
; %bb.206:
	v_add_u32_e32 v28, v42, v38
	s_movk_i32 s2, 0xd0
	v_mad_i32_i24 v33, v28, s2, 0
	ds_read_b64 v[30:31], v33 offset:192
	s_mov_b32 s2, 0x3fb8aa3b
	s_mov_b32 s6, 0x42b17218
	;; [unrolled: 1-line block ×3, first 2 shown]
	s_waitcnt lgkmcnt(0)
	ds_bpermute_b32 v28, v29, v30
	v_max_f32_e32 v34, v30, v30
	s_barrier
	s_waitcnt lgkmcnt(0)
	v_max_f32_e32 v28, v28, v28
	v_max_f32_e32 v28, v34, v28
	ds_bpermute_b32 v34, v32, v28
	s_waitcnt lgkmcnt(0)
	v_max_f32_e32 v34, v34, v34
	v_max_f32_e32 v28, v28, v34
	v_sub_f32_e32 v30, v30, v28
	v_mul_f32_e32 v34, 0x3fb8aa3b, v30
	v_fma_f32 v35, v30, s2, -v34
	v_rndne_f32_e32 v36, v34
	v_fmac_f32_e32 v35, 0x32a5705f, v30
	v_sub_f32_e32 v34, v34, v36
	v_add_f32_e32 v34, v34, v35
	v_cvt_i32_f32_e32 v36, v36
	v_exp_f32_e32 v34, v34
	s_mov_b32 s2, 0xc2ce8ed0
	v_cmp_ngt_f32_e64 s[2:3], s2, v30
	v_mov_b32_e32 v35, 0x7f800000
	v_ldexp_f32 v34, v34, v36
	v_cndmask_b32_e64 v34, 0, v34, s[2:3]
	v_cmp_nlt_f32_e64 s[2:3], s6, v30
	v_cndmask_b32_e64 v30, v35, v34, s[2:3]
	v_mul_f32_e32 v34, v31, v30
	ds_bpermute_b32 v29, v29, v34
	s_waitcnt lgkmcnt(0)
	v_fmac_f32_e32 v29, v31, v30
	ds_bpermute_b32 v31, v32, v29
	s_waitcnt lgkmcnt(0)
	v_add_f32_e32 v31, v29, v31
	ds_write_b64 v33, v[30:31] offset:192
	s_and_saveexec_b64 s[2:3], s[0:1]
	s_cbranch_execz .LBB14_208
; %bb.207:
	s_add_i32 s0, s35, s44
	s_lshl_b32 s8, s0, 4
	s_lshl_b64 s[0:1], s[8:9], 3
	s_add_u32 s0, s26, s0
	v_or_b32_e32 v29, v39, v38
	s_addc_u32 s1, s27, s1
	v_lshlrev_b32_e32 v30, 3, v29
	v_mov_b32_e32 v29, v31
	global_store_dwordx2 v30, v[28:29], s[0:1]
.LBB14_208:
	s_or_b64 exec, exec, s[2:3]
.LBB14_209:
	s_or_b64 exec, exec, s[4:5]
	v_cvt_f16_f32_e32 v0, v0
	v_cvt_f16_f32_e32 v1, v1
	;; [unrolled: 1-line block ×8, first 2 shown]
	v_pack_b32_f16 v2, v2, v3
	v_pack_b32_f16 v0, v0, v1
	;; [unrolled: 1-line block ×4, first 2 shown]
	v_cvt_f16_f32_e32 v4, v8
	v_cvt_f16_f32_e32 v5, v9
	;; [unrolled: 1-line block ×8, first 2 shown]
	v_pack_b32_f16 v6, v6, v7
	v_pack_b32_f16 v4, v4, v5
	;; [unrolled: 1-line block ×4, first 2 shown]
	v_cvt_f16_f32_e32 v10, v18
	v_cvt_f16_f32_e32 v11, v19
	;; [unrolled: 1-line block ×8, first 2 shown]
	v_pack_b32_f16 v10, v10, v11
	v_pack_b32_f16 v11, v12, v15
	v_or_b32_e32 v12, v42, v24
	v_mad_i32_i24 v12, v12, 52, v40
	s_mov_b32 s3, 0
	v_lshl_add_u32 v12, v12, 2, 0
	v_pack_b32_f16 v8, v8, v9
	v_pack_b32_f16 v9, v13, v14
	ds_write2_b32 v12, v0, v2 offset1:1
	ds_write2_b32 v12, v3, v1 offset0:8 offset1:9
	ds_write2_b32 v12, v4, v6 offset0:16 offset1:17
	;; [unrolled: 1-line block ×5, first 2 shown]
	s_waitcnt lgkmcnt(0)
	s_barrier
	s_and_saveexec_b64 s[0:1], vcc
	s_cbranch_execz .LBB14_211
; %bb.210:
	s_mul_i32 s2, s44, 0x300
	s_lshl_b64 s[4:5], s[2:3], 3
	s_add_u32 s4, s26, s4
	s_addc_u32 s5, s27, s5
	s_lshl_b32 s2, s35, 5
	v_lshrrev_b32_e32 v0, 1, v37
	s_lshl_b64 s[2:3], s[2:3], 3
	v_add_u32_e32 v12, v27, v0
	s_add_u32 s2, s4, s2
	v_lshlrev_b32_e32 v0, 2, v12
	v_and_b32_e32 v1, 15, v12
	s_movk_i32 s4, 0xfc0
	v_and_or_b32 v0, v0, s4, v1
	s_movk_i32 s4, 0xd0
	v_mad_u32_u24 v2, v0, s4, 0
	v_lshlrev_b32_e32 v14, 2, v26
	v_add_u32_e32 v6, v2, v14
	ds_read2st64_b32 v[0:1], v6 offset1:13
	v_add_u32_e32 v4, 0xc0, v2
	ds_read2st64_b32 v[2:3], v4 offset1:13
	ds_read2st64_b32 v[4:5], v4 offset0:26 offset1:39
	ds_read2st64_b32 v[6:7], v6 offset0:26 offset1:39
	s_addc_u32 s3, s5, s3
	s_movk_i32 s5, 0x1fc0
	s_waitcnt lgkmcnt(3)
	v_cvt_f32_f16_e32 v8, v0
	v_cvt_f32_f16_sdwa v9, v0 dst_sel:DWORD dst_unused:UNUSED_PAD src0_sel:WORD_1
	v_cvt_f32_f16_e32 v0, v1
	v_cvt_f32_f16_sdwa v1, v1 dst_sel:DWORD dst_unused:UNUSED_PAD src0_sel:WORD_1
	s_waitcnt lgkmcnt(0)
	v_cvt_f32_f16_e32 v10, v6
	v_cvt_f32_f16_sdwa v11, v6 dst_sel:DWORD dst_unused:UNUSED_PAD src0_sel:WORD_1
	v_pk_fma_f32 v[8:9], v[2:3], v[8:9], 0 op_sel_hi:[0,1,0]
	v_mov_b32_e32 v2, v3
	v_pk_fma_f32 v[0:1], v[2:3], v[0:1], v[8:9] op_sel_hi:[0,1,1]
	v_pk_fma_f32 v[0:1], v[4:5], v[10:11], v[0:1] op_sel_hi:[0,1,1]
	v_mov_b32_e32 v4, v5
	v_add_u32_e32 v5, 2, v12
	v_cvt_f32_f16_e32 v2, v7
	v_cvt_f32_f16_sdwa v3, v7 dst_sel:DWORD dst_unused:UNUSED_PAD src0_sel:WORD_1
	v_lshlrev_b32_e32 v6, 2, v5
	v_and_b32_e32 v5, 15, v5
	v_and_or_b32 v5, v6, s5, v5
	v_mad_u32_u24 v5, v5, s4, 0
	v_mul_u32_u24_e32 v13, 48, v12
	v_add_u32_e32 v8, v5, v14
	ds_read2st64_b32 v[6:7], v8 offset1:13
	v_pk_fma_f32 v[0:1], v[4:5], v[2:3], v[0:1] op_sel_hi:[0,1,1]
	v_add_lshl_u32 v13, v13, v26, 3
	v_add_u32_e32 v9, 0xc0, v5
	global_store_dwordx2 v13, v[0:1], s[2:3]
	ds_read2st64_b32 v[2:3], v9 offset1:13
	ds_read2st64_b32 v[0:1], v9 offset0:26 offset1:39
	ds_read2st64_b32 v[8:9], v8 offset0:26 offset1:39
	s_waitcnt lgkmcnt(3)
	v_cvt_f32_f16_e32 v4, v6
	v_cvt_f32_f16_sdwa v5, v6 dst_sel:DWORD dst_unused:UNUSED_PAD src0_sel:WORD_1
	v_cvt_f32_f16_e32 v6, v7
	v_cvt_f32_f16_sdwa v7, v7 dst_sel:DWORD dst_unused:UNUSED_PAD src0_sel:WORD_1
	s_waitcnt lgkmcnt(0)
	v_cvt_f32_f16_e32 v10, v8
	v_cvt_f32_f16_sdwa v11, v8 dst_sel:DWORD dst_unused:UNUSED_PAD src0_sel:WORD_1
	v_cvt_f32_f16_e32 v8, v9
	v_cvt_f32_f16_sdwa v9, v9 dst_sel:DWORD dst_unused:UNUSED_PAD src0_sel:WORD_1
	v_pk_fma_f32 v[4:5], v[2:3], v[4:5], 0 op_sel_hi:[0,1,0]
	v_mov_b32_e32 v2, v3
	v_pk_fma_f32 v[2:3], v[2:3], v[6:7], v[4:5] op_sel_hi:[0,1,1]
	v_pk_fma_f32 v[2:3], v[0:1], v[10:11], v[2:3] op_sel_hi:[0,1,1]
	v_mov_b32_e32 v0, v1
	v_pk_fma_f32 v[0:1], v[0:1], v[8:9], v[2:3] op_sel_hi:[0,1,1]
	global_store_dwordx2 v13, v[0:1], s[2:3] offset:768
	v_add_u32_e32 v0, 4, v12
	v_lshlrev_b32_e32 v1, 2, v0
	v_and_b32_e32 v0, 15, v0
	v_and_or_b32 v0, v1, s5, v0
	v_mad_u32_u24 v0, v0, s4, 0
	v_add_u32_e32 v4, 0xc0, v0
	v_add_u32_e32 v6, v0, v14
	ds_read2st64_b32 v[0:1], v6 offset1:13
	ds_read2st64_b32 v[2:3], v4 offset1:13
	ds_read2st64_b32 v[4:5], v4 offset0:26 offset1:39
	ds_read2st64_b32 v[6:7], v6 offset0:26 offset1:39
	v_add_u32_e32 v15, 0x600, v13
	s_waitcnt lgkmcnt(3)
	v_cvt_f32_f16_e32 v8, v0
	v_cvt_f32_f16_sdwa v9, v0 dst_sel:DWORD dst_unused:UNUSED_PAD src0_sel:WORD_1
	v_cvt_f32_f16_e32 v0, v1
	v_cvt_f32_f16_sdwa v1, v1 dst_sel:DWORD dst_unused:UNUSED_PAD src0_sel:WORD_1
	s_waitcnt lgkmcnt(0)
	v_cvt_f32_f16_e32 v10, v6
	v_cvt_f32_f16_sdwa v11, v6 dst_sel:DWORD dst_unused:UNUSED_PAD src0_sel:WORD_1
	v_pk_fma_f32 v[8:9], v[2:3], v[8:9], 0 op_sel_hi:[0,1,0]
	v_mov_b32_e32 v2, v3
	v_pk_fma_f32 v[0:1], v[2:3], v[0:1], v[8:9] op_sel_hi:[0,1,1]
	v_pk_fma_f32 v[0:1], v[4:5], v[10:11], v[0:1] op_sel_hi:[0,1,1]
	v_mov_b32_e32 v4, v5
	v_add_u32_e32 v5, 6, v12
	v_cvt_f32_f16_e32 v2, v7
	v_cvt_f32_f16_sdwa v3, v7 dst_sel:DWORD dst_unused:UNUSED_PAD src0_sel:WORD_1
	v_lshlrev_b32_e32 v6, 2, v5
	v_and_b32_e32 v5, 15, v5
	v_and_or_b32 v5, v6, s5, v5
	v_mad_u32_u24 v5, v5, s4, 0
	v_add_u32_e32 v8, v5, v14
	ds_read2st64_b32 v[6:7], v8 offset1:13
	v_pk_fma_f32 v[0:1], v[4:5], v[2:3], v[0:1] op_sel_hi:[0,1,1]
	global_store_dwordx2 v15, v[0:1], s[2:3]
	v_add_u32_e32 v4, 0xc0, v5
	ds_read2st64_b32 v[0:1], v4 offset1:13
	ds_read2st64_b32 v[4:5], v4 offset0:26 offset1:39
	ds_read2st64_b32 v[8:9], v8 offset0:26 offset1:39
	s_waitcnt lgkmcnt(3)
	v_cvt_f32_f16_e32 v2, v6
	v_cvt_f32_f16_sdwa v3, v6 dst_sel:DWORD dst_unused:UNUSED_PAD src0_sel:WORD_1
	v_cvt_f32_f16_e32 v6, v7
	v_cvt_f32_f16_sdwa v7, v7 dst_sel:DWORD dst_unused:UNUSED_PAD src0_sel:WORD_1
	s_waitcnt lgkmcnt(0)
	v_cvt_f32_f16_e32 v10, v8
	v_cvt_f32_f16_sdwa v11, v8 dst_sel:DWORD dst_unused:UNUSED_PAD src0_sel:WORD_1
	v_cvt_f32_f16_e32 v8, v9
	v_cvt_f32_f16_sdwa v9, v9 dst_sel:DWORD dst_unused:UNUSED_PAD src0_sel:WORD_1
	v_pk_fma_f32 v[2:3], v[0:1], v[2:3], 0 op_sel_hi:[0,1,0]
	v_mov_b32_e32 v0, v1
	v_pk_fma_f32 v[0:1], v[0:1], v[6:7], v[2:3] op_sel_hi:[0,1,1]
	v_pk_fma_f32 v[0:1], v[4:5], v[10:11], v[0:1] op_sel_hi:[0,1,1]
	v_mov_b32_e32 v2, v5
	v_add_u32_e32 v15, 0x900, v13
	v_pk_fma_f32 v[0:1], v[2:3], v[8:9], v[0:1] op_sel_hi:[0,1,1]
	global_store_dwordx2 v15, v[0:1], s[2:3]
	v_add_u32_e32 v0, 8, v12
	v_lshlrev_b32_e32 v1, 2, v0
	v_and_b32_e32 v0, 15, v0
	v_and_or_b32 v0, v1, s5, v0
	v_mad_u32_u24 v0, v0, s4, 0
	v_add_u32_e32 v4, 0xc0, v0
	v_add_u32_e32 v6, v0, v14
	ds_read2st64_b32 v[0:1], v6 offset1:13
	ds_read2st64_b32 v[2:3], v4 offset1:13
	ds_read2st64_b32 v[4:5], v4 offset0:26 offset1:39
	ds_read2st64_b32 v[6:7], v6 offset0:26 offset1:39
	v_add_u32_e32 v15, 0xc00, v13
	s_waitcnt lgkmcnt(3)
	v_cvt_f32_f16_e32 v8, v0
	v_cvt_f32_f16_sdwa v9, v0 dst_sel:DWORD dst_unused:UNUSED_PAD src0_sel:WORD_1
	v_cvt_f32_f16_e32 v0, v1
	v_cvt_f32_f16_sdwa v1, v1 dst_sel:DWORD dst_unused:UNUSED_PAD src0_sel:WORD_1
	s_waitcnt lgkmcnt(0)
	v_cvt_f32_f16_e32 v10, v6
	v_cvt_f32_f16_sdwa v11, v6 dst_sel:DWORD dst_unused:UNUSED_PAD src0_sel:WORD_1
	v_pk_fma_f32 v[8:9], v[2:3], v[8:9], 0 op_sel_hi:[0,1,0]
	v_mov_b32_e32 v2, v3
	v_pk_fma_f32 v[0:1], v[2:3], v[0:1], v[8:9] op_sel_hi:[0,1,1]
	v_pk_fma_f32 v[0:1], v[4:5], v[10:11], v[0:1] op_sel_hi:[0,1,1]
	v_mov_b32_e32 v4, v5
	v_add_u32_e32 v5, 10, v12
	v_cvt_f32_f16_e32 v2, v7
	v_cvt_f32_f16_sdwa v3, v7 dst_sel:DWORD dst_unused:UNUSED_PAD src0_sel:WORD_1
	v_lshlrev_b32_e32 v6, 2, v5
	v_and_b32_e32 v5, 15, v5
	v_and_or_b32 v5, v6, s5, v5
	v_mad_u32_u24 v5, v5, s4, 0
	v_add_u32_e32 v8, v5, v14
	ds_read2st64_b32 v[6:7], v8 offset1:13
	v_pk_fma_f32 v[0:1], v[4:5], v[2:3], v[0:1] op_sel_hi:[0,1,1]
	global_store_dwordx2 v15, v[0:1], s[2:3]
	v_add_u32_e32 v4, 0xc0, v5
	ds_read2st64_b32 v[0:1], v4 offset1:13
	ds_read2st64_b32 v[4:5], v4 offset0:26 offset1:39
	ds_read2st64_b32 v[8:9], v8 offset0:26 offset1:39
	s_waitcnt lgkmcnt(3)
	v_cvt_f32_f16_e32 v2, v6
	v_cvt_f32_f16_sdwa v3, v6 dst_sel:DWORD dst_unused:UNUSED_PAD src0_sel:WORD_1
	v_cvt_f32_f16_e32 v6, v7
	v_cvt_f32_f16_sdwa v7, v7 dst_sel:DWORD dst_unused:UNUSED_PAD src0_sel:WORD_1
	s_waitcnt lgkmcnt(0)
	v_cvt_f32_f16_e32 v10, v8
	v_cvt_f32_f16_sdwa v11, v8 dst_sel:DWORD dst_unused:UNUSED_PAD src0_sel:WORD_1
	v_cvt_f32_f16_e32 v8, v9
	v_cvt_f32_f16_sdwa v9, v9 dst_sel:DWORD dst_unused:UNUSED_PAD src0_sel:WORD_1
	v_pk_fma_f32 v[2:3], v[0:1], v[2:3], 0 op_sel_hi:[0,1,0]
	v_mov_b32_e32 v0, v1
	v_pk_fma_f32 v[0:1], v[0:1], v[6:7], v[2:3] op_sel_hi:[0,1,1]
	v_pk_fma_f32 v[0:1], v[4:5], v[10:11], v[0:1] op_sel_hi:[0,1,1]
	v_mov_b32_e32 v2, v5
	v_add_u32_e32 v15, 0xf00, v13
	v_pk_fma_f32 v[0:1], v[2:3], v[8:9], v[0:1] op_sel_hi:[0,1,1]
	global_store_dwordx2 v15, v[0:1], s[2:3]
	v_add_u32_e32 v0, 12, v12
	v_lshlrev_b32_e32 v1, 2, v0
	v_and_b32_e32 v0, 15, v0
	v_and_or_b32 v0, v1, s5, v0
	v_mad_u32_u24 v0, v0, s4, 0
	v_add_u32_e32 v4, 0xc0, v0
	v_add_u32_e32 v6, v0, v14
	ds_read2st64_b32 v[0:1], v6 offset1:13
	ds_read2st64_b32 v[2:3], v4 offset1:13
	ds_read2st64_b32 v[4:5], v4 offset0:26 offset1:39
	ds_read2st64_b32 v[6:7], v6 offset0:26 offset1:39
	v_add_u32_e32 v15, 0x1200, v13
	s_waitcnt lgkmcnt(3)
	v_cvt_f32_f16_e32 v8, v0
	v_cvt_f32_f16_sdwa v9, v0 dst_sel:DWORD dst_unused:UNUSED_PAD src0_sel:WORD_1
	v_cvt_f32_f16_e32 v0, v1
	v_cvt_f32_f16_sdwa v1, v1 dst_sel:DWORD dst_unused:UNUSED_PAD src0_sel:WORD_1
	s_waitcnt lgkmcnt(0)
	v_cvt_f32_f16_e32 v10, v6
	v_cvt_f32_f16_sdwa v11, v6 dst_sel:DWORD dst_unused:UNUSED_PAD src0_sel:WORD_1
	v_pk_fma_f32 v[8:9], v[2:3], v[8:9], 0 op_sel_hi:[0,1,0]
	v_mov_b32_e32 v2, v3
	v_pk_fma_f32 v[0:1], v[2:3], v[0:1], v[8:9] op_sel_hi:[0,1,1]
	v_pk_fma_f32 v[0:1], v[4:5], v[10:11], v[0:1] op_sel_hi:[0,1,1]
	v_mov_b32_e32 v4, v5
	v_add_u32_e32 v5, 14, v12
	v_cvt_f32_f16_e32 v2, v7
	v_cvt_f32_f16_sdwa v3, v7 dst_sel:DWORD dst_unused:UNUSED_PAD src0_sel:WORD_1
	v_lshlrev_b32_e32 v6, 2, v5
	v_and_b32_e32 v5, 15, v5
	v_and_or_b32 v5, v6, s5, v5
	v_mad_u32_u24 v5, v5, s4, 0
	v_add_u32_e32 v8, v5, v14
	ds_read2st64_b32 v[6:7], v8 offset1:13
	v_pk_fma_f32 v[0:1], v[4:5], v[2:3], v[0:1] op_sel_hi:[0,1,1]
	global_store_dwordx2 v15, v[0:1], s[2:3]
	v_add_u32_e32 v4, 0xc0, v5
	ds_read2st64_b32 v[0:1], v4 offset1:13
	ds_read2st64_b32 v[4:5], v4 offset0:26 offset1:39
	ds_read2st64_b32 v[8:9], v8 offset0:26 offset1:39
	s_waitcnt lgkmcnt(3)
	v_cvt_f32_f16_e32 v2, v6
	v_cvt_f32_f16_sdwa v3, v6 dst_sel:DWORD dst_unused:UNUSED_PAD src0_sel:WORD_1
	v_cvt_f32_f16_e32 v6, v7
	v_cvt_f32_f16_sdwa v7, v7 dst_sel:DWORD dst_unused:UNUSED_PAD src0_sel:WORD_1
	s_waitcnt lgkmcnt(0)
	v_cvt_f32_f16_e32 v10, v8
	v_cvt_f32_f16_sdwa v11, v8 dst_sel:DWORD dst_unused:UNUSED_PAD src0_sel:WORD_1
	v_cvt_f32_f16_e32 v8, v9
	v_cvt_f32_f16_sdwa v9, v9 dst_sel:DWORD dst_unused:UNUSED_PAD src0_sel:WORD_1
	v_pk_fma_f32 v[2:3], v[0:1], v[2:3], 0 op_sel_hi:[0,1,0]
	v_mov_b32_e32 v0, v1
	v_pk_fma_f32 v[0:1], v[0:1], v[6:7], v[2:3] op_sel_hi:[0,1,1]
	v_pk_fma_f32 v[0:1], v[4:5], v[10:11], v[0:1] op_sel_hi:[0,1,1]
	v_mov_b32_e32 v2, v5
	v_add_u32_e32 v12, 0x1500, v13
	v_pk_fma_f32 v[0:1], v[2:3], v[8:9], v[0:1] op_sel_hi:[0,1,1]
	v_add_u32_e32 v14, v25, v37
	global_store_dwordx2 v12, v[0:1], s[2:3]
	v_lshlrev_b32_e32 v0, 2, v14
	v_and_b32_e32 v1, 15, v14
	v_and_or_b32 v0, v0, s5, v1
	v_mad_u32_u24 v2, v0, s4, 0
	v_lshlrev_b32_e32 v15, 2, v24
	v_add_u32_e32 v4, 0xc0, v2
	v_add_u32_e32 v2, v2, v15
	;; [unrolled: 1-line block ×3, first 2 shown]
	v_mul_u32_u24_e32 v8, 48, v14
	ds_read2st64_b32 v[0:1], v4 offset1:13
	ds_read2st64_b32 v[2:3], v6 offset1:13
	ds_read2st64_b32 v[4:5], v4 offset0:26 offset1:39
	ds_read2st64_b32 v[6:7], v6 offset0:26 offset1:39
	v_add_co_u32_e32 v8, vcc, v8, v24
	v_addc_co_u32_e64 v9, s[6:7], 0, 0, vcc
	v_lshlrev_b64 v[8:9], 3, v[8:9]
	s_waitcnt lgkmcnt(2)
	v_cvt_f32_f16_e32 v10, v2
	v_cvt_f32_f16_sdwa v11, v2 dst_sel:DWORD dst_unused:UNUSED_PAD src0_sel:WORD_1
	v_mov_b32_e32 v12, s3
	v_add_co_u32_e32 v8, vcc, s2, v8
	v_cvt_f32_f16_e32 v2, v3
	v_cvt_f32_f16_sdwa v3, v3 dst_sel:DWORD dst_unused:UNUSED_PAD src0_sel:WORD_1
	v_addc_co_u32_e32 v9, vcc, v12, v9, vcc
	s_waitcnt lgkmcnt(0)
	v_cvt_f32_f16_e32 v12, v6
	v_cvt_f32_f16_sdwa v13, v6 dst_sel:DWORD dst_unused:UNUSED_PAD src0_sel:WORD_1
	v_cvt_f32_f16_e32 v6, v7
	v_cvt_f32_f16_sdwa v7, v7 dst_sel:DWORD dst_unused:UNUSED_PAD src0_sel:WORD_1
	v_pk_fma_f32 v[10:11], v[0:1], v[10:11], 0 op_sel_hi:[0,1,0]
	v_mov_b32_e32 v0, v1
	v_pk_fma_f32 v[0:1], v[0:1], v[2:3], v[10:11] op_sel_hi:[0,1,1]
	v_pk_fma_f32 v[0:1], v[4:5], v[12:13], v[0:1] op_sel_hi:[0,1,1]
	v_mov_b32_e32 v2, v5
	v_pk_fma_f32 v[0:1], v[2:3], v[6:7], v[0:1] op_sel_hi:[0,1,1]
	global_store_dwordx2 v[8:9], v[0:1], off offset:256
	v_add_u32_e32 v0, 4, v14
	v_lshlrev_b32_e32 v1, 2, v0
	v_and_b32_e32 v0, 15, v0
	s_movk_i32 s5, 0x3fc0
	v_and_or_b32 v0, v1, s5, v0
	v_mad_u32_u24 v2, v0, s4, 0
	v_add_u32_e32 v4, 0xc0, v2
	v_add_u32_e32 v2, v2, v15
	v_mov_b32_e32 v0, 0xc0
	v_add_u32_e32 v6, 0x80, v2
	v_mad_u32_u24 v8, v14, 48, v0
	ds_read2st64_b32 v[0:1], v4 offset1:13
	ds_read2st64_b32 v[2:3], v6 offset1:13
	ds_read2st64_b32 v[4:5], v4 offset0:26 offset1:39
	ds_read2st64_b32 v[6:7], v6 offset0:26 offset1:39
	v_add_co_u32_e32 v8, vcc, v8, v24
	v_addc_co_u32_e64 v9, s[6:7], 0, 0, vcc
	v_lshlrev_b64 v[8:9], 3, v[8:9]
	s_waitcnt lgkmcnt(2)
	v_cvt_f32_f16_e32 v10, v2
	v_cvt_f32_f16_sdwa v11, v2 dst_sel:DWORD dst_unused:UNUSED_PAD src0_sel:WORD_1
	v_mov_b32_e32 v12, s3
	v_add_co_u32_e32 v8, vcc, s2, v8
	v_cvt_f32_f16_e32 v2, v3
	v_cvt_f32_f16_sdwa v3, v3 dst_sel:DWORD dst_unused:UNUSED_PAD src0_sel:WORD_1
	v_addc_co_u32_e32 v9, vcc, v12, v9, vcc
	s_waitcnt lgkmcnt(0)
	v_cvt_f32_f16_e32 v12, v6
	v_cvt_f32_f16_sdwa v13, v6 dst_sel:DWORD dst_unused:UNUSED_PAD src0_sel:WORD_1
	v_cvt_f32_f16_e32 v6, v7
	v_cvt_f32_f16_sdwa v7, v7 dst_sel:DWORD dst_unused:UNUSED_PAD src0_sel:WORD_1
	v_pk_fma_f32 v[10:11], v[0:1], v[10:11], 0 op_sel_hi:[0,1,0]
	v_mov_b32_e32 v0, v1
	v_pk_fma_f32 v[0:1], v[0:1], v[2:3], v[10:11] op_sel_hi:[0,1,1]
	v_pk_fma_f32 v[0:1], v[4:5], v[12:13], v[0:1] op_sel_hi:[0,1,1]
	v_mov_b32_e32 v2, v5
	v_pk_fma_f32 v[0:1], v[2:3], v[6:7], v[0:1] op_sel_hi:[0,1,1]
	global_store_dwordx2 v[8:9], v[0:1], off offset:256
	v_add_u32_e32 v0, 8, v14
	v_lshlrev_b32_e32 v1, 2, v0
	v_and_b32_e32 v0, 15, v0
	v_and_or_b32 v0, v1, s5, v0
	v_mad_u32_u24 v2, v0, s4, 0
	v_add_u32_e32 v4, 0xc0, v2
	v_add_u32_e32 v2, v2, v15
	v_mov_b32_e32 v0, 0x180
	v_add_u32_e32 v6, 0x80, v2
	v_mad_u32_u24 v8, v14, 48, v0
	ds_read2st64_b32 v[0:1], v4 offset1:13
	ds_read2st64_b32 v[2:3], v6 offset1:13
	ds_read2st64_b32 v[4:5], v4 offset0:26 offset1:39
	ds_read2st64_b32 v[6:7], v6 offset0:26 offset1:39
	v_add_co_u32_e32 v8, vcc, v8, v24
	v_addc_co_u32_e64 v9, s[6:7], 0, 0, vcc
	v_lshlrev_b64 v[8:9], 3, v[8:9]
	s_waitcnt lgkmcnt(2)
	v_cvt_f32_f16_e32 v10, v2
	v_cvt_f32_f16_sdwa v11, v2 dst_sel:DWORD dst_unused:UNUSED_PAD src0_sel:WORD_1
	v_mov_b32_e32 v12, s3
	v_add_co_u32_e32 v8, vcc, s2, v8
	v_cvt_f32_f16_e32 v2, v3
	v_cvt_f32_f16_sdwa v3, v3 dst_sel:DWORD dst_unused:UNUSED_PAD src0_sel:WORD_1
	v_addc_co_u32_e32 v9, vcc, v12, v9, vcc
	s_waitcnt lgkmcnt(0)
	v_cvt_f32_f16_e32 v12, v6
	v_cvt_f32_f16_sdwa v13, v6 dst_sel:DWORD dst_unused:UNUSED_PAD src0_sel:WORD_1
	v_cvt_f32_f16_e32 v6, v7
	v_cvt_f32_f16_sdwa v7, v7 dst_sel:DWORD dst_unused:UNUSED_PAD src0_sel:WORD_1
	v_pk_fma_f32 v[10:11], v[0:1], v[10:11], 0 op_sel_hi:[0,1,0]
	v_mov_b32_e32 v0, v1
	v_pk_fma_f32 v[0:1], v[0:1], v[2:3], v[10:11] op_sel_hi:[0,1,1]
	v_pk_fma_f32 v[0:1], v[4:5], v[12:13], v[0:1] op_sel_hi:[0,1,1]
	v_mov_b32_e32 v2, v5
	v_pk_fma_f32 v[0:1], v[2:3], v[6:7], v[0:1] op_sel_hi:[0,1,1]
	global_store_dwordx2 v[8:9], v[0:1], off offset:256
	v_add_u32_e32 v0, 12, v14
	v_lshlrev_b32_e32 v1, 2, v0
	v_and_b32_e32 v0, 15, v0
	v_and_or_b32 v0, v1, s5, v0
	v_mad_u32_u24 v2, v0, s4, 0
	v_add_u32_e32 v4, 0xc0, v2
	v_add_u32_e32 v2, v2, v15
	v_mov_b32_e32 v0, 0x240
	v_add_u32_e32 v6, 0x80, v2
	v_mad_u32_u24 v8, v14, 48, v0
	ds_read2st64_b32 v[0:1], v4 offset1:13
	ds_read2st64_b32 v[2:3], v6 offset1:13
	ds_read2st64_b32 v[4:5], v4 offset0:26 offset1:39
	ds_read2st64_b32 v[6:7], v6 offset0:26 offset1:39
	v_add_co_u32_e32 v8, vcc, v8, v24
	v_addc_co_u32_e64 v9, s[4:5], 0, 0, vcc
	v_lshlrev_b64 v[8:9], 3, v[8:9]
	s_waitcnt lgkmcnt(2)
	v_cvt_f32_f16_e32 v10, v2
	v_cvt_f32_f16_sdwa v11, v2 dst_sel:DWORD dst_unused:UNUSED_PAD src0_sel:WORD_1
	v_mov_b32_e32 v12, s3
	v_add_co_u32_e32 v8, vcc, s2, v8
	v_cvt_f32_f16_e32 v2, v3
	v_cvt_f32_f16_sdwa v3, v3 dst_sel:DWORD dst_unused:UNUSED_PAD src0_sel:WORD_1
	v_addc_co_u32_e32 v9, vcc, v12, v9, vcc
	s_waitcnt lgkmcnt(0)
	v_cvt_f32_f16_e32 v12, v6
	v_cvt_f32_f16_sdwa v13, v6 dst_sel:DWORD dst_unused:UNUSED_PAD src0_sel:WORD_1
	v_cvt_f32_f16_e32 v6, v7
	v_cvt_f32_f16_sdwa v7, v7 dst_sel:DWORD dst_unused:UNUSED_PAD src0_sel:WORD_1
	v_pk_fma_f32 v[10:11], v[0:1], v[10:11], 0 op_sel_hi:[0,1,0]
	v_mov_b32_e32 v0, v1
	v_pk_fma_f32 v[0:1], v[0:1], v[2:3], v[10:11] op_sel_hi:[0,1,1]
	v_pk_fma_f32 v[0:1], v[4:5], v[12:13], v[0:1] op_sel_hi:[0,1,1]
	v_mov_b32_e32 v2, v5
	v_pk_fma_f32 v[0:1], v[2:3], v[6:7], v[0:1] op_sel_hi:[0,1,1]
	global_store_dwordx2 v[8:9], v[0:1], off offset:256
.LBB14_211:
	s_or_b64 exec, exec, s[0:1]
	s_barrier
	s_endpgm
	.section	.rodata,"a",@progbits
	.p2align	6, 0x0
	.amdhsa_kernel _ZL18flash_attn_ext_f16ILi96ELi96ELi8ELi2ELb0ELb0EEvPKcS1_S1_S1_S1_PKiPfP15HIP_vector_typeIfLj2EEffffjfiS5_IjLj3EEiiiiiiiiiiiliiliiiiil
		.amdhsa_group_segment_fixed_size 0
		.amdhsa_private_segment_fixed_size 0
		.amdhsa_kernarg_size 464
		.amdhsa_user_sgpr_count 6
		.amdhsa_user_sgpr_private_segment_buffer 1
		.amdhsa_user_sgpr_dispatch_ptr 0
		.amdhsa_user_sgpr_queue_ptr 0
		.amdhsa_user_sgpr_kernarg_segment_ptr 1
		.amdhsa_user_sgpr_dispatch_id 0
		.amdhsa_user_sgpr_flat_scratch_init 0
		.amdhsa_user_sgpr_kernarg_preload_length 0
		.amdhsa_user_sgpr_kernarg_preload_offset 0
		.amdhsa_user_sgpr_private_segment_size 0
		.amdhsa_uses_dynamic_stack 0
		.amdhsa_system_sgpr_private_segment_wavefront_offset 0
		.amdhsa_system_sgpr_workgroup_id_x 1
		.amdhsa_system_sgpr_workgroup_id_y 0
		.amdhsa_system_sgpr_workgroup_id_z 0
		.amdhsa_system_sgpr_workgroup_info 0
		.amdhsa_system_vgpr_workitem_id 1
		.amdhsa_next_free_vgpr 178
		.amdhsa_next_free_sgpr 96
		.amdhsa_accum_offset 180
		.amdhsa_reserve_vcc 1
		.amdhsa_reserve_flat_scratch 0
		.amdhsa_float_round_mode_32 0
		.amdhsa_float_round_mode_16_64 0
		.amdhsa_float_denorm_mode_32 3
		.amdhsa_float_denorm_mode_16_64 3
		.amdhsa_dx10_clamp 1
		.amdhsa_ieee_mode 1
		.amdhsa_fp16_overflow 0
		.amdhsa_tg_split 0
		.amdhsa_exception_fp_ieee_invalid_op 0
		.amdhsa_exception_fp_denorm_src 0
		.amdhsa_exception_fp_ieee_div_zero 0
		.amdhsa_exception_fp_ieee_overflow 0
		.amdhsa_exception_fp_ieee_underflow 0
		.amdhsa_exception_fp_ieee_inexact 0
		.amdhsa_exception_int_div_zero 0
	.end_amdhsa_kernel
	.section	.text._ZL18flash_attn_ext_f16ILi96ELi96ELi8ELi2ELb0ELb0EEvPKcS1_S1_S1_S1_PKiPfP15HIP_vector_typeIfLj2EEffffjfiS5_IjLj3EEiiiiiiiiiiiliiliiiiil,"axG",@progbits,_ZL18flash_attn_ext_f16ILi96ELi96ELi8ELi2ELb0ELb0EEvPKcS1_S1_S1_S1_PKiPfP15HIP_vector_typeIfLj2EEffffjfiS5_IjLj3EEiiiiiiiiiiiliiliiiiil,comdat
.Lfunc_end14:
	.size	_ZL18flash_attn_ext_f16ILi96ELi96ELi8ELi2ELb0ELb0EEvPKcS1_S1_S1_S1_PKiPfP15HIP_vector_typeIfLj2EEffffjfiS5_IjLj3EEiiiiiiiiiiiliiliiiiil, .Lfunc_end14-_ZL18flash_attn_ext_f16ILi96ELi96ELi8ELi2ELb0ELb0EEvPKcS1_S1_S1_S1_PKiPfP15HIP_vector_typeIfLj2EEffffjfiS5_IjLj3EEiiiiiiiiiiiliiliiiiil
                                        ; -- End function
	.section	.AMDGPU.csdata,"",@progbits
; Kernel info:
; codeLenInByte = 32960
; NumSgprs: 100
; NumVgprs: 178
; NumAgprs: 0
; TotalNumVgprs: 178
; ScratchSize: 0
; MemoryBound: 0
; FloatMode: 240
; IeeeMode: 1
; LDSByteSize: 0 bytes/workgroup (compile time only)
; SGPRBlocks: 12
; VGPRBlocks: 22
; NumSGPRsForWavesPerEU: 100
; NumVGPRsForWavesPerEU: 178
; AccumOffset: 180
; Occupancy: 2
; WaveLimiterHint : 1
; COMPUTE_PGM_RSRC2:SCRATCH_EN: 0
; COMPUTE_PGM_RSRC2:USER_SGPR: 6
; COMPUTE_PGM_RSRC2:TRAP_HANDLER: 0
; COMPUTE_PGM_RSRC2:TGID_X_EN: 1
; COMPUTE_PGM_RSRC2:TGID_Y_EN: 0
; COMPUTE_PGM_RSRC2:TGID_Z_EN: 0
; COMPUTE_PGM_RSRC2:TIDIG_COMP_CNT: 1
; COMPUTE_PGM_RSRC3_GFX90A:ACCUM_OFFSET: 44
; COMPUTE_PGM_RSRC3_GFX90A:TG_SPLIT: 0
	.section	.text._ZL18flash_attn_ext_f16ILi96ELi96ELi8ELi2ELb1ELb0EEvPKcS1_S1_S1_S1_PKiPfP15HIP_vector_typeIfLj2EEffffjfiS5_IjLj3EEiiiiiiiiiiiliiliiiiil,"axG",@progbits,_ZL18flash_attn_ext_f16ILi96ELi96ELi8ELi2ELb1ELb0EEvPKcS1_S1_S1_S1_PKiPfP15HIP_vector_typeIfLj2EEffffjfiS5_IjLj3EEiiiiiiiiiiiliiliiiiil,comdat
	.globl	_ZL18flash_attn_ext_f16ILi96ELi96ELi8ELi2ELb1ELb0EEvPKcS1_S1_S1_S1_PKiPfP15HIP_vector_typeIfLj2EEffffjfiS5_IjLj3EEiiiiiiiiiiiliiliiiiil ; -- Begin function _ZL18flash_attn_ext_f16ILi96ELi96ELi8ELi2ELb1ELb0EEvPKcS1_S1_S1_S1_PKiPfP15HIP_vector_typeIfLj2EEffffjfiS5_IjLj3EEiiiiiiiiiiiliiliiiiil
	.p2align	8
	.type	_ZL18flash_attn_ext_f16ILi96ELi96ELi8ELi2ELb1ELb0EEvPKcS1_S1_S1_S1_PKiPfP15HIP_vector_typeIfLj2EEffffjfiS5_IjLj3EEiiiiiiiiiiiliiliiiiil,@function
_ZL18flash_attn_ext_f16ILi96ELi96ELi8ELi2ELb1ELb0EEvPKcS1_S1_S1_S1_PKiPfP15HIP_vector_typeIfLj2EEffffjfiS5_IjLj3EEiiiiiiiiiiiliiliiiiil: ; @_ZL18flash_attn_ext_f16ILi96ELi96ELi8ELi2ELb1ELb0EEvPKcS1_S1_S1_S1_PKiPfP15HIP_vector_typeIfLj2EEffffjfiS5_IjLj3EEiiiiiiiiiiiliiliiiiil
; %bb.0:
	s_add_u32 flat_scratch_lo, s6, s9
	s_addc_u32 flat_scratch_hi, s7, 0
	s_add_u32 s0, s0, s9
	s_addc_u32 s1, s1, 0
	s_add_u32 s8, s4, 0xd0
	s_addc_u32 s9, s5, 0
	s_mov_b32 s32, 0
	s_getpc_b64 s[4:5]
	s_add_u32 s4, s4, _ZL14no_device_codePKciS0_iS0_@rel32@lo+4
	s_addc_u32 s5, s5, _ZL14no_device_codePKciS0_iS0_@rel32@hi+12
	s_swappc_b64 s[30:31], s[4:5]
	.section	.rodata,"a",@progbits
	.p2align	6, 0x0
	.amdhsa_kernel _ZL18flash_attn_ext_f16ILi96ELi96ELi8ELi2ELb1ELb0EEvPKcS1_S1_S1_S1_PKiPfP15HIP_vector_typeIfLj2EEffffjfiS5_IjLj3EEiiiiiiiiiiiliiliiiiil
		.amdhsa_group_segment_fixed_size 0
		.amdhsa_private_segment_fixed_size 16
		.amdhsa_kernarg_size 464
		.amdhsa_user_sgpr_count 8
		.amdhsa_user_sgpr_private_segment_buffer 1
		.amdhsa_user_sgpr_dispatch_ptr 0
		.amdhsa_user_sgpr_queue_ptr 0
		.amdhsa_user_sgpr_kernarg_segment_ptr 1
		.amdhsa_user_sgpr_dispatch_id 0
		.amdhsa_user_sgpr_flat_scratch_init 1
		.amdhsa_user_sgpr_kernarg_preload_length 0
		.amdhsa_user_sgpr_kernarg_preload_offset 0
		.amdhsa_user_sgpr_private_segment_size 0
		.amdhsa_uses_dynamic_stack 0
		.amdhsa_system_sgpr_private_segment_wavefront_offset 1
		.amdhsa_system_sgpr_workgroup_id_x 1
		.amdhsa_system_sgpr_workgroup_id_y 0
		.amdhsa_system_sgpr_workgroup_id_z 0
		.amdhsa_system_sgpr_workgroup_info 0
		.amdhsa_system_vgpr_workitem_id 0
		.amdhsa_next_free_vgpr 39
		.amdhsa_next_free_sgpr 34
		.amdhsa_accum_offset 40
		.amdhsa_reserve_vcc 1
		.amdhsa_reserve_flat_scratch 1
		.amdhsa_float_round_mode_32 0
		.amdhsa_float_round_mode_16_64 0
		.amdhsa_float_denorm_mode_32 3
		.amdhsa_float_denorm_mode_16_64 3
		.amdhsa_dx10_clamp 1
		.amdhsa_ieee_mode 1
		.amdhsa_fp16_overflow 0
		.amdhsa_tg_split 0
		.amdhsa_exception_fp_ieee_invalid_op 0
		.amdhsa_exception_fp_denorm_src 0
		.amdhsa_exception_fp_ieee_div_zero 0
		.amdhsa_exception_fp_ieee_overflow 0
		.amdhsa_exception_fp_ieee_underflow 0
		.amdhsa_exception_fp_ieee_inexact 0
		.amdhsa_exception_int_div_zero 0
	.end_amdhsa_kernel
	.section	.text._ZL18flash_attn_ext_f16ILi96ELi96ELi8ELi2ELb1ELb0EEvPKcS1_S1_S1_S1_PKiPfP15HIP_vector_typeIfLj2EEffffjfiS5_IjLj3EEiiiiiiiiiiiliiliiiiil,"axG",@progbits,_ZL18flash_attn_ext_f16ILi96ELi96ELi8ELi2ELb1ELb0EEvPKcS1_S1_S1_S1_PKiPfP15HIP_vector_typeIfLj2EEffffjfiS5_IjLj3EEiiiiiiiiiiiliiliiiiil,comdat
.Lfunc_end15:
	.size	_ZL18flash_attn_ext_f16ILi96ELi96ELi8ELi2ELb1ELb0EEvPKcS1_S1_S1_S1_PKiPfP15HIP_vector_typeIfLj2EEffffjfiS5_IjLj3EEiiiiiiiiiiiliiliiiiil, .Lfunc_end15-_ZL18flash_attn_ext_f16ILi96ELi96ELi8ELi2ELb1ELb0EEvPKcS1_S1_S1_S1_PKiPfP15HIP_vector_typeIfLj2EEffffjfiS5_IjLj3EEiiiiiiiiiiiliiliiiiil
                                        ; -- End function
	.section	.AMDGPU.csdata,"",@progbits
; Kernel info:
; codeLenInByte = 56
; NumSgprs: 40
; NumVgprs: 39
; NumAgprs: 0
; TotalNumVgprs: 39
; ScratchSize: 16
; MemoryBound: 0
; FloatMode: 240
; IeeeMode: 1
; LDSByteSize: 0 bytes/workgroup (compile time only)
; SGPRBlocks: 4
; VGPRBlocks: 4
; NumSGPRsForWavesPerEU: 40
; NumVGPRsForWavesPerEU: 39
; AccumOffset: 40
; Occupancy: 8
; WaveLimiterHint : 1
; COMPUTE_PGM_RSRC2:SCRATCH_EN: 1
; COMPUTE_PGM_RSRC2:USER_SGPR: 8
; COMPUTE_PGM_RSRC2:TRAP_HANDLER: 0
; COMPUTE_PGM_RSRC2:TGID_X_EN: 1
; COMPUTE_PGM_RSRC2:TGID_Y_EN: 0
; COMPUTE_PGM_RSRC2:TGID_Z_EN: 0
; COMPUTE_PGM_RSRC2:TIDIG_COMP_CNT: 0
; COMPUTE_PGM_RSRC3_GFX90A:ACCUM_OFFSET: 9
; COMPUTE_PGM_RSRC3_GFX90A:TG_SPLIT: 0
	.section	.text._ZL33flash_attn_stream_k_fixup_uniformILi96ELi8ELi2EEvPfPK15HIP_vector_typeIfLj2EEiiiiiiS1_IjLj3EES5_S5_,"axG",@progbits,_ZL33flash_attn_stream_k_fixup_uniformILi96ELi8ELi2EEvPfPK15HIP_vector_typeIfLj2EEiiiiiiS1_IjLj3EES5_S5_,comdat
	.globl	_ZL33flash_attn_stream_k_fixup_uniformILi96ELi8ELi2EEvPfPK15HIP_vector_typeIfLj2EEiiiiiiS1_IjLj3EES5_S5_ ; -- Begin function _ZL33flash_attn_stream_k_fixup_uniformILi96ELi8ELi2EEvPfPK15HIP_vector_typeIfLj2EEiiiiiiS1_IjLj3EES5_S5_
	.p2align	8
	.type	_ZL33flash_attn_stream_k_fixup_uniformILi96ELi8ELi2EEvPfPK15HIP_vector_typeIfLj2EEiiiiiiS1_IjLj3EES5_S5_,@function
_ZL33flash_attn_stream_k_fixup_uniformILi96ELi8ELi2EEvPfPK15HIP_vector_typeIfLj2EEiiiiiiS1_IjLj3EES5_S5_: ; @_ZL33flash_attn_stream_k_fixup_uniformILi96ELi8ELi2EEvPfPK15HIP_vector_typeIfLj2EEiiiiiiS1_IjLj3EES5_S5_
; %bb.0:
	s_load_dwordx8 s[12:19], s[4:5], 0x1c
	s_load_dwordx2 s[10:11], s[4:5], 0x10
	s_load_dwordx4 s[0:3], s[4:5], 0x3c
	s_waitcnt lgkmcnt(0)
	s_mul_hi_u32 s9, s15, s6
	s_add_i32 s9, s6, s9
	s_lshr_b32 s9, s9, s16
	s_mul_i32 s15, s9, s17
	s_sub_i32 s16, s6, s15
	s_mul_hi_u32 s15, s16, s18
	s_add_i32 s15, s16, s15
	s_lshr_b32 s15, s15, s19
	s_mul_i32 s0, s15, s0
	s_sub_i32 s0, s16, s0
	;; [unrolled: 5-line block ×3, first 2 shown]
	s_lshl_b32 s0, s16, 3
	s_lshl_b32 s17, s1, 1
	s_add_i32 s0, s0, s7
	s_cmp_lt_i32 s0, s10
	s_cselect_b64 s[0:1], -1, 0
	s_add_i32 s17, s17, s8
	s_cmp_lt_i32 s17, s13
	s_cselect_b64 s[2:3], -1, 0
	s_and_b64 s[0:1], s[0:1], s[2:3]
	s_andn2_b64 vcc, exec, s[0:1]
	s_cbranch_vccnz .LBB16_6
; %bb.1:
	s_load_dwordx4 s[0:3], s[4:5], 0x0
	s_mul_i32 s4, s9, s10
	s_mul_i32 s15, s15, s13
	s_add_i32 s4, s4, s7
	s_mul_i32 s4, s4, s11
	s_add_i32 s9, s17, s15
	;; [unrolled: 2-line block ×3, first 2 shown]
	s_mulk_i32 s5, 0x300
	s_mulk_i32 s4, 0x60
	s_add_i32 s4, s4, s5
	v_add_u32_e32 v2, s4, v0
	v_ashrrev_i32_e32 v3, 31, v2
	v_lshlrev_b64 v[2:3], 2, v[2:3]
	s_waitcnt lgkmcnt(0)
	v_mov_b32_e32 v1, s1
	v_add_co_u32_e32 v2, vcc, s0, v2
	v_addc_co_u32_e32 v3, vcc, v1, v3, vcc
	global_load_dword v8, v[2:3], off
	s_mul_i32 s9, s6, s14
	s_lshl_b32 s4, s7, 1
	s_add_i32 s11, s9, s14
	s_add_i32 s0, s4, s8
	s_lshl_b32 s1, s11, 4
	s_add_i32 s0, s0, s1
	s_add_i32 s0, s0, -16
	s_ashr_i32 s1, s0, 31
	s_lshl_b64 s[0:1], s[0:1], 3
	s_add_u32 s0, s2, s0
	s_addc_u32 s1, s3, s1
	s_load_dword s5, s[0:1], 0x4
	s_add_i32 s10, s11, -2
	s_cmp_lt_i32 s10, s9
	s_cbranch_scc1 .LBB16_4
; %bb.2:
	s_lshl_b32 s16, s12, 6
	s_ashr_i32 s17, s16, 31
	s_lshl_b64 s[16:17], s[16:17], 2
	s_add_u32 s10, s2, s16
	s_addc_u32 s13, s3, s17
	s_add_i32 s6, s6, 1
	s_load_dword s0, s[0:1], 0x0
	s_mul_i32 s1, s14, s6
	s_lshl_b32 s6, s1, 4
	s_add_i32 s6, s8, s6
	s_lshl_b32 s12, s12, 4
	s_add_i32 s6, s6, s12
	s_add_i32 s6, s6, s4
	s_sub_i32 s4, s6, 32
	s_mulk_i32 s7, 0xc0
	s_mul_i32 s6, s8, 0x60
	s_mulk_i32 s1, 0x600
	s_add_i32 s6, s6, s7
	s_add_i32 s6, s6, s1
	v_add_u32_e32 v0, s6, v0
	s_add_i32 s11, s11, -1
	v_add_u32_e32 v0, 0xfffff400, v0
	s_waitcnt lgkmcnt(0)
	v_mov_b32_e32 v7, s5
	v_mov_b32_e32 v6, s0
	v_mov_b32_e32 v4, s13
	s_mov_b32 s6, 0x3fb8aa3b
	s_mov_b32 s7, 0xc2ce8ed0
	s_mov_b32 s8, 0x42b17218
	v_mov_b32_e32 v5, 0x7f800000
	s_mov_b32 s12, 0xc1a00000
.LBB16_3:                               ; =>This Inner Loop Header: Depth=1
	v_ashrrev_i32_e32 v1, 31, v0
	v_lshlrev_b64 v[10:11], 2, v[0:1]
	v_add_co_u32_e32 v10, vcc, s10, v10
	v_addc_co_u32_e32 v11, vcc, v4, v11, vcc
	global_load_dword v1, v[10:11], off
	s_ashr_i32 s5, s4, 31
	s_lshl_b64 s[0:1], s[4:5], 3
	s_add_u32 s0, s2, s0
	s_addc_u32 s1, s3, s1
	s_load_dwordx2 s[14:15], s[0:1], 0x0
	s_waitcnt vmcnt(1)
	v_mov_b32_e32 v9, v8
	v_max_f32_e32 v8, v6, v6
	v_mov_b32_e32 v10, v7
	s_add_i32 s11, s11, -1
	s_waitcnt lgkmcnt(0)
	v_max_f32_e64 v7, s14, s14
	v_max_f32_e32 v7, v8, v7
	v_sub_f32_e32 v11, s14, v7
	v_sub_f32_e32 v8, v6, v7
	v_mul_f32_e32 v12, 0x3fb8aa3b, v11
	v_mov_b32_e32 v6, v7
	v_mul_f32_e32 v7, 0x3fb8aa3b, v8
	v_fma_f32 v15, v11, s6, -v12
	v_rndne_f32_e32 v16, v12
	v_fma_f32 v13, v8, s6, -v7
	v_rndne_f32_e32 v14, v7
	v_fmac_f32_e32 v15, 0x32a5705f, v11
	v_sub_f32_e32 v12, v12, v16
	v_fmac_f32_e32 v13, 0x32a5705f, v8
	v_sub_f32_e32 v7, v7, v14
	v_add_f32_e32 v12, v12, v15
	v_cvt_i32_f32_e32 v16, v16
	v_add_f32_e32 v7, v7, v13
	v_exp_f32_e32 v12, v12
	v_cvt_i32_f32_e32 v14, v14
	v_exp_f32_e32 v7, v7
	v_cmp_ngt_f32_e32 vcc, s7, v11
	v_ldexp_f32 v12, v12, v16
	v_cmp_ngt_f32_e64 s[0:1], s7, v8
	v_ldexp_f32 v7, v7, v14
	v_cndmask_b32_e32 v12, 0, v12, vcc
	v_cmp_nlt_f32_e32 vcc, s8, v11
	v_cndmask_b32_e64 v7, 0, v7, s[0:1]
	v_cmp_nlt_f32_e64 s[0:1], s8, v8
	v_cndmask_b32_e32 v12, v5, v12, vcc
	v_cmp_le_f32_e32 vcc, s12, v11
	v_cndmask_b32_e64 v7, v5, v7, s[0:1]
	v_cmp_le_f32_e64 s[0:1], s12, v8
	v_cndmask_b32_e32 v8, 0, v12, vcc
	s_add_i32 s4, s4, -16
	v_cndmask_b32_e64 v11, 0, v7, s[0:1]
	v_mul_f32_e32 v7, s15, v8
	v_add_u32_e32 v0, 0xfffffa00, v0
	s_cmp_le_i32 s11, s9
	v_fmac_f32_e32 v7, v10, v11
	s_waitcnt vmcnt(0)
	v_mul_f32_e32 v8, v1, v8
	v_fmac_f32_e32 v8, v9, v11
	s_cbranch_scc0 .LBB16_3
	s_branch .LBB16_5
.LBB16_4:
	s_waitcnt lgkmcnt(0)
	v_mov_b32_e32 v7, s5
.LBB16_5:
	s_waitcnt vmcnt(0)
	v_div_scale_f32 v0, s[0:1], v7, v7, v8
	v_rcp_f32_e32 v1, v0
	v_div_scale_f32 v4, vcc, v8, v7, v8
	v_fma_f32 v5, -v0, v1, 1.0
	v_fmac_f32_e32 v1, v5, v1
	v_mul_f32_e32 v5, v4, v1
	v_fma_f32 v6, -v0, v5, v4
	v_fmac_f32_e32 v5, v6, v1
	v_fma_f32 v0, -v0, v5, v4
	v_div_fmas_f32 v0, v0, v1, v5
	v_div_fixup_f32 v0, v0, v7, v8
	global_store_dword v[2:3], v0, off
.LBB16_6:
	s_endpgm
	.section	.rodata,"a",@progbits
	.p2align	6, 0x0
	.amdhsa_kernel _ZL33flash_attn_stream_k_fixup_uniformILi96ELi8ELi2EEvPfPK15HIP_vector_typeIfLj2EEiiiiiiS1_IjLj3EES5_S5_
		.amdhsa_group_segment_fixed_size 0
		.amdhsa_private_segment_fixed_size 0
		.amdhsa_kernarg_size 76
		.amdhsa_user_sgpr_count 6
		.amdhsa_user_sgpr_private_segment_buffer 1
		.amdhsa_user_sgpr_dispatch_ptr 0
		.amdhsa_user_sgpr_queue_ptr 0
		.amdhsa_user_sgpr_kernarg_segment_ptr 1
		.amdhsa_user_sgpr_dispatch_id 0
		.amdhsa_user_sgpr_flat_scratch_init 0
		.amdhsa_user_sgpr_kernarg_preload_length 0
		.amdhsa_user_sgpr_kernarg_preload_offset 0
		.amdhsa_user_sgpr_private_segment_size 0
		.amdhsa_uses_dynamic_stack 0
		.amdhsa_system_sgpr_private_segment_wavefront_offset 0
		.amdhsa_system_sgpr_workgroup_id_x 1
		.amdhsa_system_sgpr_workgroup_id_y 1
		.amdhsa_system_sgpr_workgroup_id_z 1
		.amdhsa_system_sgpr_workgroup_info 0
		.amdhsa_system_vgpr_workitem_id 0
		.amdhsa_next_free_vgpr 17
		.amdhsa_next_free_sgpr 20
		.amdhsa_accum_offset 20
		.amdhsa_reserve_vcc 1
		.amdhsa_reserve_flat_scratch 0
		.amdhsa_float_round_mode_32 0
		.amdhsa_float_round_mode_16_64 0
		.amdhsa_float_denorm_mode_32 3
		.amdhsa_float_denorm_mode_16_64 3
		.amdhsa_dx10_clamp 1
		.amdhsa_ieee_mode 1
		.amdhsa_fp16_overflow 0
		.amdhsa_tg_split 0
		.amdhsa_exception_fp_ieee_invalid_op 0
		.amdhsa_exception_fp_denorm_src 0
		.amdhsa_exception_fp_ieee_div_zero 0
		.amdhsa_exception_fp_ieee_overflow 0
		.amdhsa_exception_fp_ieee_underflow 0
		.amdhsa_exception_fp_ieee_inexact 0
		.amdhsa_exception_int_div_zero 0
	.end_amdhsa_kernel
	.section	.text._ZL33flash_attn_stream_k_fixup_uniformILi96ELi8ELi2EEvPfPK15HIP_vector_typeIfLj2EEiiiiiiS1_IjLj3EES5_S5_,"axG",@progbits,_ZL33flash_attn_stream_k_fixup_uniformILi96ELi8ELi2EEvPfPK15HIP_vector_typeIfLj2EEiiiiiiS1_IjLj3EES5_S5_,comdat
.Lfunc_end16:
	.size	_ZL33flash_attn_stream_k_fixup_uniformILi96ELi8ELi2EEvPfPK15HIP_vector_typeIfLj2EEiiiiiiS1_IjLj3EES5_S5_, .Lfunc_end16-_ZL33flash_attn_stream_k_fixup_uniformILi96ELi8ELi2EEvPfPK15HIP_vector_typeIfLj2EEiiiiiiS1_IjLj3EES5_S5_
                                        ; -- End function
	.section	.AMDGPU.csdata,"",@progbits
; Kernel info:
; codeLenInByte = 856
; NumSgprs: 24
; NumVgprs: 17
; NumAgprs: 0
; TotalNumVgprs: 17
; ScratchSize: 0
; MemoryBound: 0
; FloatMode: 240
; IeeeMode: 1
; LDSByteSize: 0 bytes/workgroup (compile time only)
; SGPRBlocks: 2
; VGPRBlocks: 2
; NumSGPRsForWavesPerEU: 24
; NumVGPRsForWavesPerEU: 17
; AccumOffset: 20
; Occupancy: 8
; WaveLimiterHint : 0
; COMPUTE_PGM_RSRC2:SCRATCH_EN: 0
; COMPUTE_PGM_RSRC2:USER_SGPR: 6
; COMPUTE_PGM_RSRC2:TRAP_HANDLER: 0
; COMPUTE_PGM_RSRC2:TGID_X_EN: 1
; COMPUTE_PGM_RSRC2:TGID_Y_EN: 1
; COMPUTE_PGM_RSRC2:TGID_Z_EN: 1
; COMPUTE_PGM_RSRC2:TIDIG_COMP_CNT: 0
; COMPUTE_PGM_RSRC3_GFX90A:ACCUM_OFFSET: 4
; COMPUTE_PGM_RSRC3_GFX90A:TG_SPLIT: 0
	.section	.text._ZL33flash_attn_stream_k_fixup_generalILi96ELi8ELi2EEvPfPK15HIP_vector_typeIfLj2EEiiiiS1_IjLj3EES5_S5_S5_,"axG",@progbits,_ZL33flash_attn_stream_k_fixup_generalILi96ELi8ELi2EEvPfPK15HIP_vector_typeIfLj2EEiiiiS1_IjLj3EES5_S5_S5_,comdat
	.globl	_ZL33flash_attn_stream_k_fixup_generalILi96ELi8ELi2EEvPfPK15HIP_vector_typeIfLj2EEiiiiS1_IjLj3EES5_S5_S5_ ; -- Begin function _ZL33flash_attn_stream_k_fixup_generalILi96ELi8ELi2EEvPfPK15HIP_vector_typeIfLj2EEiiiiS1_IjLj3EES5_S5_S5_
	.p2align	8
	.type	_ZL33flash_attn_stream_k_fixup_generalILi96ELi8ELi2EEvPfPK15HIP_vector_typeIfLj2EEiiiiS1_IjLj3EES5_S5_S5_,@function
_ZL33flash_attn_stream_k_fixup_generalILi96ELi8ELi2EEvPfPK15HIP_vector_typeIfLj2EEiiiiS1_IjLj3EES5_S5_S5_: ; @_ZL33flash_attn_stream_k_fixup_generalILi96ELi8ELi2EEvPfPK15HIP_vector_typeIfLj2EEiiiiS1_IjLj3EES5_S5_S5_
; %bb.0:
	s_load_dwordx4 s[12:15], s[4:5], 0x10
	s_load_dword s9, s[4:5], 0x50
	s_mov_b32 s2, 0
	s_waitcnt lgkmcnt(0)
	s_mul_hi_i32 s3, s15, s6
	s_cmp_lg_u64 s[2:3], 0
	s_mul_i32 s2, s15, s6
	s_cbranch_scc0 .LBB17_21
; %bb.1:
	v_cvt_f32_u32_e32 v1, s9
	v_cvt_f32_ubyte0_e32 v2, 0
	s_sub_u32 s10, 0, s9
	s_subb_u32 s11, 0, 0
	v_madmk_f32 v1, v2, 0x4f800000, v1
	v_rcp_f32_e32 v1, v1
	v_mul_f32_e32 v1, 0x5f7ffffc, v1
	v_mul_f32_e32 v2, 0x2f800000, v1
	v_trunc_f32_e32 v2, v2
	v_madmk_f32 v1, v2, 0xcf800000, v1
	v_cvt_u32_f32_e32 v2, v2
	v_cvt_u32_f32_e32 v1, v1
	v_readfirstlane_b32 s16, v2
	v_readfirstlane_b32 s17, v1
	s_mul_i32 s18, s10, s16
	s_mul_hi_u32 s20, s10, s17
	s_mul_i32 s19, s11, s17
	s_add_i32 s18, s20, s18
	s_add_i32 s18, s18, s19
	s_mul_i32 s21, s10, s17
	s_mul_hi_u32 s19, s17, s18
	s_mul_i32 s20, s17, s18
	s_mul_hi_u32 s17, s17, s21
	s_add_u32 s17, s17, s20
	s_addc_u32 s19, 0, s19
	s_mul_hi_u32 s22, s16, s21
	s_mul_i32 s21, s16, s21
	s_add_u32 s17, s17, s21
	s_mul_hi_u32 s20, s16, s18
	s_addc_u32 s17, s19, s22
	s_addc_u32 s19, s20, 0
	s_mul_i32 s18, s16, s18
	s_add_u32 s17, s17, s18
	s_addc_u32 s18, 0, s19
	v_add_co_u32_e32 v1, vcc, s17, v1
	s_cmp_lg_u64 vcc, 0
	s_addc_u32 s16, s16, s18
	v_readfirstlane_b32 s18, v1
	s_mul_i32 s17, s10, s16
	s_mul_hi_u32 s19, s10, s18
	s_add_i32 s17, s19, s17
	s_mul_i32 s11, s11, s18
	s_add_i32 s17, s17, s11
	s_mul_i32 s10, s10, s18
	s_mul_hi_u32 s19, s16, s10
	s_mul_i32 s20, s16, s10
	s_mul_i32 s22, s18, s17
	s_mul_hi_u32 s10, s18, s10
	s_mul_hi_u32 s21, s18, s17
	s_add_u32 s10, s10, s22
	s_addc_u32 s18, 0, s21
	s_add_u32 s10, s10, s20
	s_mul_hi_u32 s11, s16, s17
	s_addc_u32 s10, s18, s19
	s_addc_u32 s11, s11, 0
	s_mul_i32 s17, s16, s17
	s_add_u32 s10, s10, s17
	s_addc_u32 s11, 0, s11
	v_add_co_u32_e32 v1, vcc, s10, v1
	s_cmp_lg_u64 vcc, 0
	s_addc_u32 s18, s16, s11
	s_ashr_i32 s10, s3, 31
	s_add_u32 s16, s2, s10
	s_mov_b32 s11, s10
	s_addc_u32 s17, s3, s10
	s_xor_b64 s[16:17], s[16:17], s[10:11]
	v_readfirstlane_b32 s20, v1
	s_mul_i32 s19, s16, s18
	s_mul_hi_u32 s21, s16, s20
	s_mul_hi_u32 s3, s16, s18
	s_add_u32 s19, s21, s19
	s_addc_u32 s3, 0, s3
	s_mul_hi_u32 s22, s17, s20
	s_mul_i32 s20, s17, s20
	s_add_u32 s19, s19, s20
	s_mul_hi_u32 s21, s17, s18
	s_addc_u32 s3, s3, s22
	s_addc_u32 s19, s21, 0
	s_mul_i32 s18, s17, s18
	s_add_u32 s3, s3, s18
	s_addc_u32 s18, 0, s19
	s_add_u32 s19, s3, 1
	s_addc_u32 s20, s18, 0
	s_add_u32 s21, s3, 2
	s_mul_i32 s23, s9, s18
	s_mul_hi_u32 s24, s9, s3
	s_addc_u32 s22, s18, 0
	s_add_i32 s24, s24, s23
	s_mul_i32 s23, s9, s3
	v_mov_b32_e32 v1, s23
	v_sub_co_u32_e32 v1, vcc, s16, v1
	s_cmp_lg_u64 vcc, 0
	s_subb_u32 s16, s17, s24
	v_subrev_co_u32_e32 v2, vcc, s9, v1
	s_cmp_lg_u64 vcc, 0
	s_subb_u32 s17, s16, 0
	v_readfirstlane_b32 s23, v2
	s_cmp_ge_u32 s23, s9
	s_cselect_b32 s23, -1, 0
	s_cmp_eq_u32 s17, 0
	s_cselect_b32 s17, s23, -1
	s_cmp_lg_u32 s17, 0
	s_cselect_b32 s17, s22, s20
	v_readfirstlane_b32 s20, v1
	s_cselect_b32 s19, s21, s19
	s_cmp_ge_u32 s20, s9
	s_cselect_b32 s20, -1, 0
	s_cmp_eq_u32 s16, 0
	s_cselect_b32 s16, s20, -1
	s_cmp_lg_u32 s16, 0
	s_cselect_b32 s17, s17, s18
	s_cselect_b32 s16, s19, s3
	s_xor_b64 s[16:17], s[16:17], s[10:11]
	s_sub_u32 s20, s16, s10
	s_load_dwordx4 s[16:19], s[4:5], 0x44
	s_cbranch_execnz .LBB17_3
.LBB17_2:
	v_cvt_f32_u32_e32 v1, s9
	s_sub_i32 s0, 0, s9
	v_rcp_iflag_f32_e32 v1, v1
	v_mul_f32_e32 v1, 0x4f7ffffe, v1
	v_cvt_u32_f32_e32 v1, v1
	v_readfirstlane_b32 s1, v1
	s_mul_i32 s0, s0, s1
	s_mul_hi_u32 s0, s1, s0
	s_add_i32 s1, s1, s0
	s_mul_hi_u32 s0, s2, s1
	s_mul_i32 s3, s0, s9
	s_sub_i32 s2, s2, s3
	s_add_i32 s1, s0, 1
	s_sub_i32 s3, s2, s9
	s_cmp_ge_u32 s2, s9
	s_cselect_b32 s0, s1, s0
	s_cselect_b32 s2, s3, s2
	s_add_i32 s1, s0, 1
	s_cmp_ge_u32 s2, s9
	s_cselect_b32 s20, s1, s0
.LBB17_3:
	s_add_i32 s0, s6, 1
	s_mul_hi_i32 s3, s15, s0
	s_mov_b32 s2, 0
	s_cmp_lg_u64 s[2:3], 0
	s_mul_i32 s2, s15, s0
	s_cbranch_scc0 .LBB17_22
; %bb.4:
	v_cvt_f32_u32_e32 v1, s9
	v_cvt_f32_ubyte0_e32 v2, 0
	s_sub_u32 s10, 0, s9
	s_subb_u32 s11, 0, 0
	v_madmk_f32 v1, v2, 0x4f800000, v1
	v_rcp_f32_e32 v1, v1
	v_mul_f32_e32 v1, 0x5f7ffffc, v1
	v_mul_f32_e32 v2, 0x2f800000, v1
	v_trunc_f32_e32 v2, v2
	v_madmk_f32 v1, v2, 0xcf800000, v1
	v_cvt_u32_f32_e32 v2, v2
	v_cvt_u32_f32_e32 v1, v1
	s_waitcnt lgkmcnt(0)
	v_readfirstlane_b32 s19, v2
	v_readfirstlane_b32 s21, v1
	s_mul_i32 s22, s10, s19
	s_mul_hi_u32 s24, s10, s21
	s_mul_i32 s23, s11, s21
	s_add_i32 s22, s24, s22
	s_add_i32 s22, s22, s23
	s_mul_i32 s25, s10, s21
	s_mul_hi_u32 s23, s21, s22
	s_mul_i32 s24, s21, s22
	s_mul_hi_u32 s21, s21, s25
	s_add_u32 s21, s21, s24
	s_addc_u32 s23, 0, s23
	s_mul_hi_u32 s26, s19, s25
	s_mul_i32 s25, s19, s25
	s_add_u32 s21, s21, s25
	s_mul_hi_u32 s24, s19, s22
	s_addc_u32 s21, s23, s26
	s_addc_u32 s23, s24, 0
	s_mul_i32 s22, s19, s22
	s_add_u32 s21, s21, s22
	s_addc_u32 s22, 0, s23
	v_add_co_u32_e32 v1, vcc, s21, v1
	s_cmp_lg_u64 vcc, 0
	s_addc_u32 s19, s19, s22
	v_readfirstlane_b32 s22, v1
	s_mul_i32 s21, s10, s19
	s_mul_hi_u32 s23, s10, s22
	s_add_i32 s21, s23, s21
	s_mul_i32 s11, s11, s22
	s_add_i32 s21, s21, s11
	s_mul_i32 s10, s10, s22
	s_mul_hi_u32 s23, s19, s10
	s_mul_i32 s24, s19, s10
	s_mul_i32 s26, s22, s21
	s_mul_hi_u32 s10, s22, s10
	s_mul_hi_u32 s25, s22, s21
	s_add_u32 s10, s10, s26
	s_addc_u32 s22, 0, s25
	s_add_u32 s10, s10, s24
	s_mul_hi_u32 s11, s19, s21
	s_addc_u32 s10, s22, s23
	s_addc_u32 s11, s11, 0
	s_mul_i32 s21, s19, s21
	s_add_u32 s10, s10, s21
	s_addc_u32 s11, 0, s11
	v_add_co_u32_e32 v1, vcc, s10, v1
	s_cmp_lg_u64 vcc, 0
	s_addc_u32 s19, s19, s11
	s_ashr_i32 s10, s3, 31
	s_add_u32 s22, s2, s10
	s_mov_b32 s11, s10
	s_addc_u32 s23, s3, s10
	s_xor_b64 s[22:23], s[22:23], s[10:11]
	v_readfirstlane_b32 s21, v1
	s_mul_i32 s11, s22, s19
	s_mul_hi_u32 s24, s22, s21
	s_mul_hi_u32 s3, s22, s19
	s_add_u32 s11, s24, s11
	s_addc_u32 s3, 0, s3
	s_mul_hi_u32 s25, s23, s21
	s_mul_i32 s21, s23, s21
	s_add_u32 s11, s11, s21
	s_mul_hi_u32 s24, s23, s19
	s_addc_u32 s3, s3, s25
	s_addc_u32 s11, s24, 0
	s_mul_i32 s19, s23, s19
	s_add_u32 s3, s3, s19
	s_addc_u32 s11, 0, s11
	s_mul_i32 s11, s9, s11
	s_mul_hi_u32 s24, s9, s3
	s_add_i32 s24, s24, s11
	s_mul_i32 s11, s9, s3
	v_mov_b32_e32 v1, s11
	s_add_u32 s19, s3, 1
	s_add_u32 s21, s3, 2
	v_sub_co_u32_e32 v1, vcc, s22, v1
	s_cmp_lg_u64 vcc, 0
	s_subb_u32 s11, s23, s24
	v_subrev_co_u32_e32 v2, vcc, s9, v1
	s_cmp_lg_u64 vcc, 0
	s_subb_u32 s22, s11, 0
	v_cmp_le_u32_e32 vcc, s9, v2
	s_cmp_eq_u32 s22, 0
	v_cndmask_b32_e64 v2, 0, -1, vcc
	s_cselect_b64 vcc, -1, 0
	v_cndmask_b32_e32 v2, -1, v2, vcc
	v_mov_b32_e32 v3, s19
	v_mov_b32_e32 v4, s21
	v_cmp_ne_u32_e32 vcc, 0, v2
	v_cndmask_b32_e32 v2, v3, v4, vcc
	v_cmp_le_u32_e32 vcc, s9, v1
	s_cmp_eq_u32 s11, 0
	v_cndmask_b32_e64 v1, 0, -1, vcc
	s_cselect_b64 vcc, -1, 0
	v_cndmask_b32_e32 v1, -1, v1, vcc
	v_mov_b32_e32 v3, s3
	v_cmp_ne_u32_e32 vcc, 0, v1
	v_cndmask_b32_e32 v1, v3, v2, vcc
	v_xor_b32_e32 v1, s10, v1
	v_subrev_co_u32_e32 v2, vcc, s10, v1
	s_cbranch_execnz .LBB17_6
.LBB17_5:
	v_cvt_f32_u32_e32 v1, s9
	s_sub_i32 s0, 0, s9
	s_mov_b32 s1, 0
	v_rcp_iflag_f32_e32 v1, v1
	v_mul_f32_e32 v1, 0x4f7ffffe, v1
	v_cvt_u32_f32_e32 v1, v1
	v_readfirstlane_b32 s3, v1
	s_mul_i32 s0, s0, s3
	s_mul_hi_u32 s0, s3, s0
	s_add_i32 s3, s3, s0
	s_mul_hi_u32 s0, s2, s3
	s_mul_i32 s10, s0, s9
	s_sub_i32 s2, s2, s10
	s_add_i32 s3, s0, 1
	s_sub_i32 s10, s2, s9
	s_cmp_ge_u32 s2, s9
	s_cselect_b32 s0, s3, s0
	s_cselect_b32 s2, s10, s2
	s_add_i32 s3, s0, 1
	s_cmp_ge_u32 s2, s9
	s_cselect_b32 s0, s3, s0
	v_pk_mov_b32 v[2:3], s[0:1], s[0:1] op_sel:[0,1]
.LBB17_6:
	s_waitcnt lgkmcnt(0)
	s_mul_hi_u32 s0, s20, s16
	s_add_i32 s0, s0, s20
	v_mul_hi_u32 v1, v2, s16
	s_lshr_b32 s19, s0, s17
	v_add_u32_e32 v1, v1, v2
	s_mul_i32 s0, s19, s18
	v_lshrrev_b32_e32 v1, s17, v1
	s_cmp_eq_u32 s0, s20
	v_cmp_eq_u32_e64 s[0:1], s19, v1
	v_mul_lo_u32 v1, v1, s18
	v_cmp_eq_u32_e32 vcc, s20, v2
	s_cselect_b64 s[10:11], -1, 0
	v_cmp_ne_u32_e64 s[2:3], v1, v2
	s_and_b64 s[0:1], s[0:1], s[2:3]
	s_or_b64 s[2:3], vcc, s[10:11]
	s_or_b64 s[0:1], s[2:3], s[0:1]
	s_and_b64 vcc, exec, s[0:1]
	s_cbranch_vccnz .LBB17_24
; %bb.7:
	s_load_dwordx8 s[24:31], s[4:5], 0x20
	s_load_dword s0, s[4:5], 0x40
	s_mov_b32 s10, 0
	s_waitcnt lgkmcnt(0)
	s_mul_hi_u32 s1, s20, s24
	s_add_i32 s1, s1, s20
	s_lshr_b32 s11, s1, s25
	s_mul_i32 s1, s11, s26
	s_sub_i32 s1, s20, s1
	s_mul_hi_u32 s2, s1, s27
	s_add_i32 s2, s1, s2
	s_lshr_b32 s23, s2, s28
	s_mul_i32 s2, s23, s29
	s_sub_i32 s1, s1, s2
	;; [unrolled: 5-line block ×3, first 2 shown]
	s_mul_hi_u32 s1, s0, s16
	s_add_i32 s0, s0, s1
	s_lshr_b32 s24, s0, s17
	s_lshl_b32 s0, s24, 3
	s_lshl_b32 s25, s2, 1
	s_add_i32 s0, s0, s7
	s_cmp_lt_i32 s0, s12
	s_cselect_b64 s[0:1], -1, 0
	s_add_i32 s25, s25, s8
	s_cmp_lt_i32 s25, s14
	s_cselect_b64 s[2:3], -1, 0
	s_and_b64 s[0:1], s[0:1], s[2:3]
	s_andn2_b64 vcc, exec, s[0:1]
	s_cbranch_vccnz .LBB17_24
; %bb.8:
	s_load_dwordx4 s[0:3], s[4:5], 0x0
	s_lshl_b32 s4, s7, 1
	s_add_i32 s8, s4, s8
	s_lshl_b32 s4, s9, 6
	s_mov_b32 s5, s10
	s_lshl_b64 s[4:5], s[4:5], 2
	s_waitcnt lgkmcnt(0)
	s_add_u32 s21, s2, s4
	s_mul_i32 s4, s11, s12
	s_addc_u32 s22, s3, s5
	s_mul_i32 s23, s23, s14
	s_add_i32 s4, s4, s7
	s_mul_i32 s4, s4, s13
	s_add_i32 s7, s25, s23
	;; [unrolled: 2-line block ×3, first 2 shown]
	s_mulk_i32 s5, 0x300
	s_mulk_i32 s4, 0x60
	s_add_i32 s5, s5, s4
	v_add_u32_e32 v2, s5, v0
	v_ashrrev_i32_e32 v3, 31, v2
	v_lshlrev_b64 v[2:3], 2, v[2:3]
	v_mov_b32_e32 v1, s1
	v_add_co_u32_e32 v2, vcc, s0, v2
	v_addc_co_u32_e32 v3, vcc, v1, v3, vcc
	global_load_dword v5, v[2:3], off
	s_mul_i32 s4, s8, 0x60
	v_add_u32_e32 v4, s4, v0
	v_cvt_f32_u32_e32 v0, s9
	v_cvt_f32_ubyte0_e32 v1, 0
	s_lshl_b32 s0, s6, 4
	s_add_i32 s0, s8, s0
	v_mac_f32_e32 v0, 0x4f800000, v1
	v_rcp_f32_e32 v0, v0
	v_cvt_f32_u32_e32 v1, s9
	s_ashr_i32 s1, s0, 31
	s_lshl_b64 s[0:1], s[0:1], 3
	v_mul_f32_e32 v0, 0x5f7ffffc, v0
	v_rcp_iflag_f32_e32 v1, v1
	s_add_u32 s0, s2, s0
	v_mul_f32_e32 v9, 0x2f800000, v0
	s_addc_u32 s1, s3, s1
	v_trunc_f32_e32 v10, v9
	s_load_dwordx2 s[0:1], s[0:1], 0x0
	v_mac_f32_e32 v0, 0xcf800000, v10
	v_cvt_u32_f32_e32 v9, v0
	v_mul_f32_e32 v0, 0x4f7ffffe, v1
	v_cvt_u32_f32_e32 v10, v10
	v_cvt_u32_f32_e32 v11, v0
	s_add_i32 s12, s6, -1
	s_waitcnt lgkmcnt(0)
	v_mov_b32_e32 v6, s1
	v_mov_b32_e32 v7, s0
	;; [unrolled: 1-line block ×3, first 2 shown]
	s_mov_b32 s6, 0x3fb8aa3b
	s_mov_b32 s7, 0xc2ce8ed0
	;; [unrolled: 1-line block ×4, first 2 shown]
	v_mov_b32_e32 v12, 0x7f800000
	s_mul_hi_i32 s11, s12, s15
	s_cmp_lg_u64 s[10:11], 0
	s_mul_i32 s4, s12, s15
	s_cbranch_scc0 .LBB17_15
.LBB17_9:
	s_sub_u32 s0, 0, s9
	v_readfirstlane_b32 s5, v9
	v_readfirstlane_b32 s24, v10
	s_subb_u32 s1, 0, 0
	s_mul_hi_u32 s23, s0, s5
	s_mul_i32 s25, s0, s24
	s_mul_i32 s20, s1, s5
	s_add_i32 s23, s23, s25
	s_add_i32 s23, s23, s20
	s_mul_i32 s26, s0, s5
	s_mul_hi_u32 s20, s5, s23
	s_mul_i32 s25, s5, s23
	s_mul_hi_u32 s5, s5, s26
	s_add_u32 s5, s5, s25
	s_addc_u32 s20, 0, s20
	s_mul_hi_u32 s27, s24, s26
	s_mul_i32 s26, s24, s26
	s_add_u32 s5, s5, s26
	s_mul_hi_u32 s25, s24, s23
	s_addc_u32 s5, s20, s27
	s_addc_u32 s20, s25, 0
	s_mul_i32 s23, s24, s23
	s_add_u32 s5, s5, s23
	s_addc_u32 s20, 0, s20
	v_add_co_u32_e32 v0, vcc, s5, v9
	s_cmp_lg_u64 vcc, 0
	s_addc_u32 s5, s24, s20
	v_readfirstlane_b32 s23, v0
	s_mul_i32 s20, s0, s5
	s_mul_hi_u32 s24, s0, s23
	s_add_i32 s20, s24, s20
	s_mul_i32 s1, s1, s23
	s_add_i32 s20, s20, s1
	s_mul_i32 s0, s0, s23
	s_mul_hi_u32 s24, s5, s0
	s_mul_i32 s25, s5, s0
	s_mul_i32 s27, s23, s20
	s_mul_hi_u32 s0, s23, s0
	s_mul_hi_u32 s26, s23, s20
	s_add_u32 s0, s0, s27
	s_addc_u32 s23, 0, s26
	s_add_u32 s0, s0, s25
	s_mul_hi_u32 s1, s5, s20
	s_addc_u32 s0, s23, s24
	s_addc_u32 s1, s1, 0
	s_mul_i32 s20, s5, s20
	s_add_u32 s0, s0, s20
	s_addc_u32 s1, 0, s1
	v_add_co_u32_e32 v0, vcc, s0, v0
	s_cmp_lg_u64 vcc, 0
	s_addc_u32 s5, s5, s1
	s_ashr_i32 s0, s11, 31
	s_add_u32 s24, s4, s0
	s_mov_b32 s1, s0
	s_addc_u32 s25, s11, s0
	s_xor_b64 s[24:25], s[24:25], s[0:1]
	v_readfirstlane_b32 s20, v0
	s_mul_i32 s11, s24, s5
	s_mul_hi_u32 s23, s24, s20
	s_mul_hi_u32 s1, s24, s5
	s_add_u32 s11, s23, s11
	s_addc_u32 s1, 0, s1
	s_mul_hi_u32 s26, s25, s20
	s_mul_i32 s20, s25, s20
	s_add_u32 s11, s11, s20
	s_mul_hi_u32 s23, s25, s5
	s_addc_u32 s1, s1, s26
	s_addc_u32 s11, s23, 0
	s_mul_i32 s5, s25, s5
	s_add_u32 s1, s1, s5
	s_addc_u32 s5, 0, s11
	s_mul_i32 s5, s9, s5
	s_mul_hi_u32 s23, s9, s1
	s_add_i32 s23, s23, s5
	s_mul_i32 s5, s9, s1
	v_mov_b32_e32 v0, s5
	s_add_u32 s11, s1, 1
	s_add_u32 s20, s1, 2
	v_sub_co_u32_e32 v0, vcc, s24, v0
	s_cmp_lg_u64 vcc, 0
	s_subb_u32 s5, s25, s23
	v_subrev_co_u32_e32 v1, vcc, s9, v0
	s_cmp_lg_u64 vcc, 0
	s_subb_u32 s23, s5, 0
	v_cmp_le_u32_e32 vcc, s9, v1
	s_cmp_eq_u32 s23, 0
	v_cndmask_b32_e64 v1, 0, -1, vcc
	s_cselect_b64 vcc, -1, 0
	v_cndmask_b32_e32 v1, -1, v1, vcc
	v_mov_b32_e32 v13, s11
	v_mov_b32_e32 v14, s20
	v_cmp_ne_u32_e32 vcc, 0, v1
	v_cndmask_b32_e32 v1, v13, v14, vcc
	v_cmp_le_u32_e32 vcc, s9, v0
	s_cmp_eq_u32 s5, 0
	v_cndmask_b32_e64 v0, 0, -1, vcc
	s_cselect_b64 vcc, -1, 0
	v_cndmask_b32_e32 v0, -1, v0, vcc
	v_mov_b32_e32 v13, s1
	v_cmp_ne_u32_e32 vcc, 0, v0
	v_cndmask_b32_e32 v0, v13, v1, vcc
	v_xor_b32_e32 v0, s0, v0
	v_subrev_co_u32_e32 v0, vcc, s0, v0
	s_cbranch_execnz .LBB17_11
.LBB17_10:
	s_sub_i32 s0, 0, s9
	v_mul_lo_u32 v0, s0, v11
	v_mul_hi_u32 v0, v11, v0
	v_add_u32_e32 v0, v11, v0
	v_mul_hi_u32 v0, s4, v0
	v_mul_lo_u32 v13, v0, s9
	v_sub_u32_e32 v13, s4, v13
	v_add_u32_e32 v1, 1, v0
	v_subrev_u32_e32 v14, s9, v13
	v_cmp_le_u32_e32 vcc, s9, v13
	v_cndmask_b32_e32 v13, v13, v14, vcc
	v_cndmask_b32_e32 v0, v0, v1, vcc
	v_add_u32_e32 v1, 1, v0
	v_cmp_le_u32_e32 vcc, s9, v13
	v_cndmask_b32_e32 v0, v0, v1, vcc
.LBB17_11:
	v_cmp_ne_u32_e32 vcc, v8, v0
	s_cbranch_vccz .LBB17_14
; %bb.12:
	s_add_i32 s0, s12, s9
	s_lshl_b32 s0, s0, 4
	v_mul_hi_u32 v1, v0, s16
	s_add_i32 s0, s0, s8
	s_mov_b32 s1, s10
	v_add_u32_e32 v1, v1, v0
	s_lshl_b64 s[0:1], s[0:1], 3
	v_lshrrev_b32_e32 v1, s17, v1
	s_add_u32 s4, s2, s0
	v_mul_lo_u32 v13, v1, s18
	s_addc_u32 s5, s3, s1
	v_cmp_eq_u32_e32 vcc, v13, v0
	v_cmp_gt_u32_e64 s[0:1], s19, v1
	s_or_b64 s[0:1], s[0:1], vcc
	s_and_b64 vcc, exec, s[0:1]
	s_cbranch_vccnz .LBB17_16
; %bb.13:
	s_add_i32 s11, s12, -1
	s_mov_b64 s[0:1], 0
	s_branch .LBB17_17
.LBB17_14:
                                        ; implicit-def: $sgpr0_sgpr1
                                        ; implicit-def: $vgpr14
                                        ; implicit-def: $vgpr1
                                        ; implicit-def: $vgpr13
                                        ; implicit-def: $sgpr11
                                        ; implicit-def: $vgpr0
	s_branch .LBB17_18
.LBB17_15:
                                        ; implicit-def: $vgpr0_vgpr1
	s_branch .LBB17_10
.LBB17_16:
	s_mov_b64 s[0:1], -1
	s_mov_b32 s11, s12
	v_mov_b32_e32 v0, v8
.LBB17_17:
	s_mul_i32 s20, s12, 0x600
	v_add_u32_e32 v14, s20, v4
	v_ashrrev_i32_e32 v15, 31, v14
	v_lshlrev_b64 v[14:15], 2, v[14:15]
	v_mov_b32_e32 v1, s22
	v_add_co_u32_e32 v14, vcc, s21, v14
	v_addc_co_u32_e32 v15, vcc, v1, v15, vcc
	global_load_dword v14, v[14:15], off
	s_load_dwordx2 s[4:5], s[4:5], 0x0
	v_max_f32_e32 v1, v7, v7
	s_waitcnt lgkmcnt(0)
	v_max_f32_e64 v13, s4, s4
	v_max_f32_e32 v1, v1, v13
	v_sub_f32_e32 v13, v7, v1
	v_sub_f32_e32 v15, s4, v1
	v_mul_f32_e32 v16, 0x3fb8aa3b, v13
	v_mul_f32_e32 v17, 0x3fb8aa3b, v15
	v_fma_f32 v18, v13, s6, -v16
	v_rndne_f32_e32 v19, v16
	v_fma_f32 v20, v15, s6, -v17
	v_rndne_f32_e32 v21, v17
	v_fmac_f32_e32 v18, 0x32a5705f, v13
	v_sub_f32_e32 v16, v16, v19
	v_fmac_f32_e32 v20, 0x32a5705f, v15
	v_sub_f32_e32 v17, v17, v21
	v_add_f32_e32 v16, v16, v18
	v_cvt_i32_f32_e32 v19, v19
	v_add_f32_e32 v17, v17, v20
	v_exp_f32_e32 v16, v16
	v_cvt_i32_f32_e32 v21, v21
	v_exp_f32_e32 v17, v17
	v_cmp_ngt_f32_e32 vcc, s7, v13
	v_ldexp_f32 v16, v16, v19
	v_cndmask_b32_e32 v16, 0, v16, vcc
	v_ldexp_f32 v17, v17, v21
	v_cmp_ngt_f32_e32 vcc, s7, v15
	v_cndmask_b32_e32 v17, 0, v17, vcc
	v_cmp_nlt_f32_e32 vcc, s13, v13
	v_cndmask_b32_e32 v16, v12, v16, vcc
	v_cmp_nlt_f32_e32 vcc, s13, v15
	v_cndmask_b32_e32 v17, v12, v17, vcc
	v_cmp_le_f32_e32 vcc, s14, v13
	v_cndmask_b32_e32 v16, 0, v16, vcc
	v_cmp_le_f32_e32 vcc, s14, v15
	v_cndmask_b32_e32 v15, 0, v17, vcc
	v_mul_f32_e32 v13, s5, v15
	v_fmac_f32_e32 v13, v6, v16
	s_waitcnt vmcnt(0)
	v_mul_f32_e32 v14, v14, v15
	v_fmac_f32_e32 v14, v5, v16
	s_cbranch_execnz .LBB17_19
.LBB17_18:
	s_add_i32 s11, s12, -1
	s_mov_b64 s[0:1], 0
	v_mov_b32_e32 v0, v8
	v_mov_b32_e32 v13, v6
	;; [unrolled: 1-line block ×3, first 2 shown]
	s_waitcnt vmcnt(0)
	v_mov_b32_e32 v14, v5
.LBB17_19:
	s_andn2_b64 vcc, exec, s[0:1]
	s_cbranch_vccz .LBB17_23
; %bb.20:
	v_mov_b32_e32 v8, v0
	s_mov_b32 s12, s11
	v_mov_b32_e32 v6, v13
	v_mov_b32_e32 v7, v1
	s_waitcnt vmcnt(0)
	v_mov_b32_e32 v5, v14
	s_mul_hi_i32 s11, s12, s15
	s_cmp_lg_u64 s[10:11], 0
	s_mul_i32 s4, s12, s15
	s_cbranch_scc1 .LBB17_9
	s_branch .LBB17_15
.LBB17_21:
                                        ; implicit-def: $sgpr20_sgpr21
	s_load_dwordx4 s[16:19], s[4:5], 0x44
	s_branch .LBB17_2
.LBB17_22:
                                        ; implicit-def: $vgpr2_vgpr3
	s_branch .LBB17_5
.LBB17_23:
	v_div_scale_f32 v0, s[0:1], v13, v13, v14
	v_rcp_f32_e32 v1, v0
	v_div_scale_f32 v4, vcc, v14, v13, v14
	s_waitcnt vmcnt(0)
	v_fma_f32 v5, -v0, v1, 1.0
	v_fmac_f32_e32 v1, v5, v1
	v_mul_f32_e32 v5, v4, v1
	v_fma_f32 v6, -v0, v5, v4
	v_fmac_f32_e32 v5, v6, v1
	v_fma_f32 v0, -v0, v5, v4
	v_div_fmas_f32 v0, v0, v1, v5
	v_div_fixup_f32 v0, v0, v13, v14
	global_store_dword v[2:3], v0, off
.LBB17_24:
	s_endpgm
	.section	.rodata,"a",@progbits
	.p2align	6, 0x0
	.amdhsa_kernel _ZL33flash_attn_stream_k_fixup_generalILi96ELi8ELi2EEvPfPK15HIP_vector_typeIfLj2EEiiiiS1_IjLj3EES5_S5_S5_
		.amdhsa_group_segment_fixed_size 0
		.amdhsa_private_segment_fixed_size 0
		.amdhsa_kernarg_size 336
		.amdhsa_user_sgpr_count 6
		.amdhsa_user_sgpr_private_segment_buffer 1
		.amdhsa_user_sgpr_dispatch_ptr 0
		.amdhsa_user_sgpr_queue_ptr 0
		.amdhsa_user_sgpr_kernarg_segment_ptr 1
		.amdhsa_user_sgpr_dispatch_id 0
		.amdhsa_user_sgpr_flat_scratch_init 0
		.amdhsa_user_sgpr_kernarg_preload_length 0
		.amdhsa_user_sgpr_kernarg_preload_offset 0
		.amdhsa_user_sgpr_private_segment_size 0
		.amdhsa_uses_dynamic_stack 0
		.amdhsa_system_sgpr_private_segment_wavefront_offset 0
		.amdhsa_system_sgpr_workgroup_id_x 1
		.amdhsa_system_sgpr_workgroup_id_y 1
		.amdhsa_system_sgpr_workgroup_id_z 1
		.amdhsa_system_sgpr_workgroup_info 0
		.amdhsa_system_vgpr_workitem_id 0
		.amdhsa_next_free_vgpr 22
		.amdhsa_next_free_sgpr 32
		.amdhsa_accum_offset 24
		.amdhsa_reserve_vcc 1
		.amdhsa_reserve_flat_scratch 0
		.amdhsa_float_round_mode_32 0
		.amdhsa_float_round_mode_16_64 0
		.amdhsa_float_denorm_mode_32 3
		.amdhsa_float_denorm_mode_16_64 3
		.amdhsa_dx10_clamp 1
		.amdhsa_ieee_mode 1
		.amdhsa_fp16_overflow 0
		.amdhsa_tg_split 0
		.amdhsa_exception_fp_ieee_invalid_op 0
		.amdhsa_exception_fp_denorm_src 0
		.amdhsa_exception_fp_ieee_div_zero 0
		.amdhsa_exception_fp_ieee_overflow 0
		.amdhsa_exception_fp_ieee_underflow 0
		.amdhsa_exception_fp_ieee_inexact 0
		.amdhsa_exception_int_div_zero 0
	.end_amdhsa_kernel
	.section	.text._ZL33flash_attn_stream_k_fixup_generalILi96ELi8ELi2EEvPfPK15HIP_vector_typeIfLj2EEiiiiS1_IjLj3EES5_S5_S5_,"axG",@progbits,_ZL33flash_attn_stream_k_fixup_generalILi96ELi8ELi2EEvPfPK15HIP_vector_typeIfLj2EEiiiiS1_IjLj3EES5_S5_S5_,comdat
.Lfunc_end17:
	.size	_ZL33flash_attn_stream_k_fixup_generalILi96ELi8ELi2EEvPfPK15HIP_vector_typeIfLj2EEiiiiS1_IjLj3EES5_S5_S5_, .Lfunc_end17-_ZL33flash_attn_stream_k_fixup_generalILi96ELi8ELi2EEvPfPK15HIP_vector_typeIfLj2EEiiiiS1_IjLj3EES5_S5_S5_
                                        ; -- End function
	.section	.AMDGPU.csdata,"",@progbits
; Kernel info:
; codeLenInByte = 2828
; NumSgprs: 36
; NumVgprs: 22
; NumAgprs: 0
; TotalNumVgprs: 22
; ScratchSize: 0
; MemoryBound: 0
; FloatMode: 240
; IeeeMode: 1
; LDSByteSize: 0 bytes/workgroup (compile time only)
; SGPRBlocks: 4
; VGPRBlocks: 2
; NumSGPRsForWavesPerEU: 36
; NumVGPRsForWavesPerEU: 22
; AccumOffset: 24
; Occupancy: 8
; WaveLimiterHint : 0
; COMPUTE_PGM_RSRC2:SCRATCH_EN: 0
; COMPUTE_PGM_RSRC2:USER_SGPR: 6
; COMPUTE_PGM_RSRC2:TRAP_HANDLER: 0
; COMPUTE_PGM_RSRC2:TGID_X_EN: 1
; COMPUTE_PGM_RSRC2:TGID_Y_EN: 1
; COMPUTE_PGM_RSRC2:TGID_Z_EN: 1
; COMPUTE_PGM_RSRC2:TIDIG_COMP_CNT: 0
; COMPUTE_PGM_RSRC3_GFX90A:ACCUM_OFFSET: 5
; COMPUTE_PGM_RSRC3_GFX90A:TG_SPLIT: 0
	.section	.text._ZL26flash_attn_combine_resultsILi96EEvPKfPK15HIP_vector_typeIfLj2EEPfi,"axG",@progbits,_ZL26flash_attn_combine_resultsILi96EEvPKfPK15HIP_vector_typeIfLj2EEPfi,comdat
	.globl	_ZL26flash_attn_combine_resultsILi96EEvPKfPK15HIP_vector_typeIfLj2EEPfi ; -- Begin function _ZL26flash_attn_combine_resultsILi96EEvPKfPK15HIP_vector_typeIfLj2EEPfi
	.p2align	8
	.type	_ZL26flash_attn_combine_resultsILi96EEvPKfPK15HIP_vector_typeIfLj2EEPfi,@function
_ZL26flash_attn_combine_resultsILi96EEvPKfPK15HIP_vector_typeIfLj2EEPfi: ; @_ZL26flash_attn_combine_resultsILi96EEvPKfPK15HIP_vector_typeIfLj2EEPfi
; %bb.0:
	s_load_dwordx2 s[0:1], s[4:5], 0x20
	s_load_dword s21, s[4:5], 0x18
	s_load_dwordx4 s[16:19], s[4:5], 0x0
	s_load_dwordx2 s[14:15], s[4:5], 0x10
	s_waitcnt lgkmcnt(0)
	s_mul_i32 s0, s0, s8
	s_add_i32 s0, s0, s6
	s_mul_i32 s20, s0, s1
	s_add_i32 s20, s20, s7
	s_lshl_b32 s10, s21, 1
	s_mul_i32 s0, s20, s21
	v_cmp_gt_i32_e32 vcc, s10, v0
	s_and_saveexec_b64 s[2:3], vcc
	s_cbranch_execz .LBB18_13
; %bb.1:
	v_xad_u32 v1, v0, -1, s10
	s_movk_i32 s4, 0x5f
	s_ashr_i32 s1, s0, 31
	v_cmp_lt_u32_e32 vcc, s4, v1
	s_mov_b64 s[6:7], -1
	v_mov_b32_e32 v2, v0
	s_and_saveexec_b64 s[4:5], vcc
	s_cbranch_execz .LBB18_10
; %bb.2:
	s_mov_b32 s6, 0xaaaaaaab
	v_mul_hi_u32 v1, v1, s6
	v_lshrrev_b32_e32 v6, 6, v1
	s_lshl_b64 s[6:7], s[0:1], 3
	v_add_u32_e32 v2, -1, v6
	s_add_u32 s11, s18, s6
	v_add_u32_e32 v1, 0x60, v0
	v_lshrrev_b32_e32 v3, 1, v2
	s_addc_u32 s12, s19, s7
	v_add_u32_e32 v7, 1, v3
	v_cmp_lt_u32_e32 vcc, 13, v2
	v_mov_b32_e32 v4, 0
	v_pk_mov_b32 v[2:3], v[0:1], v[0:1] op_sel:[0,1]
	s_and_saveexec_b64 s[6:7], vcc
	s_cbranch_execz .LBB18_6
; %bb.3:
	v_and_b32_e32 v8, -8, v7
	s_mov_b32 s13, 0
	v_lshl_add_u32 v9, v0, 2, 0
	s_mov_b64 s[8:9], 0
	v_mov_b32_e32 v10, s12
	v_mov_b32_e32 v5, 0
	v_pk_mov_b32 v[2:3], v[0:1], v[0:1] op_sel:[0,1]
.LBB18_4:                               ; =>This Inner Loop Header: Depth=1
	v_mov_b32_e32 v4, v2
	v_lshlrev_b64 v[26:27], 2, v[4:5]
	v_add_u32_e32 v12, 0xc0, v3
	v_mov_b32_e32 v13, v5
	v_add_co_u32_e32 v26, vcc, s11, v26
	v_lshlrev_b64 v[12:13], 2, v[12:13]
	v_addc_co_u32_e32 v27, vcc, v10, v27, vcc
	v_add_u32_e32 v14, 0x180, v3
	v_mov_b32_e32 v15, v5
	v_add_co_u32_e32 v12, vcc, s11, v12
	v_lshlrev_b64 v[14:15], 2, v[14:15]
	v_addc_co_u32_e32 v13, vcc, v10, v13, vcc
	;; [unrolled: 5-line block ×7, first 2 shown]
	v_mov_b32_e32 v4, v3
	v_add_co_u32_e32 v24, vcc, s11, v24
	v_lshlrev_b64 v[28:29], 2, v[4:5]
	v_addc_co_u32_e32 v25, vcc, v10, v25, vcc
	v_add_u32_e32 v4, 0xc0, v2
	v_add_co_u32_e32 v28, vcc, s11, v28
	v_addc_co_u32_e32 v29, vcc, v10, v29, vcc
	global_load_dword v1, v[26:27], off
	v_lshlrev_b64 v[26:27], 2, v[4:5]
	v_add_u32_e32 v4, 0x180, v2
	v_add_co_u32_e32 v26, vcc, s11, v26
	v_addc_co_u32_e32 v27, vcc, v10, v27, vcc
	v_lshlrev_b64 v[30:31], 2, v[4:5]
	v_add_u32_e32 v4, 0x240, v2
	global_load_dword v11, v[28:29], off
	global_load_dword v32, v[26:27], off
	;; [unrolled: 1-line block ×3, first 2 shown]
	v_add_co_u32_e32 v12, vcc, s11, v30
	v_addc_co_u32_e32 v13, vcc, v10, v31, vcc
	v_lshlrev_b64 v[26:27], 2, v[4:5]
	v_add_u32_e32 v4, 0x300, v2
	v_add_co_u32_e32 v26, vcc, s11, v26
	v_addc_co_u32_e32 v27, vcc, v10, v27, vcc
	v_lshlrev_b64 v[28:29], 2, v[4:5]
	v_add_u32_e32 v4, 0x3c0, v2
	global_load_dword v30, v[12:13], off
	global_load_dword v31, v[14:15], off
	;; [unrolled: 1-line block ×4, first 2 shown]
	v_add_co_u32_e32 v12, vcc, s11, v28
	v_addc_co_u32_e32 v13, vcc, v10, v29, vcc
	v_lshlrev_b64 v[14:15], 2, v[4:5]
	v_add_u32_e32 v4, 0x480, v2
	v_add_co_u32_e32 v14, vcc, s11, v14
	v_addc_co_u32_e32 v15, vcc, v10, v15, vcc
	v_lshlrev_b64 v[16:17], 2, v[4:5]
	v_add_u32_e32 v4, 0x540, v2
	global_load_dword v26, v[12:13], off
	global_load_dword v27, v[18:19], off
	global_load_dword v28, v[14:15], off
	global_load_dword v29, v[20:21], off
	v_add_co_u32_e32 v12, vcc, s11, v16
	v_addc_co_u32_e32 v13, vcc, v10, v17, vcc
	v_lshlrev_b64 v[14:15], 2, v[4:5]
	v_add_co_u32_e32 v14, vcc, s11, v14
	v_addc_co_u32_e32 v15, vcc, v10, v15, vcc
	global_load_dword v16, v[12:13], off
	global_load_dword v17, v[22:23], off
	;; [unrolled: 1-line block ×4, first 2 shown]
	v_add_u32_e32 v8, -8, v8
	s_add_i32 s13, s13, 16
	v_cmp_eq_u32_e32 vcc, 0, v8
	v_add_u32_e32 v12, 0x200, v9
	v_add_u32_e32 v13, 0x400, v9
	;; [unrolled: 1-line block ×8, first 2 shown]
	v_mov_b32_e32 v4, s13
	s_or_b64 s[8:9], vcc, s[8:9]
	v_add_u32_e32 v2, 0x600, v2
	s_waitcnt vmcnt(14)
	ds_write2_b32 v9, v1, v11 offset1:96
	v_add_u32_e32 v9, 0x1800, v9
	s_waitcnt vmcnt(12)
	ds_write2_b32 v12, v32, v33 offset0:64 offset1:160
	s_waitcnt vmcnt(10)
	ds_write2_b32 v13, v30, v31 offset0:128 offset1:224
	;; [unrolled: 2-line block ×3, first 2 shown]
	s_waitcnt vmcnt(6)
	ds_write2_b32 v15, v26, v27 offset1:96
	s_waitcnt vmcnt(4)
	ds_write2_b32 v20, v28, v29 offset0:64 offset1:160
	s_waitcnt vmcnt(2)
	ds_write2_b32 v21, v16, v17 offset0:128 offset1:224
	;; [unrolled: 2-line block ×3, first 2 shown]
	s_andn2_b64 exec, exec, s[8:9]
	s_cbranch_execnz .LBB18_4
; %bb.5:
	s_or_b64 exec, exec, s[8:9]
.LBB18_6:
	s_or_b64 exec, exec, s[6:7]
	v_and_b32_e32 v1, 7, v7
	v_cmp_ne_u32_e32 vcc, 0, v1
	s_and_saveexec_b64 s[6:7], vcc
	s_cbranch_execz .LBB18_9
; %bb.7:
	s_movk_i32 s8, 0x180
	v_mul_lo_u32 v4, v4, s8
	v_lshlrev_b32_e32 v5, 2, v0
	v_add3_u32 v7, v4, v5, 0
	s_mov_b64 s[8:9], 0
	v_mov_b32_e32 v8, s12
	v_mov_b32_e32 v5, 0
.LBB18_8:                               ; =>This Inner Loop Header: Depth=1
	v_mov_b32_e32 v4, v2
	v_lshlrev_b64 v[10:11], 2, v[4:5]
	v_mov_b32_e32 v4, v3
	v_add_co_u32_e32 v10, vcc, s11, v10
	v_addc_co_u32_e32 v11, vcc, v8, v11, vcc
	v_lshlrev_b64 v[12:13], 2, v[4:5]
	v_add_co_u32_e32 v12, vcc, s11, v12
	v_addc_co_u32_e32 v13, vcc, v8, v13, vcc
	global_load_dword v4, v[10:11], off
	global_load_dword v9, v[12:13], off
	v_add_u32_e32 v1, -1, v1
	v_cmp_eq_u32_e32 vcc, 0, v1
	v_add_u32_e32 v2, 0xc0, v2
	v_add_u32_e32 v3, 0xc0, v3
	s_or_b64 s[8:9], vcc, s[8:9]
	s_waitcnt vmcnt(0)
	ds_write2_b32 v7, v4, v9 offset1:96
	v_add_u32_e32 v7, 0x300, v7
	s_andn2_b64 exec, exec, s[8:9]
	s_cbranch_execnz .LBB18_8
.LBB18_9:
	s_or_b64 exec, exec, s[6:7]
	v_add_u32_e32 v1, 1, v6
	v_and_b32_e32 v4, 0x7fffffe, v1
	s_movk_i32 s6, 0x60
	v_mad_u64_u32 v[2:3], s[6:7], v4, s6, v[0:1]
	v_cmp_ne_u32_e32 vcc, v1, v4
	s_orn2_b64 s[6:7], vcc, exec
.LBB18_10:
	s_or_b64 exec, exec, s[4:5]
	s_and_b64 exec, exec, s[6:7]
	s_cbranch_execz .LBB18_13
; %bb.11:
	s_lshl_b64 s[4:5], s[0:1], 3
	v_mov_b32_e32 v3, 0
	s_add_u32 s1, s18, s4
	v_lshlrev_b64 v[4:5], 2, v[2:3]
	s_addc_u32 s4, s19, s5
	v_mov_b32_e32 v1, s4
	v_add_co_u32_e32 v4, vcc, s1, v4
	v_addc_co_u32_e32 v5, vcc, v1, v5, vcc
	v_lshl_add_u32 v1, v2, 2, 0
	s_mov_b64 s[4:5], 0
.LBB18_12:                              ; =>This Inner Loop Header: Depth=1
	global_load_dword v3, v[4:5], off
	v_add_co_u32_e32 v4, vcc, 0x180, v4
	v_add_u32_e32 v2, 0x60, v2
	v_addc_co_u32_e32 v5, vcc, 0, v5, vcc
	v_cmp_le_i32_e32 vcc, s10, v2
	s_or_b64 s[4:5], vcc, s[4:5]
	s_waitcnt vmcnt(0)
	ds_write_b32 v1, v3
	v_add_u32_e32 v1, 0x180, v1
	s_andn2_b64 exec, exec, s[4:5]
	s_cbranch_execnz .LBB18_12
.LBB18_13:
	s_or_b64 exec, exec, s[2:3]
	v_mov_b32_e32 v1, 0
	s_waitcnt lgkmcnt(0)
	s_barrier
	ds_read_b32 v1, v1
	s_cmp_lt_i32 s21, 2
	s_cbranch_scc1 .LBB18_21
; %bb.14:
	s_add_i32 s1, s21, -1
	s_add_i32 s2, s21, -2
	s_cmp_lt_u32 s2, 7
	s_cbranch_scc1 .LBB18_18
; %bb.15:
	s_mov_b32 s4, 0
	s_add_i32 s2, 0, 8
	s_and_b32 s3, s1, -8
.LBB18_16:                              ; =>This Inner Loop Header: Depth=1
	v_mov_b32_e32 v8, s2
	ds_read2_b32 v[2:3], v8 offset1:2
	ds_read2_b32 v[4:5], v8 offset0:4 offset1:6
	ds_read2_b32 v[6:7], v8 offset0:8 offset1:10
	;; [unrolled: 1-line block ×3, first 2 shown]
	s_mov_b32 s5, s4
	s_waitcnt lgkmcnt(3)
	v_max3_f32 v1, v1, v2, v3
	s_waitcnt lgkmcnt(2)
	v_max3_f32 v1, v1, v4, v5
	s_add_i32 s2, s2, 64
	s_add_i32 s4, s4, 8
	s_waitcnt lgkmcnt(1)
	v_max3_f32 v1, v1, v6, v7
	s_cmp_eq_u32 s3, s4
	s_waitcnt lgkmcnt(0)
	v_max3_f32 v1, v1, v8, v9
	s_cbranch_scc0 .LBB18_16
; %bb.17:
	s_add_i32 s2, s5, 9
	s_and_b32 s1, s1, 7
	s_cmp_eq_u32 s1, 0
	s_cbranch_scc0 .LBB18_19
	s_branch .LBB18_21
.LBB18_18:
	s_mov_b32 s2, 1
	s_and_b32 s1, s1, 7
	s_cmp_eq_u32 s1, 0
	s_cbranch_scc1 .LBB18_21
.LBB18_19:
	s_lshl_b32 s2, s2, 3
	s_add_i32 s2, s2, 0
.LBB18_20:                              ; =>This Inner Loop Header: Depth=1
	v_mov_b32_e32 v2, s2
	ds_read_b32 v2, v2
	s_waitcnt lgkmcnt(1)
	v_max_f32_e32 v1, v1, v1
	s_add_i32 s2, s2, 8
	s_add_i32 s1, s1, -1
	s_cmp_lg_u32 s1, 0
	s_waitcnt lgkmcnt(0)
	v_max_f32_e32 v2, v2, v2
	v_max_f32_e32 v1, v1, v2
	s_cbranch_scc1 .LBB18_20
.LBB18_21:
	s_cmp_lt_i32 s21, 1
	s_cbranch_scc1 .LBB18_26
; %bb.22:
	s_mul_i32 s18, s0, 0x60
	s_ashr_i32 s19, s18, 31
	s_cmp_lt_u32 s21, 8
	v_mov_b32_e32 v8, 0
	s_cbranch_scc1 .LBB18_27
; %bb.23:
	s_lshl_b64 s[0:1], s[18:19], 2
	s_add_u32 s23, s16, s0
	s_addc_u32 s0, s17, s1
	v_lshlrev_b32_e32 v2, 2, v0
	v_mov_b32_e32 v10, s0
	v_add_co_u32_e32 v2, vcc, s23, v2
	v_addc_co_u32_e32 v3, vcc, 0, v10, vcc
	v_add_co_u32_e32 v2, vcc, 0x180, v2
	s_and_b32 s22, s21, 0x7ffffff8
	v_addc_co_u32_e32 v3, vcc, 0, v3, vcc
	v_or_b32_e32 v4, 0x180, v0
	s_mov_b32 s24, 0
	v_mov_b32_e32 v7, 0
	s_mov_b32 s25, 0x3fb8aa3b
	s_mov_b32 s26, 0xc2ce8ed0
	;; [unrolled: 1-line block ×3, first 2 shown]
	v_mov_b32_e32 v11, 0x7f800000
	s_mov_b32 s28, 0
	v_mov_b32_e32 v9, 0
	v_mov_b32_e32 v8, 0
.LBB18_24:                              ; =>This Inner Loop Header: Depth=1
	v_add_u32_e32 v6, 0xfffffe80, v4
	global_load_dword v36, v[2:3], off
	v_add_co_u32_e32 v2, vcc, 0xc00, v2
	v_lshlrev_b64 v[28:29], 2, v[6:7]
	v_addc_co_u32_e32 v3, vcc, 0, v3, vcc
	v_mov_b32_e32 v5, v7
	v_add_co_u32_e32 v28, vcc, s23, v28
	v_lshlrev_b64 v[30:31], 2, v[4:5]
	v_addc_co_u32_e32 v29, vcc, v10, v29, vcc
	v_add_u32_e32 v6, 0xffffff40, v4
	v_add_co_u32_e32 v30, vcc, s23, v30
	v_lshlrev_b64 v[32:33], 2, v[6:7]
	v_addc_co_u32_e32 v31, vcc, v10, v31, vcc
	v_add_u32_e32 v6, 0xffffffa0, v4
	v_add_co_u32_e32 v32, vcc, s23, v32
	v_mov_b32_e32 v24, s24
	v_addc_co_u32_e32 v33, vcc, v10, v33, vcc
	v_lshlrev_b64 v[34:35], 2, v[6:7]
	ds_read2_b64 v[12:15], v24 offset1:1
	ds_read2_b64 v[16:19], v24 offset0:2 offset1:3
	ds_read2_b64 v[20:23], v24 offset0:4 offset1:5
	;; [unrolled: 1-line block ×3, first 2 shown]
	v_add_u32_e32 v6, 0x60, v4
	global_load_dword v5, v[28:29], off
	global_load_dword v37, v[32:33], off
	v_add_co_u32_e32 v28, vcc, s23, v34
	v_addc_co_u32_e32 v29, vcc, v10, v35, vcc
	v_lshlrev_b64 v[32:33], 2, v[6:7]
	v_add_u32_e32 v6, 0xc0, v4
	v_add_co_u32_e32 v32, vcc, s23, v32
	v_addc_co_u32_e32 v33, vcc, v10, v33, vcc
	v_lshlrev_b64 v[34:35], 2, v[6:7]
	v_add_u32_e32 v6, 0x120, v4
	global_load_dword v38, v[28:29], off
	global_load_dword v39, v[30:31], off
	v_add_co_u32_e32 v28, vcc, s23, v34
	v_addc_co_u32_e32 v29, vcc, v10, v35, vcc
	v_lshlrev_b64 v[30:31], 2, v[6:7]
	global_load_dword v32, v[32:33], off
	v_add_co_u32_e32 v30, vcc, s23, v30
	v_addc_co_u32_e32 v31, vcc, v10, v31, vcc
	global_load_dword v30, v[30:31], off
	s_waitcnt lgkmcnt(3)
	v_sub_f32_e32 v12, v12, v1
	global_load_dword v28, v[28:29], off
	v_sub_f32_e32 v14, v14, v1
	v_mul_f32_e32 v6, 0x3fb8aa3b, v12
	s_waitcnt lgkmcnt(2)
	v_sub_f32_e32 v16, v16, v1
	v_mul_f32_e32 v33, 0x3fb8aa3b, v14
	v_fma_f32 v29, v12, s25, -v6
	v_rndne_f32_e32 v44, v6
	v_sub_f32_e32 v18, v18, v1
	s_waitcnt lgkmcnt(1)
	v_sub_f32_e32 v20, v20, v1
	v_mul_f32_e32 v34, 0x3fb8aa3b, v16
	v_fma_f32 v45, v14, s25, -v33
	v_rndne_f32_e32 v46, v33
	v_fmac_f32_e32 v29, 0x32a5705f, v12
	v_sub_f32_e32 v6, v6, v44
	v_mul_f32_e32 v35, 0x3fb8aa3b, v18
	v_mul_f32_e32 v40, 0x3fb8aa3b, v20
	v_fma_f32 v47, v16, s25, -v34
	v_rndne_f32_e32 v48, v34
	v_add_f32_e32 v6, v6, v29
	v_fmac_f32_e32 v45, 0x32a5705f, v14
	v_sub_f32_e32 v33, v33, v46
	v_sub_f32_e32 v22, v22, v1
	s_waitcnt lgkmcnt(0)
	v_sub_f32_e32 v24, v24, v1
	v_fma_f32 v49, v18, s25, -v35
	v_rndne_f32_e32 v50, v35
	v_fma_f32 v31, v20, s25, -v40
	v_rndne_f32_e32 v29, v40
	v_add_f32_e32 v33, v33, v45
	v_fmac_f32_e32 v47, 0x32a5705f, v16
	v_sub_f32_e32 v34, v34, v48
	v_cvt_i32_f32_e32 v44, v44
	v_exp_f32_e32 v6, v6
	v_mul_f32_e32 v41, 0x3fb8aa3b, v22
	v_mul_f32_e32 v42, 0x3fb8aa3b, v24
	v_add_f32_e32 v34, v34, v47
	v_fmac_f32_e32 v49, 0x32a5705f, v18
	v_sub_f32_e32 v35, v35, v50
	v_fmac_f32_e32 v31, 0x32a5705f, v20
	v_sub_f32_e32 v40, v40, v29
	v_cvt_i32_f32_e32 v46, v46
	v_exp_f32_e32 v33, v33
	v_sub_f32_e32 v26, v26, v1
	v_fma_f32 v45, v22, s25, -v41
	v_rndne_f32_e32 v47, v41
	v_add_f32_e32 v35, v35, v49
	v_fma_f32 v49, v24, s25, -v42
	v_add_f32_e32 v31, v40, v31
	v_rndne_f32_e32 v40, v42
	v_cvt_i32_f32_e32 v48, v48
	v_exp_f32_e32 v34, v34
	v_mul_f32_e32 v43, 0x3fb8aa3b, v26
	v_fmac_f32_e32 v45, 0x32a5705f, v22
	v_sub_f32_e32 v41, v41, v47
	v_fmac_f32_e32 v49, 0x32a5705f, v24
	v_sub_f32_e32 v42, v42, v40
	v_cvt_i32_f32_e32 v50, v50
	v_exp_f32_e32 v35, v35
	v_add_f32_e32 v41, v41, v45
	v_fma_f32 v45, v26, s25, -v43
	v_add_f32_e32 v42, v42, v49
	v_rndne_f32_e32 v49, v43
	v_cvt_i32_f32_e32 v29, v29
	v_exp_f32_e32 v31, v31
	v_ldexp_f32 v6, v6, v44
	v_cmp_ngt_f32_e64 s[12:13], s26, v12
	v_cvt_i32_f32_e32 v47, v47
	v_fmac_f32_e32 v45, 0x32a5705f, v26
	v_sub_f32_e32 v43, v43, v49
	v_exp_f32_e32 v41, v41
	v_ldexp_f32 v33, v33, v46
	v_cmp_ngt_f32_e32 vcc, s26, v14
	v_cndmask_b32_e64 v6, 0, v6, s[12:13]
	v_cmp_nlt_f32_e64 s[12:13], s27, v12
	v_cvt_i32_f32_e32 v40, v40
	v_add_f32_e32 v43, v43, v45
	v_exp_f32_e32 v42, v42
	v_ldexp_f32 v34, v34, v48
	v_cmp_ngt_f32_e64 s[0:1], s26, v16
	v_cndmask_b32_e32 v33, 0, v33, vcc
	v_cmp_nlt_f32_e32 vcc, s27, v14
	v_cndmask_b32_e64 v6, v11, v6, s[12:13]
	v_cvt_i32_f32_e32 v49, v49
	v_exp_f32_e32 v43, v43
	v_ldexp_f32 v35, v35, v50
	v_cmp_ngt_f32_e64 s[2:3], s26, v18
	v_cndmask_b32_e64 v14, 0, v34, s[0:1]
	v_cmp_nlt_f32_e64 s[0:1], s27, v16
	v_cndmask_b32_e32 v12, v11, v33, vcc
	v_fmac_f32_e32 v9, v6, v13
	s_waitcnt vmcnt(6)
	v_fmac_f32_e32 v8, v5, v6
	v_ldexp_f32 v29, v31, v29
	v_cmp_ngt_f32_e64 s[4:5], s26, v20
	v_cndmask_b32_e64 v16, 0, v35, s[2:3]
	v_cmp_nlt_f32_e64 s[2:3], s27, v18
	v_cndmask_b32_e64 v14, v11, v14, s[0:1]
	v_fmac_f32_e32 v9, v12, v15
	v_fmac_f32_e32 v8, v36, v12
	v_ldexp_f32 v31, v41, v47
	v_cmp_ngt_f32_e64 s[6:7], s26, v22
	v_cndmask_b32_e64 v18, 0, v29, s[4:5]
	v_cmp_nlt_f32_e64 s[4:5], s27, v20
	v_cndmask_b32_e64 v16, v11, v16, s[2:3]
	v_fmac_f32_e32 v9, v14, v17
	s_waitcnt vmcnt(5)
	v_fmac_f32_e32 v8, v37, v14
	v_ldexp_f32 v40, v42, v40
	v_cmp_ngt_f32_e64 s[8:9], s26, v24
	v_cndmask_b32_e64 v20, 0, v31, s[6:7]
	v_cmp_nlt_f32_e64 s[6:7], s27, v22
	v_cndmask_b32_e64 v18, v11, v18, s[4:5]
	v_fmac_f32_e32 v9, v16, v19
	s_waitcnt vmcnt(4)
	;; [unrolled: 8-line block ×3, first 2 shown]
	v_fmac_f32_e32 v8, v39, v18
	v_cndmask_b32_e64 v24, 0, v41, s[10:11]
	v_cmp_nlt_f32_e64 s[10:11], s27, v26
	v_cndmask_b32_e64 v22, v11, v22, s[8:9]
	v_fmac_f32_e32 v9, v20, v23
	s_waitcnt vmcnt(2)
	v_fmac_f32_e32 v8, v32, v20
	s_add_i32 s28, s28, 8
	s_add_i32 s24, s24, 64
	v_cndmask_b32_e64 v24, v11, v24, s[10:11]
	v_fmac_f32_e32 v9, v22, v25
	s_waitcnt vmcnt(0)
	v_fmac_f32_e32 v8, v28, v22
	s_cmp_eq_u32 s22, s28
	v_add_u32_e32 v4, 0x300, v4
	v_fmac_f32_e32 v9, v24, v27
	v_fmac_f32_e32 v8, v30, v24
	s_cbranch_scc0 .LBB18_24
; %bb.25:
	s_and_b32 s0, s21, 7
	s_cmp_eq_u32 s0, 0
	s_cbranch_scc0 .LBB18_28
	s_branch .LBB18_30
.LBB18_26:
	s_waitcnt lgkmcnt(0)
	v_mov_b32_e32 v1, 0x7fc00000
	s_branch .LBB18_31
.LBB18_27:
	s_mov_b32 s22, 0
	v_mov_b32_e32 v9, 0
	s_and_b32 s0, s21, 7
	s_cmp_eq_u32 s0, 0
	s_cbranch_scc1 .LBB18_30
.LBB18_28:
	s_lshl_b64 s[2:3], s[18:19], 2
	s_mul_i32 s1, s22, 0x60
	v_add_u32_e32 v2, s1, v0
	v_mov_b32_e32 v3, 0
	s_add_u32 s1, s16, s2
	v_lshlrev_b64 v[2:3], 2, v[2:3]
	s_addc_u32 s2, s17, s3
	v_mov_b32_e32 v4, s2
	v_add_co_u32_e32 v2, vcc, s1, v2
	s_lshl_b32 s1, s22, 3
	v_addc_co_u32_e32 v3, vcc, v4, v3, vcc
	s_add_i32 s1, s1, 0
	s_mov_b32 s2, 0x3fb8aa3b
	s_mov_b32 s3, 0xc2ce8ed0
	;; [unrolled: 1-line block ×3, first 2 shown]
	v_mov_b32_e32 v4, 0x7f800000
.LBB18_29:                              ; =>This Inner Loop Header: Depth=1
	global_load_dword v5, v[2:3], off
	v_mov_b32_e32 v6, s1
	ds_read_b64 v[6:7], v6
	v_add_co_u32_e32 v2, vcc, 0x180, v2
	v_addc_co_u32_e32 v3, vcc, 0, v3, vcc
	s_waitcnt lgkmcnt(0)
	v_sub_f32_e32 v6, v6, v1
	v_mul_f32_e32 v10, 0x3fb8aa3b, v6
	v_fma_f32 v11, v6, s2, -v10
	v_rndne_f32_e32 v12, v10
	v_fmac_f32_e32 v11, 0x32a5705f, v6
	v_sub_f32_e32 v10, v10, v12
	v_add_f32_e32 v10, v10, v11
	v_cvt_i32_f32_e32 v12, v12
	v_exp_f32_e32 v10, v10
	v_cmp_ngt_f32_e32 vcc, s3, v6
	s_add_i32 s1, s1, 8
	s_add_i32 s0, s0, -1
	v_ldexp_f32 v10, v10, v12
	v_cndmask_b32_e32 v10, 0, v10, vcc
	v_cmp_nlt_f32_e32 vcc, s4, v6
	v_cndmask_b32_e32 v6, v4, v10, vcc
	s_cmp_lg_u32 s0, 0
	v_fmac_f32_e32 v9, v6, v7
	s_waitcnt vmcnt(0)
	v_fmac_f32_e32 v8, v5, v6
	s_cbranch_scc1 .LBB18_29
.LBB18_30:
	s_waitcnt lgkmcnt(0)
	v_div_scale_f32 v1, s[0:1], v9, v9, v8
	v_rcp_f32_e32 v2, v1
	v_div_scale_f32 v3, vcc, v8, v9, v8
	v_fma_f32 v4, -v1, v2, 1.0
	v_fmac_f32_e32 v2, v4, v2
	v_mul_f32_e32 v4, v3, v2
	v_fma_f32 v5, -v1, v4, v3
	v_fmac_f32_e32 v4, v5, v2
	v_fma_f32 v1, -v1, v4, v3
	v_div_fmas_f32 v1, v1, v2, v4
	v_div_fixup_f32 v1, v1, v9, v8
.LBB18_31:
	s_mul_i32 s0, s20, 0x60
	s_ashr_i32 s1, s0, 31
	s_lshl_b64 s[0:1], s[0:1], 2
	s_add_u32 s0, s14, s0
	s_addc_u32 s1, s15, s1
	v_lshlrev_b32_e32 v0, 2, v0
	global_store_dword v0, v1, s[0:1]
	s_endpgm
	.section	.rodata,"a",@progbits
	.p2align	6, 0x0
	.amdhsa_kernel _ZL26flash_attn_combine_resultsILi96EEvPKfPK15HIP_vector_typeIfLj2EEPfi
		.amdhsa_group_segment_fixed_size 0
		.amdhsa_private_segment_fixed_size 0
		.amdhsa_kernarg_size 288
		.amdhsa_user_sgpr_count 6
		.amdhsa_user_sgpr_private_segment_buffer 1
		.amdhsa_user_sgpr_dispatch_ptr 0
		.amdhsa_user_sgpr_queue_ptr 0
		.amdhsa_user_sgpr_kernarg_segment_ptr 1
		.amdhsa_user_sgpr_dispatch_id 0
		.amdhsa_user_sgpr_flat_scratch_init 0
		.amdhsa_user_sgpr_kernarg_preload_length 0
		.amdhsa_user_sgpr_kernarg_preload_offset 0
		.amdhsa_user_sgpr_private_segment_size 0
		.amdhsa_uses_dynamic_stack 0
		.amdhsa_system_sgpr_private_segment_wavefront_offset 0
		.amdhsa_system_sgpr_workgroup_id_x 1
		.amdhsa_system_sgpr_workgroup_id_y 1
		.amdhsa_system_sgpr_workgroup_id_z 1
		.amdhsa_system_sgpr_workgroup_info 0
		.amdhsa_system_vgpr_workitem_id 0
		.amdhsa_next_free_vgpr 51
		.amdhsa_next_free_sgpr 29
		.amdhsa_accum_offset 52
		.amdhsa_reserve_vcc 1
		.amdhsa_reserve_flat_scratch 0
		.amdhsa_float_round_mode_32 0
		.amdhsa_float_round_mode_16_64 0
		.amdhsa_float_denorm_mode_32 3
		.amdhsa_float_denorm_mode_16_64 3
		.amdhsa_dx10_clamp 1
		.amdhsa_ieee_mode 1
		.amdhsa_fp16_overflow 0
		.amdhsa_tg_split 0
		.amdhsa_exception_fp_ieee_invalid_op 0
		.amdhsa_exception_fp_denorm_src 0
		.amdhsa_exception_fp_ieee_div_zero 0
		.amdhsa_exception_fp_ieee_overflow 0
		.amdhsa_exception_fp_ieee_underflow 0
		.amdhsa_exception_fp_ieee_inexact 0
		.amdhsa_exception_int_div_zero 0
	.end_amdhsa_kernel
	.section	.text._ZL26flash_attn_combine_resultsILi96EEvPKfPK15HIP_vector_typeIfLj2EEPfi,"axG",@progbits,_ZL26flash_attn_combine_resultsILi96EEvPKfPK15HIP_vector_typeIfLj2EEPfi,comdat
.Lfunc_end18:
	.size	_ZL26flash_attn_combine_resultsILi96EEvPKfPK15HIP_vector_typeIfLj2EEPfi, .Lfunc_end18-_ZL26flash_attn_combine_resultsILi96EEvPKfPK15HIP_vector_typeIfLj2EEPfi
                                        ; -- End function
	.section	.AMDGPU.csdata,"",@progbits
; Kernel info:
; codeLenInByte = 3168
; NumSgprs: 33
; NumVgprs: 51
; NumAgprs: 0
; TotalNumVgprs: 51
; ScratchSize: 0
; MemoryBound: 0
; FloatMode: 240
; IeeeMode: 1
; LDSByteSize: 0 bytes/workgroup (compile time only)
; SGPRBlocks: 4
; VGPRBlocks: 6
; NumSGPRsForWavesPerEU: 33
; NumVGPRsForWavesPerEU: 51
; AccumOffset: 52
; Occupancy: 8
; WaveLimiterHint : 0
; COMPUTE_PGM_RSRC2:SCRATCH_EN: 0
; COMPUTE_PGM_RSRC2:USER_SGPR: 6
; COMPUTE_PGM_RSRC2:TRAP_HANDLER: 0
; COMPUTE_PGM_RSRC2:TGID_X_EN: 1
; COMPUTE_PGM_RSRC2:TGID_Y_EN: 1
; COMPUTE_PGM_RSRC2:TGID_Z_EN: 1
; COMPUTE_PGM_RSRC2:TIDIG_COMP_CNT: 0
; COMPUTE_PGM_RSRC3_GFX90A:ACCUM_OFFSET: 12
; COMPUTE_PGM_RSRC3_GFX90A:TG_SPLIT: 0
	.section	.text._ZL18flash_attn_ext_f16ILi112ELi112ELi8ELi2ELb0ELb0EEvPKcS1_S1_S1_S1_PKiPfP15HIP_vector_typeIfLj2EEffffjfiS5_IjLj3EEiiiiiiiiiiiliiliiiiil,"axG",@progbits,_ZL18flash_attn_ext_f16ILi112ELi112ELi8ELi2ELb0ELb0EEvPKcS1_S1_S1_S1_PKiPfP15HIP_vector_typeIfLj2EEffffjfiS5_IjLj3EEiiiiiiiiiiiliiliiiiil,comdat
	.globl	_ZL18flash_attn_ext_f16ILi112ELi112ELi8ELi2ELb0ELb0EEvPKcS1_S1_S1_S1_PKiPfP15HIP_vector_typeIfLj2EEffffjfiS5_IjLj3EEiiiiiiiiiiiliiliiiiil ; -- Begin function _ZL18flash_attn_ext_f16ILi112ELi112ELi8ELi2ELb0ELb0EEvPKcS1_S1_S1_S1_PKiPfP15HIP_vector_typeIfLj2EEffffjfiS5_IjLj3EEiiiiiiiiiiiliiliiiiil
	.p2align	8
	.type	_ZL18flash_attn_ext_f16ILi112ELi112ELi8ELi2ELb0ELb0EEvPKcS1_S1_S1_S1_PKiPfP15HIP_vector_typeIfLj2EEffffjfiS5_IjLj3EEiiiiiiiiiiiliiliiiiil,@function
_ZL18flash_attn_ext_f16ILi112ELi112ELi8ELi2ELb0ELb0EEvPKcS1_S1_S1_S1_PKiPfP15HIP_vector_typeIfLj2EEffffjfiS5_IjLj3EEiiiiiiiiiiiliiliiiiil: ; @_ZL18flash_attn_ext_f16ILi112ELi112ELi8ELi2ELb0ELb0EEvPKcS1_S1_S1_S1_PKiPfP15HIP_vector_typeIfLj2EEffffjfiS5_IjLj3EEiiiiiiiiiiiliiliiiiil
; %bb.0:
	s_load_dwordx2 s[2:3], s[4:5], 0x80
	s_load_dwordx4 s[36:39], s[4:5], 0x64
	s_mov_b32 s44, s6
                                        ; implicit-def: $vgpr197 : SGPR spill to VGPR lane
	s_load_dword s35, s[4:5], 0xd0
	s_mov_b32 s0, 0
	s_waitcnt lgkmcnt(0)
	s_abs_i32 s1, s3
	v_cvt_f32_u32_e32 v1, s1
	s_sub_i32 s8, 0, s1
	s_abs_i32 s7, s37
	s_xor_b32 s6, s37, s3
	v_rcp_iflag_f32_e32 v1, v1
	s_ashr_i32 s6, s6, 31
	v_cvt_f32_ubyte0_e32 v3, 0
	v_mul_f32_e32 v1, 0x4f7ffffe, v1
	v_cvt_u32_f32_e32 v1, v1
	v_readfirstlane_b32 s9, v1
	s_mul_i32 s8, s8, s9
	s_mul_hi_u32 s8, s9, s8
	s_add_i32 s9, s9, s8
	s_mul_hi_u32 s8, s7, s9
	s_mul_i32 s9, s8, s1
	s_sub_i32 s7, s7, s9
	s_add_i32 s10, s8, 1
	s_sub_i32 s9, s7, s1
	s_cmp_ge_u32 s7, s1
	s_cselect_b32 s8, s10, s8
	s_cselect_b32 s7, s9, s7
	s_add_i32 s9, s8, 1
	s_cmp_ge_u32 s7, s1
	s_cselect_b32 s1, s9, s8
	s_add_i32 s2, s2, 63
	s_xor_b32 s1, s1, s6
	s_ashr_i32 s7, s2, 31
	s_sub_i32 s33, s1, s6
	s_lshr_b32 s1, s7, 26
	s_add_i32 s2, s2, s1
	s_add_i32 s1, s36, 7
	s_lshr_b32 s6, s1, 3
	s_add_i32 s1, s33, 1
	s_ashr_i32 s86, s2, 6
	s_lshr_b32 s2, s1, 31
	s_add_i32 s1, s1, s2
	s_ashr_i32 s1, s1, 1
	v_writelane_b32 v197, s6, 0
	s_mul_i32 s2, s6, s86
	v_writelane_b32 v197, s2, 1
	s_mul_i32 s1, s2, s1
	v_writelane_b32 v197, s1, 2
	s_mul_i32 s1, s1, s3
	s_mul_i32 s6, s1, s38
	s_ashr_i32 s7, s6, 31
	v_cvt_f32_u32_e32 v1, s35
	v_writelane_b32 v197, s1, 3
	s_mul_i32 s1, s7, s44
	s_mul_hi_u32 s2, s6, s44
	s_add_i32 s1, s2, s1
	s_mul_i32 s8, s6, s44
	s_cmp_lg_u64 s[0:1], 0
	s_cbranch_scc0 .LBB19_2
; %bb.1:
	v_madmk_f32 v2, v3, 0x4f800000, v1
	v_rcp_f32_e32 v2, v2
	s_sub_u32 s0, 0, s35
	s_subb_u32 s9, 0, 0
	s_mov_b64 s[2:3], 0
	v_mul_f32_e32 v2, 0x5f7ffffc, v2
	v_mul_f32_e32 v4, 0x2f800000, v2
	v_trunc_f32_e32 v4, v4
	v_madmk_f32 v2, v4, 0xcf800000, v2
	v_cvt_u32_f32_e32 v4, v4
	v_cvt_u32_f32_e32 v2, v2
	v_readfirstlane_b32 s10, v4
	v_readfirstlane_b32 s11, v2
	s_mul_hi_u32 s13, s0, s11
	s_mul_i32 s14, s0, s10
	s_mul_i32 s12, s9, s11
	s_add_i32 s13, s13, s14
	s_add_i32 s13, s13, s12
	s_mul_i32 s15, s0, s11
	s_mul_hi_u32 s12, s11, s13
	s_mul_i32 s14, s11, s13
	s_mul_hi_u32 s11, s11, s15
	s_add_u32 s11, s11, s14
	s_addc_u32 s12, 0, s12
	s_mul_hi_u32 s16, s10, s15
	s_mul_i32 s15, s10, s15
	s_add_u32 s11, s11, s15
	s_mul_hi_u32 s14, s10, s13
	s_addc_u32 s11, s12, s16
	s_addc_u32 s12, s14, 0
	s_mul_i32 s13, s10, s13
	s_add_u32 s11, s11, s13
	s_addc_u32 s12, 0, s12
	v_add_co_u32_e32 v2, vcc, s11, v2
	s_cmp_lg_u64 vcc, 0
	s_addc_u32 s10, s10, s12
	v_readfirstlane_b32 s12, v2
	s_mul_i32 s11, s0, s10
	s_mul_hi_u32 s13, s0, s12
	s_add_i32 s11, s13, s11
	s_mul_i32 s9, s9, s12
	s_add_i32 s11, s11, s9
	s_mul_i32 s0, s0, s12
	s_mul_hi_u32 s13, s10, s0
	s_mul_i32 s14, s10, s0
	s_mul_i32 s16, s12, s11
	s_mul_hi_u32 s0, s12, s0
	s_mul_hi_u32 s15, s12, s11
	s_add_u32 s0, s0, s16
	s_addc_u32 s12, 0, s15
	s_add_u32 s0, s0, s14
	s_mul_hi_u32 s9, s10, s11
	s_addc_u32 s0, s12, s13
	s_addc_u32 s9, s9, 0
	s_mul_i32 s11, s10, s11
	s_add_u32 s0, s0, s11
	s_addc_u32 s9, 0, s9
	v_add_co_u32_e32 v2, vcc, s0, v2
	s_cmp_lg_u64 vcc, 0
	s_addc_u32 s9, s10, s9
	s_ashr_i32 s10, s1, 31
	s_add_u32 s0, s8, s10
	s_mov_b32 s11, s10
	s_addc_u32 s1, s1, s10
	s_xor_b64 s[0:1], s[0:1], s[10:11]
	v_readfirstlane_b32 s14, v2
	s_mul_i32 s13, s0, s9
	s_mul_hi_u32 s15, s0, s14
	s_mul_hi_u32 s12, s0, s9
	s_add_u32 s13, s15, s13
	s_addc_u32 s12, 0, s12
	s_mul_hi_u32 s16, s1, s14
	s_mul_i32 s14, s1, s14
	s_add_u32 s13, s13, s14
	s_mul_hi_u32 s15, s1, s9
	s_addc_u32 s12, s12, s16
	s_addc_u32 s13, s15, 0
	s_mul_i32 s9, s1, s9
	s_add_u32 s9, s12, s9
	s_addc_u32 s12, 0, s13
	s_add_u32 s13, s9, 1
	s_addc_u32 s14, s12, 0
	s_add_u32 s15, s9, 2
	s_mul_i32 s17, s35, s12
	s_mul_hi_u32 s18, s35, s9
	s_addc_u32 s16, s12, 0
	s_add_i32 s18, s18, s17
	s_mul_i32 s17, s35, s9
	v_mov_b32_e32 v2, s17
	v_sub_co_u32_e32 v2, vcc, s0, v2
	s_cmp_lg_u64 vcc, 0
	s_subb_u32 s0, s1, s18
	v_subrev_co_u32_e32 v4, vcc, s35, v2
	s_cmp_lg_u64 vcc, 0
	s_subb_u32 s1, s0, 0
	v_readfirstlane_b32 s17, v4
	s_cmp_ge_u32 s17, s35
	s_cselect_b32 s17, -1, 0
	s_cmp_eq_u32 s1, 0
	s_cselect_b32 s1, s17, -1
	s_cmp_lg_u32 s1, 0
	s_cselect_b32 s1, s16, s14
	v_readfirstlane_b32 s14, v2
	s_cselect_b32 s13, s15, s13
	s_cmp_ge_u32 s14, s35
	s_cselect_b32 s14, -1, 0
	s_cmp_eq_u32 s0, 0
	s_cselect_b32 s0, s14, -1
	s_cmp_lg_u32 s0, 0
	s_cselect_b32 s1, s1, s12
	s_cselect_b32 s0, s13, s9
	s_xor_b64 s[0:1], s[0:1], s[10:11]
	s_sub_u32 s54, s0, s10
	s_branch .LBB19_3
.LBB19_2:
	s_mov_b64 s[2:3], -1
                                        ; implicit-def: $sgpr54_sgpr55
.LBB19_3:
	s_load_dwordx2 s[0:1], s[4:5], 0x74
	v_cvt_f32_u32_e32 v2, s35
	s_andn2_b64 vcc, exec, s[2:3]
	s_waitcnt lgkmcnt(0)
	v_writelane_b32 v197, s0, 4
	v_writelane_b32 v197, s1, 5
	s_cbranch_vccnz .LBB19_5
; %bb.4:
	v_rcp_iflag_f32_e32 v4, v2
	s_sub_i32 s0, 0, s35
	v_mul_f32_e32 v4, 0x4f7ffffe, v4
	v_cvt_u32_f32_e32 v4, v4
	v_readfirstlane_b32 s1, v4
	s_mul_i32 s0, s0, s1
	s_mul_hi_u32 s0, s1, s0
	s_add_i32 s1, s1, s0
	s_mul_hi_u32 s0, s8, s1
	s_mul_i32 s2, s0, s35
	s_sub_i32 s2, s8, s2
	s_add_i32 s1, s0, 1
	s_sub_i32 s3, s2, s35
	s_cmp_ge_u32 s2, s35
	s_cselect_b32 s0, s1, s0
	s_cselect_b32 s2, s3, s2
	s_add_i32 s1, s0, 1
	s_cmp_ge_u32 s2, s35
	s_cselect_b32 s54, s1, s0
.LBB19_5:
	s_add_i32 s0, s44, 1
	s_mul_i32 s1, s7, s0
	s_mul_hi_u32 s2, s6, s0
	s_add_i32 s3, s2, s1
	s_mov_b32 s2, 0
	s_cmp_lg_u64 s[2:3], 0
	s_mul_i32 s2, s6, s0
	s_cbranch_scc0 .LBB19_7
; %bb.6:
	v_madmk_f32 v1, v3, 0x4f800000, v1
	v_rcp_f32_e32 v1, v1
	s_sub_u32 s6, 0, s35
	s_subb_u32 s7, 0, 0
	s_mov_b64 s[0:1], 0
	v_mul_f32_e32 v1, 0x5f7ffffc, v1
	v_mul_f32_e32 v3, 0x2f800000, v1
	v_trunc_f32_e32 v3, v3
	v_madmk_f32 v1, v3, 0xcf800000, v1
	v_cvt_u32_f32_e32 v3, v3
	v_cvt_u32_f32_e32 v1, v1
	v_readfirstlane_b32 s8, v3
	v_readfirstlane_b32 s9, v1
	s_mul_hi_u32 s11, s6, s9
	s_mul_i32 s12, s6, s8
	s_mul_i32 s10, s7, s9
	s_add_i32 s11, s11, s12
	s_add_i32 s11, s11, s10
	s_mul_i32 s13, s6, s9
	s_mul_hi_u32 s10, s9, s11
	s_mul_i32 s12, s9, s11
	s_mul_hi_u32 s9, s9, s13
	s_add_u32 s9, s9, s12
	s_addc_u32 s10, 0, s10
	s_mul_hi_u32 s14, s8, s13
	s_mul_i32 s13, s8, s13
	s_add_u32 s9, s9, s13
	s_mul_hi_u32 s12, s8, s11
	s_addc_u32 s9, s10, s14
	s_addc_u32 s10, s12, 0
	s_mul_i32 s11, s8, s11
	s_add_u32 s9, s9, s11
	s_addc_u32 s10, 0, s10
	v_add_co_u32_e32 v1, vcc, s9, v1
	s_cmp_lg_u64 vcc, 0
	s_addc_u32 s8, s8, s10
	v_readfirstlane_b32 s10, v1
	s_mul_i32 s9, s6, s8
	s_mul_hi_u32 s11, s6, s10
	s_add_i32 s9, s11, s9
	s_mul_i32 s7, s7, s10
	s_add_i32 s9, s9, s7
	s_mul_i32 s6, s6, s10
	s_mul_hi_u32 s11, s8, s6
	s_mul_i32 s12, s8, s6
	s_mul_i32 s14, s10, s9
	s_mul_hi_u32 s6, s10, s6
	s_mul_hi_u32 s13, s10, s9
	s_add_u32 s6, s6, s14
	s_addc_u32 s10, 0, s13
	s_add_u32 s6, s6, s12
	s_mul_hi_u32 s7, s8, s9
	s_addc_u32 s6, s10, s11
	s_addc_u32 s7, s7, 0
	s_mul_i32 s9, s8, s9
	s_add_u32 s6, s6, s9
	s_addc_u32 s7, 0, s7
	v_add_co_u32_e32 v1, vcc, s6, v1
	s_cmp_lg_u64 vcc, 0
	s_addc_u32 s10, s8, s7
	s_ashr_i32 s6, s3, 31
	s_add_u32 s8, s2, s6
	s_mov_b32 s7, s6
	s_addc_u32 s9, s3, s6
	s_xor_b64 s[8:9], s[8:9], s[6:7]
	v_readfirstlane_b32 s12, v1
	s_mul_i32 s11, s8, s10
	s_mul_hi_u32 s13, s8, s12
	s_mul_hi_u32 s3, s8, s10
	s_add_u32 s11, s13, s11
	s_addc_u32 s3, 0, s3
	s_mul_hi_u32 s14, s9, s12
	s_mul_i32 s12, s9, s12
	s_add_u32 s11, s11, s12
	s_mul_hi_u32 s13, s9, s10
	s_addc_u32 s3, s3, s14
	s_addc_u32 s11, s13, 0
	s_mul_i32 s10, s9, s10
	s_add_u32 s3, s3, s10
	s_addc_u32 s10, 0, s11
	s_add_u32 s11, s3, 1
	s_addc_u32 s12, s10, 0
	s_add_u32 s13, s3, 2
	s_mul_i32 s15, s35, s10
	s_mul_hi_u32 s16, s35, s3
	s_addc_u32 s14, s10, 0
	s_add_i32 s16, s16, s15
	s_mul_i32 s15, s35, s3
	v_mov_b32_e32 v1, s15
	v_sub_co_u32_e32 v1, vcc, s8, v1
	s_cmp_lg_u64 vcc, 0
	s_subb_u32 s8, s9, s16
	v_subrev_co_u32_e32 v3, vcc, s35, v1
	s_cmp_lg_u64 vcc, 0
	s_subb_u32 s9, s8, 0
	v_readfirstlane_b32 s15, v3
	s_cmp_ge_u32 s15, s35
	s_cselect_b32 s15, -1, 0
	s_cmp_eq_u32 s9, 0
	s_cselect_b32 s9, s15, -1
	s_cmp_lg_u32 s9, 0
	s_cselect_b32 s9, s14, s12
	v_readfirstlane_b32 s12, v1
	s_cselect_b32 s11, s13, s11
	s_cmp_ge_u32 s12, s35
	s_cselect_b32 s12, -1, 0
	s_cmp_eq_u32 s8, 0
	s_cselect_b32 s8, s12, -1
	s_cmp_lg_u32 s8, 0
	s_cselect_b32 s9, s9, s10
	s_cselect_b32 s8, s11, s3
	s_xor_b64 s[8:9], s[8:9], s[6:7]
	s_sub_u32 s58, s8, s6
	s_branch .LBB19_8
.LBB19_7:
	s_mov_b64 s[0:1], -1
                                        ; implicit-def: $sgpr58_sgpr59
.LBB19_8:
	s_load_dwordx2 s[6:7], s[4:5], 0x5c
	s_andn2_b64 vcc, exec, s[0:1]
	s_waitcnt lgkmcnt(0)
	v_writelane_b32 v197, s6, 6
	v_writelane_b32 v197, s7, 7
	s_cbranch_vccnz .LBB19_10
; %bb.9:
	v_rcp_iflag_f32_e32 v1, v2
	s_sub_i32 s0, 0, s35
	v_mul_f32_e32 v1, 0x4f7ffffe, v1
	v_cvt_u32_f32_e32 v1, v1
	v_readfirstlane_b32 s1, v1
	s_mul_i32 s0, s0, s1
	s_mul_hi_u32 s0, s1, s0
	s_add_i32 s1, s1, s0
	s_mul_hi_u32 s0, s2, s1
	s_mul_i32 s3, s0, s35
	s_sub_i32 s2, s2, s3
	s_add_i32 s1, s0, 1
	s_sub_i32 s3, s2, s35
	s_cmp_ge_u32 s2, s35
	s_cselect_b32 s0, s1, s0
	s_cselect_b32 s2, s3, s2
	s_add_i32 s1, s0, 1
	s_cmp_ge_u32 s2, s35
	s_cselect_b32 s58, s1, s0
.LBB19_10:
	s_abs_i32 s87, s86
	v_cvt_f32_u32_e32 v1, s87
	v_readlane_b32 s2, v197, 4
	s_load_dwordx16 s[16:31], s[4:5], 0x0
	s_load_dword s6, s[4:5], 0x40
	s_load_dwordx2 s[0:1], s[4:5], 0x8c
	s_load_dwordx4 s[40:43], s[4:5], 0x98
	s_load_dwordx2 s[46:47], s[4:5], 0xa8
	s_load_dwordx2 s[12:13], s[4:5], 0xb8
	;; [unrolled: 1-line block ×3, first 2 shown]
	s_ashr_i32 s52, s2, 3
	v_rcp_iflag_f32_e32 v1, v1
	s_sub_i32 s2, 0, s87
	v_readlane_b32 s3, v197, 5
	s_waitcnt lgkmcnt(0)
	v_writelane_b32 v197, s0, 8
	v_mul_f32_e32 v1, 0x4f7ffffe, v1
	v_cvt_u32_f32_e32 v1, v1
	v_writelane_b32 v197, s1, 9
	s_ashr_i32 s1, s86, 31
	v_writelane_b32 v197, s1, 10
	v_readfirstlane_b32 s50, v1
	s_mul_i32 s2, s2, s50
	s_mul_hi_u32 s2, s50, s2
	s_abs_i32 s1, s54
	s_add_i32 s50, s50, s2
	s_mul_hi_u32 s2, s1, s50
	s_mul_i32 s2, s2, s87
	s_sub_i32 s1, s1, s2
	s_ashr_i32 s55, s39, 3
	s_ashr_i32 s34, s0, 2
	;; [unrolled: 1-line block ×5, first 2 shown]
	s_sub_i32 s2, s1, s87
	s_cmp_ge_u32 s1, s87
	s_cselect_b32 s1, s2, s1
	s_sub_i32 s2, s1, s87
	s_cmp_ge_u32 s1, s87
	s_cselect_b32 s1, s2, s1
	s_xor_b32 s1, s1, s0
	s_sub_i32 s76, s1, s0
	s_sub_i32 s0, s58, s54
	s_add_i32 s2, s0, s76
	s_min_i32 s42, s86, s2
	s_cmp_gt_i32 s58, s54
	s_cselect_b64 s[10:11], -1, 0
	s_cmp_le_i32 s58, s54
	v_cvt_f16_f32_e32 v1, s6
	s_cselect_b64 s[0:1], -1, 0
	s_cmp_gt_i32 s86, s2
	s_cselect_b64 s[2:3], -1, 0
	s_or_b64 s[0:1], s[2:3], s[0:1]
	v_bfe_u32 v55, v0, 10, 10
	s_mov_b32 s61, 0
	s_and_b64 vcc, exec, s[0:1]
	v_pack_b32_f16 v47, v1, v1
	v_lshlrev_b32_e32 v53, 1, v55
	v_lshlrev_b32_e32 v73, 2, v55
	;; [unrolled: 1-line block ×3, first 2 shown]
	v_and_b32_e32 v75, 3, v55
	s_cbranch_vccz .LBB19_13
; %bb.11:
	s_andn2_b64 vcc, exec, s[10:11]
	s_cbranch_vccz .LBB19_219
.LBB19_12:
	s_endpgm
.LBB19_13:
	s_cmp_eq_u64 s[24:25], 0
	v_writelane_b32 v197, s35, 11
	s_cselect_b64 s[0:1], -1, 0
	v_writelane_b32 v197, s0, 12
	s_cmp_lg_u64 s[26:27], 0
	v_writelane_b32 v197, s1, 13
	s_cselect_b64 s[0:1], -1, 0
	v_and_b32_e32 v1, 0x3ff, v0
	v_writelane_b32 v197, s0, 14
	v_lshrrev_b32_e32 v2, 3, v1
	v_writelane_b32 v197, s1, 15
	v_lshrrev_b32_e32 v3, 5, v1
	v_and_b32_e32 v14, 15, v1
	v_and_b32_e32 v4, 0x3f0, v73
	s_movk_i32 s0, 0xf0
	v_and_b32_e32 v10, 30, v2
	v_lshlrev_b32_e32 v12, 1, v1
	v_add_u32_e32 v49, v3, v53
	v_mad_u32_u24 v5, v4, s0, 0
	v_mul_u32_u24_e32 v9, 0xf0, v14
	v_lshlrev_b32_e32 v11, 2, v10
	v_and_b32_e32 v16, 62, v12
	v_lshrrev_b32_e32 v12, 1, v1
	v_lshlrev_b32_e32 v15, 2, v1
	v_add3_u32 v51, v5, v9, v11
	v_mul_u32_u24_e32 v5, 0x90, v49
	v_lshl_add_u32 v12, v55, 5, v12
	v_lshlrev_b32_e32 v13, 1, v16
	v_and_b32_e32 v18, 4, v15
	v_add3_u32 v77, 0, v5, v13
	v_mad_u32_u24 v13, v12, s0, 0
	v_lshlrev_b32_e32 v17, 2, v18
	s_movk_i32 s6, 0xc0
	v_and_b32_e32 v20, 48, v57
	v_add3_u32 v79, v13, v17, s6
	v_lshrrev_b32_e32 v13, 2, v1
	v_mad_u32_u24 v22, v20, s0, 0
	v_add3_u32 v81, v22, v9, v11
	v_and_b32_e32 v9, 60, v13
	v_and_or_b32 v4, v1, 14, v4
	v_add_u16_e32 v11, v20, v9
	v_lshrrev_b32_e32 v4, 1, v4
	v_lshrrev_b16_e32 v11, 1, v11
	v_mul_u32_u24_e32 v4, 0x90, v4
	v_lshlrev_b32_e32 v11, 2, v11
	v_add3_u32 v86, 0, v4, v11
	v_mul_u32_u24_e32 v11, 0x78, v9
	v_or_b32_e32 v11, v11, v14
	v_add_u32_e32 v19, v57, v13
	v_mul_u32_u24_e32 v9, 0xf0, v9
	v_lshl_add_u32 v87, v11, 1, v22
	v_lshlrev_b32_e32 v11, 1, v14
	s_lshl_b32 s60, s44, 4
	s_ashr_i32 s39, s38, 31
	s_ashr_i32 s35, s34, 31
	v_mad_u32_u24 v21, v19, s0, 0
	s_ashr_i32 s15, s14, 31
	v_or_b32_e32 v4, 3, v13
	v_add3_u32 v88, v22, v9, v11
	s_lshl_b64 s[0:1], s[60:61], 3
	v_or_b32_e32 v9, v73, v1
	v_lshlrev_b32_e32 v7, 3, v55
	v_mul_u32_u24_e32 v4, 0xf0, v4
	v_and_b32_e32 v20, 12, v15
	s_add_u32 s0, s30, s0
	v_lshlrev_b32_e32 v9, 3, v9
	v_add_u32_e32 v8, v7, v2
	v_add3_u32 v89, v22, v4, v11
	s_movk_i32 s57, 0x80
	v_lshlrev_b32_e32 v4, 2, v20
	v_and_b32_e32 v22, 28, v15
	s_addc_u32 s1, s31, s1
	v_add_co_u32_e32 v24, vcc, s0, v9
	v_or_b32_e32 v9, v57, v14
	v_mul_u32_u24_e32 v23, 0xf0, v8
	v_add3_u32 v90, v21, v4, s57
	v_lshlrev_b32_e32 v4, 2, v22
	v_mov_b32_e32 v11, s1
	v_mad_u32_u24 v9, v9, 60, v10
	v_lshrrev_b32_e32 v10, 1, v55
	v_mul_u32_u24_e32 v5, 0xf0, v12
	v_add3_u32 v91, 0, v23, v4
	v_add_u32_e32 v4, 0, v17
	v_addc_co_u32_e32 v25, vcc, 0, v11, vcc
	v_add_u32_e32 v11, v3, v10
	v_add3_u32 v92, v4, v5, s6
	v_lshlrev_b32_e32 v4, 2, v11
	v_and_b32_e32 v5, 15, v11
	s_movk_i32 s0, 0x3c0
	v_add_u32_e32 v17, 2, v11
	v_and_or_b32 v15, v4, s0, v5
	v_lshlrev_b32_e32 v4, 2, v17
	v_and_b32_e32 v5, 15, v17
	s_movk_i32 s0, 0x7c0
	v_add_u32_e32 v23, 4, v11
	v_and_or_b32 v21, v4, s0, v5
	v_lshlrev_b32_e32 v4, 2, v23
	v_and_b32_e32 v5, 15, v23
	v_add_u32_e32 v35, 6, v11
	v_and_or_b32 v29, v4, s0, v5
	v_lshlrev_b32_e32 v4, 2, v35
	v_and_b32_e32 v5, 15, v35
	;; [unrolled: 4-line block ×4, first 2 shown]
	v_add_u32_e32 v58, 12, v11
	v_lshrrev_b32_e32 v6, 4, v1
	v_and_or_b32 v56, v4, s0, v5
	v_lshlrev_b32_e32 v4, 2, v58
	v_and_b32_e32 v5, 15, v58
	v_add_u32_e32 v60, 14, v11
	v_add_u32_e32 v13, v6, v55
	v_and_or_b32 v59, v4, s0, v5
	v_lshlrev_b32_e32 v4, 2, v60
	v_and_b32_e32 v5, 15, v60
	v_and_or_b32 v61, v4, s0, v5
	v_lshlrev_b32_e32 v4, 2, v13
	v_and_b32_e32 v5, 15, v13
	v_add_u32_e32 v63, 4, v13
	v_and_or_b32 v62, v4, s0, v5
	v_lshlrev_b32_e32 v4, 2, v63
	s_movk_i32 s0, 0xfc0
	v_and_b32_e32 v5, 15, v63
	v_add_u32_e32 v65, 8, v13
	v_writelane_b32 v197, s44, 16
	v_and_or_b32 v64, v4, s0, v5
	v_lshlrev_b32_e32 v4, 2, v65
	v_and_b32_e32 v5, 15, v65
	v_add_u32_e32 v67, 12, v13
	v_and_or_b32 v66, v4, s0, v5
	v_lshlrev_b32_e32 v4, 2, v67
	v_and_b32_e32 v5, 15, v67
	v_readlane_b32 s44, v197, 3
	v_and_or_b32 v68, v4, s0, v5
	v_add_u32_e32 v4, v2, v53
	s_abs_i32 s88, s44
	v_lshlrev_b32_e32 v5, 2, v4
	v_and_b32_e32 v26, 15, v4
	v_add_u32_e32 v70, 8, v4
	v_cvt_f32_u32_e32 v4, s88
	v_readlane_b32 s51, v197, 2
	s_abs_i32 s89, s51
	v_cvt_f32_u32_e32 v27, s89
	v_rcp_iflag_f32_e32 v4, v4
	v_readlane_b32 s45, v197, 1
	v_and_or_b32 v69, v5, s0, v26
	s_movk_i32 s0, 0x1fc0
	v_lshlrev_b32_e32 v5, 2, v70
	v_and_b32_e32 v26, 15, v70
	v_mul_f32_e32 v4, 0x4f7ffffe, v4
	s_abs_i32 s90, s45
	s_abs_i32 s91, s12
	v_and_or_b32 v71, v5, s0, v26
	v_cvt_u32_f32_e32 v4, v4
	v_rcp_iflag_f32_e32 v5, v27
	v_cvt_f32_u32_e32 v26, s90
	v_cvt_f32_u32_e32 v27, s91
	v_readfirstlane_b32 s7, v4
	s_mov_b32 s0, s12
	v_rcp_iflag_f32_e32 v4, v26
	v_rcp_iflag_f32_e32 v26, v27
	v_writelane_b32 v197, s0, 17
	v_mul_f32_e32 v5, 0x4f7ffffe, v5
	v_mul_f32_e32 v4, 0x4f7ffffe, v4
	;; [unrolled: 1-line block ×3, first 2 shown]
	v_cvt_u32_f32_e32 v4, v4
	v_cvt_u32_f32_e32 v26, v26
	v_writelane_b32 v197, s1, 18
	v_cvt_u32_f32_e32 v5, v5
	s_sub_i32 s0, 0, s91
	v_readfirstlane_b32 s10, v4
	v_mul_lo_u32 v4, s0, v26
	v_mul_hi_u32 v4, v26, v4
	v_add_u32_e32 v93, v26, v4
	v_mul_lo_u32 v4, s14, v12
	v_readfirstlane_b32 s11, v5
	v_ashrrev_i32_e32 v5, 31, v4
	v_and_b32_e32 v28, 1, v1
	v_lshlrev_b64 v[26:27], 2, v[4:5]
	v_lshlrev_b32_e32 v40, 4, v28
	v_add_co_u32_e32 v4, vcc, v40, v26
	v_addc_co_u32_e32 v5, vcc, 0, v27, vcc
	v_mov_b32_e32 v30, s21
	v_add_co_u32_e32 v72, vcc, s20, v4
	v_mul_lo_u32 v4, s14, v19
	v_addc_co_u32_e32 v74, vcc, v5, v30, vcc
	v_ashrrev_i32_e32 v5, 31, v4
	v_and_b32_e32 v30, 3, v1
	v_lshlrev_b32_e32 v42, 4, v30
	v_lshlrev_b64 v[30:31], 2, v[4:5]
	v_add_co_u32_e32 v4, vcc, v42, v30
	v_addc_co_u32_e32 v5, vcc, 0, v31, vcc
	v_mov_b32_e32 v32, s21
	v_add_co_u32_e32 v76, vcc, s20, v4
	v_mul_lo_u32 v4, s14, v8
	v_addc_co_u32_e32 v78, vcc, v5, v32, vcc
	v_ashrrev_i32_e32 v5, 31, v4
	v_and_b32_e32 v34, 7, v1
	v_lshlrev_b64 v[32:33], 2, v[4:5]
	v_lshlrev_b32_e32 v46, 4, v34
	v_add_co_u32_e32 v4, vcc, v46, v32
	v_addc_co_u32_e32 v5, vcc, 0, v33, vcc
	v_add_co_u32_e32 v94, vcc, s20, v4
	v_add_u32_e32 v4, 32, v8
	v_mov_b32_e32 v36, s21
	v_mul_lo_u32 v4, s14, v4
	v_addc_co_u32_e32 v95, vcc, v36, v5, vcc
	v_ashrrev_i32_e32 v5, 31, v4
	v_lshlrev_b64 v[36:37], 2, v[4:5]
	v_add_co_u32_e32 v4, vcc, v46, v36
	v_addc_co_u32_e32 v5, vcc, 0, v37, vcc
	v_mov_b32_e32 v38, s21
	v_add_co_u32_e32 v96, vcc, s20, v4
	v_mul_lo_u32 v4, s34, v12
	v_addc_co_u32_e32 v97, vcc, v38, v5, vcc
	v_ashrrev_i32_e32 v5, 31, v4
	v_lshlrev_b64 v[38:39], 2, v[4:5]
	v_add_co_u32_e32 v4, vcc, v40, v38
	v_addc_co_u32_e32 v5, vcc, 0, v39, vcc
	v_cmp_gt_u32_e64 s[0:1], 64, v12
	v_mov_b32_e32 v12, s19
	v_add_co_u32_e32 v80, vcc, s18, v4
	v_mul_lo_u32 v4, s34, v19
	v_addc_co_u32_e32 v12, vcc, v5, v12, vcc
	v_ashrrev_i32_e32 v5, 31, v4
	v_lshlrev_b64 v[40:41], 2, v[4:5]
	v_add_co_u32_e32 v4, vcc, v42, v40
	v_addc_co_u32_e32 v5, vcc, 0, v41, vcc
	v_mov_b32_e32 v19, s19
	v_add_co_u32_e32 v82, vcc, s18, v4
	v_mul_lo_u32 v4, s34, v8
	v_addc_co_u32_e32 v19, vcc, v5, v19, vcc
	v_ashrrev_i32_e32 v5, 31, v4
	v_lshlrev_b64 v[42:43], 2, v[4:5]
	v_add_co_u32_e32 v5, vcc, v46, v42
	v_addc_co_u32_e32 v44, vcc, 0, v43, vcc
	v_lshl_add_u32 v4, s34, 5, v4
	v_mov_b32_e32 v45, s19
	v_add_co_u32_e32 v98, vcc, s18, v5
	v_ashrrev_i32_e32 v5, 31, v4
	v_addc_co_u32_e32 v99, vcc, v45, v44, vcc
	v_lshlrev_b64 v[44:45], 2, v[4:5]
	v_add_co_u32_e32 v4, vcc, v46, v44
	v_addc_co_u32_e32 v5, vcc, 0, v45, vcc
	v_add_co_u32_e32 v100, vcc, s18, v4
	v_add_u16_e32 v4, v73, v6
	v_lshrrev_b16_e32 v102, 1, v4
	v_add_u32_e32 v4, v73, v6
	v_mad_u32_u24 v4, v4, 60, v14
	v_lshl_add_u32 v103, v4, 2, 0
	v_add_u16_e32 v4, v7, v2
	v_lshrrev_b16_e32 v104, 1, v4
	v_mad_u32_u24 v4, v8, 60, v34
	v_mov_b32_e32 v46, s19
	v_lshl_add_u32 v105, v4, 2, 0
	v_add_u32_e32 v4, v57, v1
	v_addc_co_u32_e32 v101, vcc, v46, v5, vcc
	v_mul_u32_u24_e32 v106, 0xf0, v4
	v_add_u16_e32 v4, v3, v10
	v_add_u16_e32 v3, v3, v53
	v_and_b32_e32 v46, 31, v1
	v_lshrrev_b16_e32 v108, 1, v3
	v_mad_u32_u24 v3, v49, 60, v46
	v_lshl_add_u32 v109, v3, 2, 0
	v_add_u32_e32 v3, 8, v49
	v_lshrrev_b32_e32 v110, 1, v3
	v_mad_u32_u24 v3, v15, 60, v46
	v_lshl_add_u32 v113, v3, 2, 0
	v_mad_u32_u24 v3, v21, 60, v46
	v_lshl_add_u32 v116, v3, 2, 0
	;; [unrolled: 2-line block ×5, first 2 shown]
	v_mad_u32_u24 v3, v56, 60, v46
	s_ashr_i32 s44, s44, 31
	v_lshl_add_u32 v128, v3, 2, 0
	v_mad_u32_u24 v3, v59, 60, v46
	v_writelane_b32 v197, s44, 19
	s_sub_i32 s44, 0, s88
	v_lshl_add_u32 v131, v3, 2, 0
	v_mad_u32_u24 v3, v61, 60, v46
	s_mul_i32 s44, s44, s7
	v_lshl_add_u32 v134, v3, 2, 0
	v_add_u16_e32 v3, v6, v55
	s_mul_hi_u32 s44, s7, s44
	v_lshrrev_b16_e32 v135, 1, v3
	v_mad_u32_u24 v3, v62, 60, v14
	v_add_u16_e32 v2, v2, v53
	s_add_i32 s7, s7, s44
	v_lshl_add_u32 v137, v3, 2, 0
	v_mad_u32_u24 v3, v64, 60, v14
	v_lshrrev_b16_e32 v147, 1, v2
	v_mad_u32_u24 v2, v69, 60, v34
	v_writelane_b32 v197, s7, 20
	s_ashr_i32 s7, s51, 31
	v_lshl_add_u32 v140, v3, 2, 0
	v_mad_u32_u24 v3, v66, 60, v14
	v_lshl_add_u32 v149, v2, 2, 0
	v_mad_u32_u24 v2, v71, 60, v34
	v_writelane_b32 v197, s7, 21
	s_sub_i32 s7, 0, s89
	v_lshl_add_u32 v143, v3, 2, 0
	v_mad_u32_u24 v3, v68, 60, v14
	v_lshl_add_u32 v152, v2, 2, 0
	s_mul_i32 s7, s7, s11
	v_lshlrev_b32_e32 v2, 2, v46
	v_lshl_add_u32 v146, v3, 2, 0
	s_mul_hi_u32 s7, s11, s7
	v_mov_b32_e32 v3, s23
	v_add_co_u32_e32 v153, vcc, s22, v2
	s_add_i32 s7, s11, s7
	v_addc_co_u32_e32 v154, vcc, 0, v3, vcc
	v_writelane_b32 v197, s7, 22
	s_ashr_i32 s7, s45, 31
	v_add_co_u32_e32 v155, vcc, s6, v72
	v_writelane_b32 v197, s7, 23
	s_sub_i32 s7, 0, s90
	v_addc_co_u32_e32 v156, vcc, 0, v74, vcc
	s_mul_i32 s7, s7, s10
	v_add_co_u32_e32 v157, vcc, s57, v76
	s_mul_hi_u32 s7, s10, s7
	v_addc_co_u32_e32 v158, vcc, 0, v78, vcc
	s_add_i32 s7, s10, s7
	v_add_co_u32_e32 v159, vcc, s6, v80
	v_lshrrev_b32_e32 v123, 1, v50
	v_writelane_b32 v197, s7, 24
	s_lshl_b64 s[10:11], s[38:39], 1
	v_addc_co_u32_e32 v160, vcc, 0, v12, vcc
	v_mbcnt_lo_u32_b32 v2, -1, 0
	v_bfe_u32 v165, v1, 4, 1
	v_bfe_u32 v50, v1, 3, 1
	v_cmp_gt_u32_e64 s[8:9], 16, v1
	v_writelane_b32 v197, s10, 25
	v_add_co_u32_e32 v161, vcc, s57, v82
	v_mbcnt_hi_u32_b32 v163, -1, v2
	v_bfe_u32 v164, v1, 5, 1
	v_mul_lo_u32 v2, s52, v165
	v_mul_lo_u32 v1, s52, v50
	v_cmp_gt_u32_e64 s[2:3], 16, v8
	v_cmp_eq_u32_e64 s[4:5], 0, v75
	v_cmp_ne_u32_e64 s[12:13], 0, v75
	v_lshl_add_u32 v107, v9, 2, 0
	v_lshrrev_b16_e32 v111, 1, v4
	v_mul_u32_u24_e32 v112, 0xf0, v15
	v_lshrrev_b32_e32 v114, 1, v17
	v_mul_u32_u24_e32 v115, 0xf0, v21
	v_lshrrev_b32_e32 v117, 1, v23
	v_mul_u32_u24_e32 v118, 0xf0, v29
	v_lshrrev_b32_e32 v120, 1, v35
	v_mul_u32_u24_e32 v121, 0xf0, v48
	v_mul_u32_u24_e32 v124, 0xf0, v52
	v_lshrrev_b32_e32 v126, 1, v54
	v_mul_u32_u24_e32 v127, 0xf0, v56
	v_lshrrev_b32_e32 v129, 1, v58
	v_mul_u32_u24_e32 v130, 0xf0, v59
	v_lshrrev_b32_e32 v132, 1, v60
	v_mul_u32_u24_e32 v133, 0xf0, v61
	;; [unrolled: 7-line block ×3, first 2 shown]
	v_mul_u32_u24_e32 v148, 0xf0, v69
	v_lshrrev_b32_e32 v150, 1, v70
	v_mul_u32_u24_e32 v151, 0xf0, v71
	v_writelane_b32 v197, s11, 26
	s_lshl_b64 s[68:69], s[14:15], 8
	s_lshl_b64 s[70:71], s[34:35], 8
	v_addc_co_u32_e32 v162, vcc, 0, v19, vcc
	s_mov_b32 s39, 0x3fb8aa3b
	s_mov_b32 s67, 0xc2ce8ed0
	;; [unrolled: 1-line block ×5, first 2 shown]
	s_movk_i32 s51, 0x47
	v_mov_b32_e32 v166, 0
	v_add3_u32 v48, v2, v14, 32
	v_add3_u32 v52, v1, v34, 48
	v_add_u32_e32 v167, 32, v88
	v_add_u32_e32 v168, 64, v88
	;; [unrolled: 1-line block ×7, first 2 shown]
	v_and_b32_e32 v54, 1, v11
	v_and_b32_e32 v56, 1, v13
	v_mov_b32_e32 v174, 0x7f800000
	v_mad_u64_u32 v[58:59], s[10:11], s52, v164, v[46:47]
	v_writelane_b32 v197, s52, 27
	s_branch .LBB19_16
.LBB19_14:                              ;   in Loop: Header=BB19_16 Depth=1
	s_or_b64 exec, exec, s[72:73]
	s_barrier
.LBB19_15:                              ;   in Loop: Header=BB19_16 Depth=1
	s_add_i32 s10, s54, s86
	s_abs_i32 s42, s10
	s_mul_hi_u32 s44, s42, s50
	s_mul_i32 s44, s44, s87
	s_sub_i32 s42, s42, s44
	s_ashr_i32 s11, s10, 31
	s_sub_i32 s44, s42, s87
	s_cmp_ge_u32 s42, s87
	s_cselect_b32 s42, s44, s42
	s_sub_i32 s44, s42, s87
	s_cmp_ge_u32 s42, s87
	s_cselect_b32 s42, s44, s42
	s_xor_b32 s42, s42, s11
	s_sub_i32 s11, s11, s42
	s_add_i32 s54, s10, s11
	s_sub_i32 s44, s58, s54
	s_min_i32 s42, s86, s44
	s_cmp_gt_i32 s58, s54
	s_cselect_b64 s[10:11], -1, 0
	s_cmp_le_i32 s86, s44
	s_cselect_b64 s[44:45], -1, 0
	s_and_b64 s[44:45], s[44:45], s[10:11]
	s_mov_b32 s76, 0
	s_and_b64 vcc, exec, s[44:45]
	s_cbranch_vccz .LBB19_218
.LBB19_16:                              ; =>This Loop Header: Depth=1
                                        ;     Child Loop BB19_139 Depth 2
                                        ;     Child Loop BB19_36 Depth 2
	s_ashr_i32 s10, s54, 31
	v_readlane_b32 s11, v197, 19
	s_xor_b32 s10, s10, s11
	s_abs_i32 s11, s54
	v_readlane_b32 s44, v197, 20
	s_mul_hi_u32 s44, s11, s44
	s_mul_i32 s45, s44, s88
	s_sub_i32 s11, s11, s45
	s_add_i32 s45, s44, 1
	s_sub_i32 s52, s11, s88
	s_cmp_ge_u32 s11, s88
	s_cselect_b32 s44, s45, s44
	s_cselect_b32 s11, s52, s11
	s_add_i32 s45, s44, 1
	s_cmp_ge_u32 s11, s88
	s_cselect_b32 s11, s45, s44
	s_xor_b32 s11, s11, s10
	s_sub_i32 s10, s11, s10
	v_readlane_b32 s11, v197, 3
	s_mul_i32 s11, s10, s11
	s_sub_i32 s44, s54, s11
	s_ashr_i32 s11, s44, 31
	v_readlane_b32 s45, v197, 21
	s_xor_b32 s11, s11, s45
	s_abs_i32 s45, s44
	v_readlane_b32 s52, v197, 22
	s_mul_hi_u32 s52, s45, s52
	s_mul_i32 s53, s52, s89
	s_sub_i32 s45, s45, s53
	s_add_i32 s53, s52, 1
	s_sub_i32 s56, s45, s89
	s_cmp_ge_u32 s45, s89
	s_cselect_b32 s52, s53, s52
	s_cselect_b32 s45, s56, s45
	s_add_i32 s53, s52, 1
	s_cmp_ge_u32 s45, s89
	s_cselect_b32 s45, s53, s52
	s_xor_b32 s45, s45, s11
	s_sub_i32 s11, s45, s11
	v_readlane_b32 s45, v197, 2
	s_mul_i32 s45, s11, s45
	s_sub_i32 s44, s44, s45
	;; [unrolled: 21-line block ×3, first 2 shown]
	s_ashr_i32 s52, s44, 31
	v_readlane_b32 s53, v197, 10
	s_abs_i32 s44, s44
	s_xor_b32 s52, s52, s53
	s_mul_hi_u32 s53, s44, s50
	s_mul_i32 s56, s53, s87
	s_sub_i32 s44, s44, s56
	s_add_i32 s56, s53, 1
	s_sub_i32 s59, s44, s87
	s_cmp_ge_u32 s44, s87
	s_cselect_b32 s53, s56, s53
	s_cselect_b32 s44, s59, s44
	s_add_i32 s56, s53, 1
	s_cmp_ge_u32 s44, s87
	s_cselect_b32 s44, s56, s53
	v_readlane_b32 s62, v197, 14
	s_xor_b32 s44, s44, s52
	v_readlane_b32 s63, v197, 15
	s_andn2_b64 vcc, exec, s[62:63]
	s_sub_i32 s44, s44, s52
	s_cbranch_vccnz .LBB19_18
; %bb.17:                               ;   in Loop: Header=BB19_16 Depth=1
	v_readlane_b32 s52, v197, 0
	s_mul_i32 s52, s10, s52
	s_add_i32 s52, s44, s52
	s_ashr_i32 s53, s52, 31
	s_lshl_b64 s[52:53], s[52:53], 2
	s_add_u32 s52, s26, s52
	s_addc_u32 s53, s27, s53
	global_load_dword v1, v166, s[52:53]
	s_waitcnt vmcnt(0)
	v_readfirstlane_b32 s52, v1
	s_ashr_i32 s53, s52, 31
	s_lshr_b32 s53, s53, 26
	s_add_i32 s52, s52, s53
	s_ashr_i32 s52, s52, 6
	s_min_i32 s42, s42, s52
.LBB19_18:                              ;   in Loop: Header=BB19_16 Depth=1
	v_readlane_b32 s62, v197, 4
	v_readlane_b32 s63, v197, 5
	s_mul_i32 s52, s11, s33
	s_lshl_b32 s85, s45, 1
	s_mul_i32 s45, s10, s63
	s_add_i32 s72, s85, s52
	s_ashr_i32 s52, s45, 31
	s_add_u32 s45, s16, s45
	s_mul_i32 s53, s72, s62
	s_addc_u32 s52, s17, s52
	s_ashr_i32 s59, s53, 31
	s_add_u32 s56, s45, s53
	s_addc_u32 s66, s52, s59
	s_ashr_i32 s45, s10, 31
	s_mul_i32 s52, s10, s41
	s_mul_hi_u32 s53, s10, s40
	s_add_i32 s52, s53, s52
	s_mul_i32 s53, s45, s40
	v_readlane_b32 s62, v197, 8
	s_add_i32 s94, s52, s53
	s_mul_i32 s93, s10, s40
	v_readlane_b32 s63, v197, 9
	s_add_u32 s53, s18, s93
	s_mul_i32 s65, s11, s63
	s_addc_u32 s59, s19, s94
	s_ashr_i32 s52, s65, 31
	s_add_u32 s64, s53, s65
	s_addc_u32 s63, s59, s52
	s_abs_i32 s53, s10
	v_mul_hi_u32 v1, s53, v93
	v_mul_lo_u32 v1, v1, s91
	v_sub_u32_e32 v1, s53, v1
	s_mul_i32 s53, s36, s37
	v_subrev_u32_e32 v2, s91, v1
	v_cmp_le_u32_e32 vcc, s91, v1
	s_mul_i32 s53, s53, s10
	v_cndmask_b32_e32 v1, v1, v2, vcc
	s_add_i32 s53, s72, s53
	v_subrev_u32_e32 v2, s91, v1
	v_cmp_le_u32_e32 vcc, s91, v1
	s_mul_i32 s60, s53, 56
	v_cndmask_b32_e32 v1, v1, v2, vcc
	s_lshl_b64 s[74:75], s[60:61], 3
	v_xor_b32_e32 v1, s45, v1
	s_add_u32 s83, s28, s74
	s_mul_i32 s53, s10, s47
	s_mul_hi_u32 s59, s10, s46
	v_subrev_u32_e32 v1, s45, v1
	s_addc_u32 s84, s29, s75
	s_add_i32 s53, s59, s53
	s_mul_i32 s45, s45, s46
	s_add_i32 s59, s53, s45
	s_mul_i32 s95, s10, s46
	s_add_u32 s10, s20, s95
	s_mul_i32 s53, s11, s43
	s_addc_u32 s45, s21, s59
	s_ashr_i32 s60, s53, 31
	s_add_u32 s82, s10, s53
	s_addc_u32 s62, s45, s60
	s_ashr_i32 s73, s72, 31
	s_lshl_b64 s[10:11], s[72:73], 2
	v_ashrrev_i32_e32 v2, 31, v1
	v_mul_lo_u32 v3, v1, s49
	v_mul_hi_u32 v4, v1, s48
	s_add_u32 s45, s24, s10
	v_add_u32_e32 v3, v4, v3
	v_mul_lo_u32 v2, v2, s48
	v_mul_lo_u32 v60, v1, s48
	s_addc_u32 s72, s25, s11
	v_readlane_b32 s10, v197, 12
	v_add_u32_e32 v61, v3, v2
	v_mov_b32_e32 v1, s23
	v_add_co_u32_e32 v59, vcc, s22, v60
	v_readlane_b32 s11, v197, 13
	v_addc_co_u32_e32 v175, vcc, v1, v61, vcc
	s_and_b64 s[10:11], s[10:11], exec
	v_or_b32_e32 v17, s85, v164
	s_cselect_b32 s73, 0, s72
	s_cselect_b32 s72, 0, s45
	s_cmp_lg_u32 s76, 0
	v_cmp_gt_i32_e32 vcc, s33, v17
	s_cbranch_scc0 .LBB19_42
; %bb.19:                               ;   in Loop: Header=BB19_16 Depth=1
	s_lshl_b32 s45, s44, 3
	v_add_u32_e32 v1, s45, v108
	s_xor_b64 s[10:11], vcc, -1
	v_cmp_le_i32_e32 vcc, s36, v1
	s_or_b64 s[74:75], vcc, s[10:11]
	s_and_saveexec_b64 s[78:79], s[74:75]
	s_xor_b64 s[74:75], exec, s[78:79]
	s_cbranch_execz .LBB19_21
; %bb.20:                               ;   in Loop: Header=BB19_16 Depth=1
	ds_write_b32 v109, v166
                                        ; implicit-def: $vgpr1
.LBB19_21:                              ;   in Loop: Header=BB19_16 Depth=1
	s_andn2_saveexec_b64 s[74:75], s[74:75]
	s_cbranch_execz .LBB19_23
; %bb.22:                               ;   in Loop: Header=BB19_16 Depth=1
	v_mad_u64_u32 v[2:3], s[78:79], v1, s55, v[58:59]
	v_ashrrev_i32_e32 v3, 31, v2
	v_lshlrev_b64 v[2:3], 3, v[2:3]
	v_mov_b32_e32 v1, s66
	v_add_co_u32_e32 v2, vcc, s56, v2
	v_addc_co_u32_e32 v3, vcc, v1, v3, vcc
	global_load_dwordx2 v[2:3], v[2:3], off
	s_waitcnt vmcnt(0)
	v_cvt_f16_f32_e32 v1, v2
	v_cvt_f16_f32_e32 v2, v3
	v_pack_b32_f16 v1, v1, v2
	v_pk_mul_f16 v1, v47, v1
	ds_write_b32 v109, v1
.LBB19_23:                              ;   in Loop: Header=BB19_16 Depth=1
	s_or_b64 exec, exec, s[74:75]
	v_add_u32_e32 v1, s45, v110
	v_cmp_le_i32_e32 vcc, s36, v1
	s_or_b64 s[10:11], vcc, s[10:11]
	s_and_saveexec_b64 s[74:75], s[10:11]
	s_xor_b64 s[10:11], exec, s[74:75]
	s_cbranch_execz .LBB19_25
; %bb.24:                               ;   in Loop: Header=BB19_16 Depth=1
	ds_write_b32 v109, v166 offset:1920
                                        ; implicit-def: $vgpr1
.LBB19_25:                              ;   in Loop: Header=BB19_16 Depth=1
	s_andn2_saveexec_b64 s[10:11], s[10:11]
	s_cbranch_execz .LBB19_27
; %bb.26:                               ;   in Loop: Header=BB19_16 Depth=1
	v_mad_u64_u32 v[2:3], s[74:75], v1, s55, v[58:59]
	v_ashrrev_i32_e32 v3, 31, v2
	v_lshlrev_b64 v[2:3], 3, v[2:3]
	v_mov_b32_e32 v1, s66
	v_add_co_u32_e32 v2, vcc, s56, v2
	v_addc_co_u32_e32 v3, vcc, v1, v3, vcc
	global_load_dwordx2 v[2:3], v[2:3], off
	s_waitcnt vmcnt(0)
	v_cvt_f16_f32_e32 v1, v2
	v_cvt_f16_f32_e32 v2, v3
	v_pack_b32_f16 v1, v1, v2
	v_pk_mul_f16 v1, v47, v1
	ds_write_b32 v109, v1 offset:1920
.LBB19_27:                              ;   in Loop: Header=BB19_16 Depth=1
	s_or_b64 exec, exec, s[10:11]
	v_add_u32_e32 v1, s45, v102
	v_or_b32_e32 v2, s85, v165
	v_cmp_gt_i32_e32 vcc, s36, v1
	v_cmp_gt_i32_e64 s[10:11], s33, v2
	s_and_b64 s[74:75], vcc, s[10:11]
	v_mov_b32_e32 v2, 0
	s_and_saveexec_b64 s[10:11], s[74:75]
	s_cbranch_execz .LBB19_29
; %bb.28:                               ;   in Loop: Header=BB19_16 Depth=1
	v_mad_u64_u32 v[2:3], s[74:75], v1, s55, v[48:49]
	v_ashrrev_i32_e32 v3, 31, v2
	v_lshlrev_b64 v[2:3], 3, v[2:3]
	v_mov_b32_e32 v1, s66
	v_add_co_u32_e32 v2, vcc, s56, v2
	v_addc_co_u32_e32 v3, vcc, v1, v3, vcc
	global_load_dwordx2 v[2:3], v[2:3], off
	s_waitcnt vmcnt(0)
	v_cvt_f16_f32_e32 v1, v2
	v_cvt_f16_f32_e32 v2, v3
	v_pack_b32_f16 v1, v1, v2
	v_pk_mul_f16 v2, v47, v1
.LBB19_29:                              ;   in Loop: Header=BB19_16 Depth=1
	s_or_b64 exec, exec, s[10:11]
	ds_write_b32 v103, v2 offset:128
	s_and_saveexec_b64 s[74:75], s[2:3]
	s_cbranch_execz .LBB19_34
; %bb.30:                               ;   in Loop: Header=BB19_16 Depth=1
	v_or_b32_e32 v1, s45, v104
	v_or_b32_e32 v2, s85, v50
	v_cmp_le_i32_e32 vcc, s36, v1
	v_cmp_le_i32_e64 s[10:11], s33, v2
	s_or_b64 s[10:11], vcc, s[10:11]
	s_and_saveexec_b64 s[78:79], s[10:11]
	s_xor_b64 s[10:11], exec, s[78:79]
	s_cbranch_execz .LBB19_32
; %bb.31:                               ;   in Loop: Header=BB19_16 Depth=1
	ds_write_b32 v105, v166 offset:192
                                        ; implicit-def: $vgpr1
.LBB19_32:                              ;   in Loop: Header=BB19_16 Depth=1
	s_andn2_saveexec_b64 s[10:11], s[10:11]
	s_cbranch_execz .LBB19_34
; %bb.33:                               ;   in Loop: Header=BB19_16 Depth=1
	v_mad_u64_u32 v[2:3], s[10:11], v1, s55, v[52:53]
	v_ashrrev_i32_e32 v3, 31, v2
	v_lshlrev_b64 v[2:3], 3, v[2:3]
	v_mov_b32_e32 v1, s66
	v_add_co_u32_e32 v2, vcc, s56, v2
	v_addc_co_u32_e32 v3, vcc, v1, v3, vcc
	global_load_dwordx2 v[2:3], v[2:3], off
	s_waitcnt vmcnt(0)
	v_cvt_f16_f32_e32 v1, v2
	v_cvt_f16_f32_e32 v2, v3
	v_pack_b32_f16 v1, v1, v2
	v_pk_mul_f16 v1, v47, v1
	ds_write_b32 v105, v1 offset:192
.LBB19_34:                              ;   in Loop: Header=BB19_16 Depth=1
	s_or_b64 exec, exec, s[74:75]
	v_add_u32_e32 v1, s45, v49
	v_readlane_b32 s10, v197, 6
	s_waitcnt lgkmcnt(0)
	s_barrier
	ds_read2_b64 v[10:13], v51 offset1:4
	ds_read2_b64 v[6:9], v51 offset0:8 offset1:12
	ds_read2_b64 v[2:5], v51 offset0:16 offset1:20
	ds_read_b64 v[62:63], v51 offset:192
	v_mul_hi_u32 v15, s10, v1
	v_readlane_b32 s11, v197, 7
	v_add_u32_e32 v15, v1, v15
	v_lshrrev_b32_e32 v15, s11, v15
	v_mul_lo_u32 v15, v15, s36
	v_sub_u32_e32 v1, v1, v15
	s_add_i32 s77, s42, -1
	v_mad_i64_i32 v[64:65], s[10:11], v1, s38, 0
	s_cmp_le_i32 s77, s76
	v_mov_b32_e32 v177, 0
	v_lshlrev_b64 v[66:67], 1, v[64:65]
	s_waitcnt lgkmcnt(0)
	s_barrier
	s_cbranch_scc1 .LBB19_43
; %bb.35:                               ;   in Loop: Header=BB19_16 Depth=1
	v_add_co_u32_e32 v1, vcc, v59, v66
	v_addc_co_u32_e32 v19, vcc, v175, v67, vcc
	v_lshlrev_b32_e32 v15, 1, v16
	v_add_co_u32_e32 v15, vcc, v1, v15
	v_and_b32_e32 v1, 64, v163
	v_addc_co_u32_e32 v19, vcc, 0, v19, vcc
	v_add_u32_e32 v1, 64, v1
	v_xor_b32_e32 v21, 32, v163
	v_cmp_lt_i32_e32 vcc, v21, v1
	v_xor_b32_e32 v23, 16, v163
	v_cndmask_b32_e32 v21, v163, v21, vcc
	v_cmp_lt_i32_e32 vcc, v23, v1
	v_cndmask_b32_e32 v1, v163, v23, vcc
	v_mov_b32_e32 v84, 0
	v_lshlrev_b32_e32 v21, 2, v21
	v_lshlrev_b32_e32 v23, 2, v1
	s_lshl_b32 s10, s76, 6
	v_mov_b32_e32 v176, 0
	v_mov_b32_e32 v181, 0xfeffffff
	;; [unrolled: 1-line block ×15, first 2 shown]
.LBB19_36:                              ;   Parent Loop BB19_16 Depth=1
                                        ; =>  This Inner Loop Header: Depth=2
	s_ashr_i32 s11, s10, 31
	s_lshl_b64 s[74:75], s[10:11], 1
	v_mov_b32_e32 v1, s75
	v_add_co_u32_e32 v68, vcc, s74, v15
	v_addc_co_u32_e32 v69, vcc, v19, v1, vcc
	global_load_dword v1, v[68:69], off
	s_mul_hi_i32 s75, s10, s34
	s_mul_i32 s74, s10, s34
	s_lshl_b64 s[74:75], s[74:75], 2
	s_add_u32 s78, s64, s74
	s_addc_u32 s11, s63, s75
	s_waitcnt vmcnt(0)
	ds_write_b32 v77, v1 offset:15360
	s_and_saveexec_b64 s[74:75], s[0:1]
	s_cbranch_execz .LBB19_38
; %bb.37:                               ;   in Loop: Header=BB19_36 Depth=2
	v_mov_b32_e32 v1, s11
	v_add_co_u32_e32 v64, vcc, s78, v38
	v_addc_co_u32_e32 v1, vcc, v1, v39, vcc
	v_lshlrev_b32_e32 v68, 2, v18
	v_add_co_u32_e32 v68, vcc, v64, v68
	v_addc_co_u32_e32 v69, vcc, 0, v1, vcc
	global_load_dwordx4 v[68:71], v[68:69], off offset:192
	s_waitcnt vmcnt(0)
	ds_write_b128 v79, v[68:71]
.LBB19_38:                              ;   in Loop: Header=BB19_36 Depth=2
	s_or_b64 exec, exec, s[74:75]
	v_add_co_u32_e32 v1, vcc, s78, v40
	v_mov_b32_e32 v64, s11
	v_addc_co_u32_e32 v64, vcc, v64, v41, vcc
	v_lshlrev_b32_e32 v180, 2, v20
	v_add_co_u32_e32 v68, vcc, v1, v180
	v_addc_co_u32_e32 v69, vcc, 0, v64, vcc
	global_load_dwordx4 v[68:71], v[68:69], off offset:128
	v_add_co_u32_e32 v1, vcc, s78, v42
	v_mov_b32_e32 v64, s11
	v_addc_co_u32_e32 v64, vcc, v64, v43, vcc
	v_lshlrev_b32_e32 v179, 2, v22
	s_mul_hi_i32 s75, s10, s14
	s_mul_i32 s74, s10, s14
	s_lshl_b64 s[74:75], s[74:75], 2
	s_waitcnt vmcnt(0)
	ds_write_b128 v90, v[68:71]
	v_add_co_u32_e32 v68, vcc, v1, v179
	v_addc_co_u32_e32 v69, vcc, 0, v64, vcc
	global_load_dwordx4 v[68:71], v[68:69], off
	v_add_co_u32_e32 v1, vcc, s78, v44
	v_mov_b32_e32 v64, s11
	v_addc_co_u32_e32 v64, vcc, v64, v45, vcc
	s_add_u32 s78, s82, s74
	s_addc_u32 s11, s62, s75
	s_waitcnt vmcnt(0)
	ds_write_b128 v91, v[68:71]
	v_add_co_u32_e32 v68, vcc, v1, v179
	v_addc_co_u32_e32 v69, vcc, 0, v64, vcc
	global_load_dwordx4 v[68:71], v[68:69], off
	v_add_u32_e32 v1, 0x3c00, v86
	s_waitcnt vmcnt(0)
	ds_write_b128 v173, v[68:71]
	s_waitcnt lgkmcnt(0)
	s_barrier
	ds_read2_b64 v[68:71], v81 offset1:4
	s_waitcnt lgkmcnt(0)
	v_mfma_f32_16x16x16f16 v[182:185], v[68:69], v[10:11], 0
	v_mfma_f32_16x16x16f16 v[68:71], v[70:71], v[12:13], v[182:185]
	s_nop 7
	s_nop 1
	ds_read2_b64 v[182:185], v81 offset0:8 offset1:12
	s_waitcnt lgkmcnt(0)
	v_mfma_f32_16x16x16f16 v[68:71], v[182:183], v[6:7], v[68:71]
	v_mfma_f32_16x16x16f16 v[68:71], v[184:185], v[8:9], v[68:71]
	ds_read2_b64 v[182:185], v81 offset0:16 offset1:20
	s_waitcnt lgkmcnt(0)
	v_mfma_f32_16x16x16f16 v[68:71], v[182:183], v[2:3], v[68:71]
	ds_read_b64 v[182:183], v81 offset:192
	s_waitcnt lgkmcnt(0)
	s_barrier
	v_mfma_f32_16x16x16f16 v[68:71], v[184:185], v[4:5], v[68:71]
	v_mfma_f32_16x16x16f16 v[182:185], v[182:183], v[62:63], v[68:71]
	s_nop 7
	s_nop 1
	ds_read2_b32 v[70:71], v1 offset1:1
	s_waitcnt lgkmcnt(0)
	v_cvt_f32_f16_e32 v68, v71
	v_cvt_f32_f16_sdwa v69, v71 dst_sel:DWORD dst_unused:UNUSED_PAD src0_sel:WORD_1
	v_pk_add_f32 v[68:69], v[184:185], v[68:69]
	v_cvt_f32_f16_e32 v184, v70
	v_cvt_f32_f16_sdwa v185, v70 dst_sel:DWORD dst_unused:UNUSED_PAD src0_sel:WORD_1
	v_add_f32_e32 v1, 0x40051340, v68
	v_add_f32_e32 v64, 0x40051340, v69
	v_pk_add_f32 v[70:71], v[182:183], v[184:185]
	v_add_f32_e32 v182, 0x40051340, v70
	v_add_f32_e32 v183, 0x40051340, v71
	v_max3_f32 v182, v181, v182, v183
	v_max3_f32 v1, v182, v1, v64
	ds_bpermute_b32 v64, v21, v1
	s_waitcnt lgkmcnt(0)
	v_max_f32_e32 v64, v64, v64
	v_max_f32_e32 v1, v1, v64
	ds_bpermute_b32 v64, v23, v1
	s_and_saveexec_b64 s[74:75], s[0:1]
	s_cbranch_execz .LBB19_40
; %bb.39:                               ;   in Loop: Header=BB19_36 Depth=2
	v_mov_b32_e32 v182, s11
	v_add_co_u32_e32 v183, vcc, s78, v26
	v_addc_co_u32_e32 v184, vcc, v182, v27, vcc
	v_lshlrev_b32_e32 v182, 2, v18
	v_add_co_u32_e32 v182, vcc, v183, v182
	v_addc_co_u32_e32 v183, vcc, 0, v184, vcc
	global_load_dwordx4 v[182:185], v[182:183], off offset:192
	s_waitcnt vmcnt(0)
	ds_write_b128 v79, v[182:185]
.LBB19_40:                              ;   in Loop: Header=BB19_36 Depth=2
	s_or_b64 exec, exec, s[74:75]
	s_waitcnt lgkmcnt(0)
	v_max_f32_e32 v64, v64, v64
	v_max_f32_e32 v1, v1, v1
	;; [unrolled: 1-line block ×3, first 2 shown]
	v_pk_add_f32 v[70:71], v[70:71], v[64:65] op_sel_hi:[1,0] neg_lo:[0,1] neg_hi:[0,1]
	v_mul_f32_e32 v1, 0x3fb8aa3b, v71
	v_fma_f32 v182, v71, s39, -v1
	v_rndne_f32_e32 v183, v1
	v_fmac_f32_e32 v182, 0x32a5705f, v71
	v_sub_f32_e32 v1, v1, v183
	v_add_f32_e32 v1, v1, v182
	v_exp_f32_e32 v1, v1
	v_cvt_i32_f32_e32 v182, v183
	v_cmp_ngt_f32_e32 vcc, s67, v71
	v_pk_add_f32 v[68:69], v[68:69], v[64:65] op_sel_hi:[1,0] neg_lo:[0,1] neg_hi:[0,1]
	s_add_i32 s76, s76, 1
	v_ldexp_f32 v1, v1, v182
	v_cndmask_b32_e32 v1, 0, v1, vcc
	v_cmp_nlt_f32_e32 vcc, s7, v71
	v_cndmask_b32_e32 v182, v174, v1, vcc
	v_mul_f32_e32 v1, 0x3fb8aa3b, v70
	v_fma_f32 v71, v70, s39, -v1
	v_rndne_f32_e32 v183, v1
	v_fmac_f32_e32 v71, 0x32a5705f, v70
	v_sub_f32_e32 v1, v1, v183
	v_add_f32_e32 v1, v1, v71
	v_exp_f32_e32 v1, v1
	v_cvt_i32_f32_e32 v71, v183
	v_cmp_ngt_f32_e32 vcc, s67, v70
	s_add_i32 s10, s10, 64
	s_cmp_lt_i32 s76, s77
	v_ldexp_f32 v1, v1, v71
	v_cndmask_b32_e32 v1, 0, v1, vcc
	v_cmp_nlt_f32_e32 vcc, s7, v70
	v_cndmask_b32_e32 v183, v174, v1, vcc
	v_mul_f32_e32 v1, 0x3fb8aa3b, v69
	v_fma_f32 v70, v69, s39, -v1
	v_rndne_f32_e32 v71, v1
	v_fmac_f32_e32 v70, 0x32a5705f, v69
	v_sub_f32_e32 v1, v1, v71
	v_add_f32_e32 v1, v1, v70
	v_exp_f32_e32 v1, v1
	v_cvt_i32_f32_e32 v70, v71
	v_cmp_ngt_f32_e32 vcc, s67, v69
	v_ldexp_f32 v1, v1, v70
	v_cndmask_b32_e32 v1, 0, v1, vcc
	v_cmp_nlt_f32_e32 vcc, s7, v69
	v_cndmask_b32_e32 v69, v174, v1, vcc
	v_mul_f32_e32 v1, 0x3fb8aa3b, v68
	v_fma_f32 v70, v68, s39, -v1
	v_rndne_f32_e32 v71, v1
	v_fmac_f32_e32 v70, 0x32a5705f, v68
	v_sub_f32_e32 v1, v1, v71
	v_add_f32_e32 v1, v1, v70
	v_exp_f32_e32 v1, v1
	v_cvt_i32_f32_e32 v70, v71
	v_cmp_ngt_f32_e32 vcc, s67, v68
	v_ldexp_f32 v1, v1, v70
	v_cndmask_b32_e32 v1, 0, v1, vcc
	v_cmp_nlt_f32_e32 vcc, s7, v68
	v_sub_f32_e32 v68, v181, v64
	v_mul_f32_e32 v70, 0x3fb8aa3b, v68
	v_fma_f32 v71, v68, s39, -v70
	v_rndne_f32_e32 v181, v70
	v_fmac_f32_e32 v71, 0x32a5705f, v68
	v_sub_f32_e32 v70, v70, v181
	v_add_f32_e32 v70, v70, v71
	v_exp_f32_e32 v70, v70
	v_cvt_i32_f32_e32 v71, v181
	v_cndmask_b32_e32 v184, v174, v1, vcc
	v_cmp_ngt_f32_e32 vcc, s67, v68
	v_add_f32_e32 v1, v183, v182
	v_ldexp_f32 v70, v70, v71
	v_cndmask_b32_e32 v70, 0, v70, vcc
	v_cmp_nlt_f32_e32 vcc, s7, v68
	v_add_f32_e32 v1, v184, v1
	v_cndmask_b32_e32 v70, v174, v70, vcc
	v_cmp_le_f32_e32 vcc, s6, v68
	v_add_f32_e32 v1, v69, v1
	v_cndmask_b32_e32 v68, 0, v70, vcc
	v_fmac_f32_e32 v1, v176, v68
	v_cvt_f16_f32_e32 v68, v68
	v_cvt_f16_f32_e32 v69, v69
	v_pk_mul_f16 v35, v68, v35 op_sel_hi:[0,1]
	v_pk_mul_f16 v29, v68, v29 op_sel_hi:[0,1]
	;; [unrolled: 1-line block ×14, first 2 shown]
	v_cvt_f16_f32_e32 v68, v182
	v_cvt_f16_f32_e32 v85, v183
	v_mov_b32_e32 v177, s11
	v_pack_b32_f16 v68, v85, v68
	v_cvt_f16_f32_e32 v85, v184
	v_pack_b32_f16 v69, v85, v69
	v_add_co_u32_e32 v85, vcc, s78, v30
	v_addc_co_u32_e32 v177, vcc, v177, v31, vcc
	v_add_co_u32_e32 v180, vcc, v85, v180
	v_addc_co_u32_e32 v181, vcc, 0, v177, vcc
	global_load_dwordx4 v[180:183], v[180:181], off offset:128
	v_add_co_u32_e32 v85, vcc, s78, v32
	v_mov_b32_e32 v177, s11
	v_addc_co_u32_e32 v177, vcc, v177, v33, vcc
	s_waitcnt vmcnt(0)
	ds_write_b128 v90, v[180:183]
	v_add_co_u32_e32 v180, vcc, v85, v179
	v_addc_co_u32_e32 v181, vcc, 0, v177, vcc
	global_load_dwordx4 v[180:183], v[180:181], off
	v_add_co_u32_e32 v85, vcc, s78, v36
	v_mov_b32_e32 v177, s11
	v_addc_co_u32_e32 v177, vcc, v177, v37, vcc
	v_add_co_u32_e32 v178, vcc, v85, v179
	v_addc_co_u32_e32 v179, vcc, 0, v177, vcc
	s_waitcnt vmcnt(0)
	ds_write_b128 v91, v[180:183]
	global_load_dwordx4 v[178:181], v[178:179], off
	s_waitcnt vmcnt(0)
	ds_write_b128 v173, v[178:181]
	s_waitcnt lgkmcnt(0)
	s_barrier
	ds_read_u16 v85, v88 offset:240
	ds_read_u16 v177, v88 offset:480
	v_cvt_f32_f16_e32 v180, v29
	v_cvt_f32_f16_sdwa v181, v29 dst_sel:DWORD dst_unused:UNUSED_PAD src0_sel:WORD_1
	ds_read_u16 v29, v89
	ds_read_u16 v184, v89 offset:32
	v_cvt_f32_f16_e32 v178, v35
	v_cvt_f32_f16_sdwa v179, v35 dst_sel:DWORD dst_unused:UNUSED_PAD src0_sel:WORD_1
	s_waitcnt lgkmcnt(1)
	v_perm_b32 v183, v29, v177, s92
	ds_read_u16 v29, v87
	ds_read_u16 v177, v87 offset:32
	s_waitcnt lgkmcnt(1)
	v_perm_b32 v182, v85, v29, s92
	s_nop 1
	v_mfma_f32_16x16x16f16 v[178:181], v[182:183], v[68:69], v[178:181]
	s_nop 7
	s_nop 2
	v_cvt_f16_f32_e32 v29, v178
	v_cvt_f16_f32_e32 v35, v179
	;; [unrolled: 1-line block ×4, first 2 shown]
	v_cvt_f32_f16_sdwa v179, v72 dst_sel:DWORD dst_unused:UNUSED_PAD src0_sel:WORD_1
	v_pack_b32_f16 v35, v29, v35
	v_cvt_f32_f16_e32 v180, v65
	v_pack_b32_f16 v29, v85, v178
	ds_read_u16 v85, v167 offset:240
	ds_read_u16 v182, v167 offset:480
	v_cvt_f32_f16_e32 v178, v72
	v_cvt_f32_f16_sdwa v181, v65 dst_sel:DWORD dst_unused:UNUSED_PAD src0_sel:WORD_1
	s_waitcnt lgkmcnt(0)
	v_perm_b32 v183, v184, v182, s92
	v_perm_b32 v182, v85, v177, s92
	s_nop 1
	v_mfma_f32_16x16x16f16 v[178:181], v[182:183], v[68:69], v[178:181]
	s_nop 7
	s_nop 2
	v_cvt_f16_f32_e32 v65, v178
	v_cvt_f16_f32_e32 v72, v179
	v_cvt_f16_f32_e32 v85, v180
	v_cvt_f16_f32_e32 v177, v181
	v_cvt_f32_f16_e32 v178, v76
	v_pack_b32_f16 v72, v65, v72
	v_cvt_f32_f16_sdwa v179, v76 dst_sel:DWORD dst_unused:UNUSED_PAD src0_sel:WORD_1
	v_pack_b32_f16 v65, v85, v177
	ds_read_u16 v85, v87 offset:64
	ds_read_u16 v177, v168 offset:240
	ds_read_u16 v182, v168 offset:480
	ds_read_u16 v183, v89 offset:64
	v_cvt_f32_f16_e32 v180, v74
	v_cvt_f32_f16_sdwa v181, v74 dst_sel:DWORD dst_unused:UNUSED_PAD src0_sel:WORD_1
	s_waitcnt lgkmcnt(0)
	v_perm_b32 v183, v183, v182, s92
	v_perm_b32 v182, v177, v85, s92
	s_nop 1
	v_mfma_f32_16x16x16f16 v[178:181], v[182:183], v[68:69], v[178:181]
	s_nop 7
	s_nop 2
	v_cvt_f16_f32_e32 v74, v178
	v_cvt_f16_f32_e32 v76, v179
	v_cvt_f16_f32_e32 v85, v180
	v_cvt_f16_f32_e32 v177, v181
	v_cvt_f32_f16_e32 v178, v80
	v_pack_b32_f16 v76, v74, v76
	v_cvt_f32_f16_sdwa v179, v80 dst_sel:DWORD dst_unused:UNUSED_PAD src0_sel:WORD_1
	v_pack_b32_f16 v74, v85, v177
	ds_read_u16 v85, v87 offset:96
	ds_read_u16 v177, v169 offset:240
	;; [unrolled: 21-line block ×3, first 2 shown]
	ds_read_u16 v182, v170 offset:480
	ds_read_u16 v183, v89 offset:128
	v_cvt_f32_f16_e32 v180, v82
	v_cvt_f32_f16_sdwa v181, v82 dst_sel:DWORD dst_unused:UNUSED_PAD src0_sel:WORD_1
	s_waitcnt lgkmcnt(2)
	v_perm_b32 v82, v177, v85, s92
	s_waitcnt lgkmcnt(0)
	v_perm_b32 v83, v183, v182, s92
	s_nop 1
	v_mfma_f32_16x16x16f16 v[178:181], v[82:83], v[68:69], v[178:181]
	s_nop 7
	s_nop 2
	v_cvt_f16_f32_e32 v82, v178
	v_cvt_f16_f32_e32 v83, v179
	;; [unrolled: 1-line block ×4, first 2 shown]
	v_cvt_f32_f16_e32 v180, v84
	v_pack_b32_f16 v83, v82, v83
	v_cvt_f32_f16_sdwa v181, v84 dst_sel:DWORD dst_unused:UNUSED_PAD src0_sel:WORD_1
	v_pack_b32_f16 v82, v85, v177
	ds_read_u16 v177, v87 offset:160
	ds_read_u16 v182, v171 offset:240
	;; [unrolled: 1-line block ×4, first 2 shown]
	v_cvt_f32_f16_e32 v178, v176
	v_cvt_f32_f16_sdwa v179, v176 dst_sel:DWORD dst_unused:UNUSED_PAD src0_sel:WORD_1
	s_waitcnt lgkmcnt(2)
	v_perm_b32 v84, v182, v177, s92
	s_waitcnt lgkmcnt(0)
	v_perm_b32 v85, v183, v85, s92
	s_nop 1
	v_mfma_f32_16x16x16f16 v[176:179], v[84:85], v[68:69], v[178:181]
	s_nop 6
	ds_read_u16 v180, v87 offset:192
	ds_read_u16 v181, v172 offset:240
	;; [unrolled: 1-line block ×4, first 2 shown]
	s_waitcnt lgkmcnt(0)
	s_barrier
	v_cvt_f16_f32_e32 v84, v176
	v_cvt_f16_f32_e32 v85, v177
	;; [unrolled: 1-line block ×4, first 2 shown]
	v_cvt_f32_f16_e32 v178, v70
	v_pack_b32_f16 v84, v84, v85
	v_cvt_f32_f16_sdwa v179, v70 dst_sel:DWORD dst_unused:UNUSED_PAD src0_sel:WORD_1
	v_pack_b32_f16 v85, v176, v177
	v_cvt_f32_f16_e32 v176, v71
	v_cvt_f32_f16_sdwa v177, v71 dst_sel:DWORD dst_unused:UNUSED_PAD src0_sel:WORD_1
	v_perm_b32 v71, v183, v182, s92
	v_perm_b32 v70, v181, v180, s92
	s_nop 1
	v_mfma_f32_16x16x16f16 v[68:71], v[70:71], v[68:69], v[176:179]
	s_nop 7
	s_nop 2
	v_cvt_f16_f32_e32 v68, v68
	v_cvt_f16_f32_e32 v69, v69
	;; [unrolled: 1-line block ×4, first 2 shown]
	v_pack_b32_f16 v178, v68, v69
	v_pack_b32_f16 v177, v70, v71
	s_cbranch_scc0 .LBB19_44
; %bb.41:                               ;   in Loop: Header=BB19_36 Depth=2
	v_mov_b32_e32 v176, v1
	v_mov_b32_e32 v181, v64
	s_branch .LBB19_36
.LBB19_42:                              ;   in Loop: Header=BB19_16 Depth=1
	s_cbranch_execz .LBB19_15
	s_branch .LBB19_121
.LBB19_43:                              ;   in Loop: Header=BB19_16 Depth=1
	v_mov_b32_e32 v1, 0
	v_mov_b32_e32 v64, 0xfeffffff
	v_mov_b32_e32 v178, 0
	v_mov_b32_e32 v29, 0
	v_mov_b32_e32 v35, 0
	v_mov_b32_e32 v65, 0
	v_mov_b32_e32 v72, 0
	v_mov_b32_e32 v74, 0
	v_mov_b32_e32 v76, 0
	v_mov_b32_e32 v78, 0
	v_mov_b32_e32 v80, 0
	v_mov_b32_e32 v82, 0
	v_mov_b32_e32 v83, 0
	v_mov_b32_e32 v85, 0
	v_mov_b32_e32 v84, 0
.LBB19_44:                              ;   in Loop: Header=BB19_16 Depth=1
	s_lshl_b32 s10, s76, 6
	s_ashr_i32 s11, s10, 31
	s_lshl_b64 s[74:75], s[10:11], 1
	v_mov_b32_e32 v15, s75
	v_add_co_u32_e32 v19, vcc, s74, v59
	v_addc_co_u32_e32 v15, vcc, v175, v15, vcc
	v_add_co_u32_e32 v19, vcc, v19, v66
	v_addc_co_u32_e32 v15, vcc, v15, v67, vcc
	v_lshlrev_b32_e32 v21, 1, v16
	v_add_co_u32_e32 v66, vcc, v19, v21
	v_addc_co_u32_e32 v67, vcc, 0, v15, vcc
	global_load_dword v15, v[66:67], off
	s_mul_hi_i32 s75, s34, s10
	s_mul_i32 s74, s34, s10
	s_lshl_b64 s[74:75], s[74:75], 2
	s_add_u32 s76, s64, s74
	s_addc_u32 s11, s63, s75
	s_waitcnt vmcnt(0)
	ds_write_b32 v77, v15 offset:15360
	s_and_saveexec_b64 s[74:75], s[0:1]
	s_cbranch_execz .LBB19_46
; %bb.45:                               ;   in Loop: Header=BB19_16 Depth=1
	v_mov_b32_e32 v15, s11
	v_add_co_u32_e32 v19, vcc, s76, v38
	v_addc_co_u32_e32 v15, vcc, v15, v39, vcc
	v_lshlrev_b32_e32 v21, 2, v18
	v_add_co_u32_e32 v66, vcc, v19, v21
	v_addc_co_u32_e32 v67, vcc, 0, v15, vcc
	global_load_dwordx4 v[66:69], v[66:67], off offset:192
	s_waitcnt vmcnt(0)
	ds_write_b128 v92, v[66:69]
.LBB19_46:                              ;   in Loop: Header=BB19_16 Depth=1
	s_or_b64 exec, exec, s[74:75]
	v_add_co_u32_e32 v15, vcc, s76, v40
	v_mov_b32_e32 v19, s11
	v_addc_co_u32_e32 v19, vcc, v19, v41, vcc
	v_lshlrev_b32_e32 v67, 2, v20
	v_add_co_u32_e32 v68, vcc, v15, v67
	v_addc_co_u32_e32 v69, vcc, 0, v19, vcc
	global_load_dwordx4 v[68:71], v[68:69], off offset:128
	v_add_co_u32_e32 v15, vcc, s76, v42
	v_mov_b32_e32 v19, s11
	v_addc_co_u32_e32 v19, vcc, v19, v43, vcc
	v_lshlrev_b32_e32 v66, 2, v22
	s_waitcnt vmcnt(0)
	ds_write_b128 v90, v[68:71]
	v_add_co_u32_e32 v68, vcc, v15, v66
	v_addc_co_u32_e32 v69, vcc, 0, v19, vcc
	global_load_dwordx4 v[68:71], v[68:69], off
	v_add_co_u32_e32 v15, vcc, s76, v44
	v_mov_b32_e32 v19, s11
	v_addc_co_u32_e32 v19, vcc, v19, v45, vcc
	s_mul_hi_i32 s11, s10, s14
	s_mul_i32 s10, s10, s14
	s_lshl_b64 s[10:11], s[10:11], 2
	s_add_u32 s75, s82, s10
	s_addc_u32 s74, s62, s11
	s_waitcnt vmcnt(0)
	ds_write_b128 v91, v[68:71]
	v_add_co_u32_e32 v68, vcc, v15, v66
	v_addc_co_u32_e32 v69, vcc, 0, v19, vcc
	global_load_dwordx4 v[68:71], v[68:69], off
	s_waitcnt vmcnt(0)
	ds_write_b128 v173, v[68:71]
	s_waitcnt lgkmcnt(0)
	s_barrier
	ds_read2_b64 v[68:71], v81 offset1:4
	s_waitcnt lgkmcnt(0)
	v_mfma_f32_16x16x16f16 v[180:183], v[68:69], v[10:11], 0
	v_mfma_f32_16x16x16f16 v[10:13], v[70:71], v[12:13], v[180:183]
	ds_read2_b64 v[68:71], v81 offset0:8 offset1:12
	s_waitcnt lgkmcnt(0)
	v_mfma_f32_16x16x16f16 v[10:13], v[68:69], v[6:7], v[10:13]
	v_mfma_f32_16x16x16f16 v[6:9], v[70:71], v[8:9], v[10:13]
	s_nop 7
	s_nop 1
	ds_read2_b64 v[10:13], v81 offset0:16 offset1:20
	s_waitcnt lgkmcnt(0)
	v_mfma_f32_16x16x16f16 v[6:9], v[10:11], v[2:3], v[6:9]
	v_mfma_f32_16x16x16f16 v[2:5], v[12:13], v[4:5], v[6:9]
	s_nop 7
	s_nop 1
	ds_read_b64 v[6:7], v81 offset:192
	v_and_b32_e32 v8, 64, v163
	s_waitcnt lgkmcnt(0)
	v_mfma_f32_16x16x16f16 v[2:5], v[6:7], v[62:63], v[2:5]
	v_add_u32_e32 v6, 0x3c00, v86
	v_add_u32_e32 v8, 64, v8
	v_xor_b32_e32 v9, 32, v163
	s_barrier
	ds_read2_b32 v[6:7], v6 offset1:1
	v_cmp_lt_i32_e32 vcc, v9, v8
	v_cndmask_b32_e32 v9, v163, v9, vcc
	v_lshlrev_b32_e32 v19, 2, v9
	v_xor_b32_e32 v9, 16, v163
	v_cmp_lt_i32_e32 vcc, v9, v8
	v_cndmask_b32_e32 v8, v163, v9, vcc
	v_lshlrev_b32_e32 v21, 2, v8
	s_waitcnt lgkmcnt(0)
	v_cvt_f32_f16_e32 v8, v7
	v_cvt_f32_f16_sdwa v9, v7 dst_sel:DWORD dst_unused:UNUSED_PAD src0_sel:WORD_1
	v_pk_add_f32 v[4:5], v[4:5], v[8:9]
	v_cvt_f32_f16_e32 v8, v6
	v_cvt_f32_f16_sdwa v9, v6 dst_sel:DWORD dst_unused:UNUSED_PAD src0_sel:WORD_1
	v_add_f32_e32 v10, 0x40051340, v4
	v_add_f32_e32 v11, 0x40051340, v5
	v_pk_add_f32 v[6:7], v[2:3], v[8:9]
	v_add_f32_e32 v2, 0x40051340, v6
	v_add_f32_e32 v3, 0x40051340, v7
	v_max3_f32 v2, v64, v2, v3
	v_max3_f32 v2, v2, v10, v11
	ds_bpermute_b32 v3, v19, v2
	s_waitcnt lgkmcnt(0)
	v_max_f32_e32 v3, v3, v3
	v_max_f32_e32 v2, v2, v3
	ds_bpermute_b32 v3, v21, v2
	s_and_saveexec_b64 s[10:11], s[0:1]
	s_cbranch_execz .LBB19_48
; %bb.47:                               ;   in Loop: Header=BB19_16 Depth=1
	v_mov_b32_e32 v8, s74
	v_add_co_u32_e32 v9, vcc, s75, v26
	v_addc_co_u32_e32 v10, vcc, v8, v27, vcc
	v_lshlrev_b32_e32 v8, 2, v18
	v_add_co_u32_e32 v8, vcc, v9, v8
	v_addc_co_u32_e32 v9, vcc, 0, v10, vcc
	global_load_dwordx4 v[8:11], v[8:9], off offset:192
	s_waitcnt vmcnt(0)
	ds_write_b128 v79, v[8:11]
.LBB19_48:                              ;   in Loop: Header=BB19_16 Depth=1
	s_or_b64 exec, exec, s[10:11]
	s_waitcnt lgkmcnt(0)
	v_max_f32_e32 v3, v3, v3
	v_max_f32_e32 v2, v2, v2
	v_max_f32_e32 v2, v2, v3
	v_pk_add_f32 v[6:7], v[6:7], v[2:3] op_sel_hi:[1,0] neg_lo:[0,1] neg_hi:[0,1]
	v_mul_f32_e32 v3, 0x3fb8aa3b, v7
	v_fma_f32 v8, v7, s39, -v3
	v_rndne_f32_e32 v9, v3
	v_fmac_f32_e32 v8, 0x32a5705f, v7
	v_sub_f32_e32 v3, v3, v9
	v_add_f32_e32 v3, v3, v8
	v_exp_f32_e32 v3, v3
	v_cvt_i32_f32_e32 v8, v9
	v_cmp_ngt_f32_e32 vcc, s67, v7
	s_cmp_eq_u64 s[72:73], 0
	s_cselect_b64 s[10:11], -1, 0
	v_ldexp_f32 v3, v3, v8
	v_cndmask_b32_e32 v3, 0, v3, vcc
	v_cmp_nlt_f32_e32 vcc, s7, v7
	v_cndmask_b32_e32 v8, v174, v3, vcc
	v_mul_f32_e32 v3, 0x3fb8aa3b, v6
	v_fma_f32 v7, v6, s39, -v3
	v_rndne_f32_e32 v9, v3
	v_fmac_f32_e32 v7, 0x32a5705f, v6
	v_sub_f32_e32 v3, v3, v9
	v_add_f32_e32 v3, v3, v7
	v_exp_f32_e32 v3, v3
	v_cvt_i32_f32_e32 v7, v9
	v_cmp_ngt_f32_e32 vcc, s67, v6
	v_ldexp_f32 v3, v3, v7
	v_cndmask_b32_e32 v3, 0, v3, vcc
	v_cmp_nlt_f32_e32 vcc, s7, v6
	v_pk_add_f32 v[4:5], v[4:5], v[2:3] op_sel_hi:[1,0] neg_lo:[0,1] neg_hi:[0,1]
	v_cndmask_b32_e32 v9, v174, v3, vcc
	v_mul_f32_e32 v3, 0x3fb8aa3b, v5
	v_fma_f32 v6, v5, s39, -v3
	v_rndne_f32_e32 v7, v3
	v_fmac_f32_e32 v6, 0x32a5705f, v5
	v_sub_f32_e32 v3, v3, v7
	v_add_f32_e32 v3, v3, v6
	v_exp_f32_e32 v3, v3
	v_cvt_i32_f32_e32 v6, v7
	v_cmp_ngt_f32_e32 vcc, s67, v5
	v_ldexp_f32 v3, v3, v6
	v_cndmask_b32_e32 v3, 0, v3, vcc
	v_cmp_nlt_f32_e32 vcc, s7, v5
	v_cndmask_b32_e32 v63, v174, v3, vcc
	v_mul_f32_e32 v3, 0x3fb8aa3b, v4
	v_fma_f32 v5, v4, s39, -v3
	v_rndne_f32_e32 v6, v3
	v_fmac_f32_e32 v5, 0x32a5705f, v4
	v_sub_f32_e32 v3, v3, v6
	v_add_f32_e32 v3, v3, v5
	v_exp_f32_e32 v3, v3
	v_cvt_i32_f32_e32 v5, v6
	v_cmp_ngt_f32_e32 vcc, s67, v4
	v_ldexp_f32 v3, v3, v5
	v_cndmask_b32_e32 v3, 0, v3, vcc
	v_cmp_nlt_f32_e32 vcc, s7, v4
	v_sub_f32_e32 v4, v64, v2
	v_mul_f32_e32 v5, 0x3fb8aa3b, v4
	v_fma_f32 v6, v4, s39, -v5
	v_rndne_f32_e32 v7, v5
	v_fmac_f32_e32 v6, 0x32a5705f, v4
	v_sub_f32_e32 v5, v5, v7
	v_add_f32_e32 v5, v5, v6
	v_exp_f32_e32 v5, v5
	v_cvt_i32_f32_e32 v6, v7
	v_cndmask_b32_e32 v68, v174, v3, vcc
	v_add_f32_e32 v3, v9, v8
	v_cvt_f16_f32_e32 v8, v8
	v_cvt_f16_f32_e32 v9, v9
	v_ldexp_f32 v5, v5, v6
	v_cmp_ngt_f32_e32 vcc, s67, v4
	v_cndmask_b32_e32 v5, 0, v5, vcc
	v_cmp_nlt_f32_e32 vcc, s7, v4
	v_add_f32_e32 v3, v68, v3
	v_cndmask_b32_e32 v5, v174, v5, vcc
	v_cmp_le_f32_e32 vcc, s6, v4
	v_add_f32_e32 v3, v63, v3
	v_cndmask_b32_e32 v4, 0, v5, vcc
	v_pack_b32_f16 v8, v9, v8
	v_cvt_f16_f32_e32 v9, v63
	v_cvt_f16_f32_e32 v63, v68
	;; [unrolled: 1-line block ×3, first 2 shown]
	v_mov_b32_e32 v64, s74
	v_fmac_f32_e32 v3, v1, v4
	v_pack_b32_f16 v9, v63, v9
	v_add_co_u32_e32 v63, vcc, s75, v30
	v_pk_mul_f16 v5, v23, v65 op_sel_hi:[0,1]
	v_addc_co_u32_e32 v65, vcc, v64, v31, vcc
	v_add_co_u32_e32 v64, vcc, v63, v67
	v_addc_co_u32_e32 v65, vcc, 0, v65, vcc
	global_load_dwordx4 v[68:71], v[64:65], off offset:128
	v_add_co_u32_e32 v63, vcc, s75, v32
	v_mov_b32_e32 v64, s74
	v_addc_co_u32_e32 v65, vcc, v64, v33, vcc
	v_add_co_u32_e32 v64, vcc, v63, v66
	v_addc_co_u32_e32 v65, vcc, 0, v65, vcc
	v_add_co_u32_e32 v63, vcc, s75, v36
	v_pk_mul_f16 v1, v23, v29 op_sel_hi:[0,1]
	v_pk_mul_f16 v4, v23, v35 op_sel_hi:[0,1]
	;; [unrolled: 1-line block ×13, first 2 shown]
	s_waitcnt vmcnt(0)
	ds_write_b128 v90, v[68:71]
	global_load_dwordx4 v[68:71], v[64:65], off
	v_mov_b32_e32 v64, s74
	v_addc_co_u32_e32 v65, vcc, v64, v37, vcc
	v_add_co_u32_e32 v64, vcc, v63, v66
	v_addc_co_u32_e32 v65, vcc, 0, v65, vcc
	global_load_dwordx4 v[64:67], v[64:65], off
	s_xor_b64 s[74:75], s[4:5], -1
	s_or_b64 s[10:11], s[74:75], s[10:11]
	s_waitcnt vmcnt(1)
	ds_write_b128 v91, v[68:71]
	s_waitcnt vmcnt(0)
	ds_write_b128 v173, v[64:67]
	s_waitcnt lgkmcnt(0)
	s_barrier
	ds_read_u16 v63, v88 offset:240
	ds_read_u16 v68, v88 offset:480
	v_cvt_f32_f16_e32 v66, v1
	v_cvt_f32_f16_sdwa v67, v1 dst_sel:DWORD dst_unused:UNUSED_PAD src0_sel:WORD_1
	ds_read_u16 v1, v89
	ds_read_u16 v70, v89 offset:32
	v_cvt_f32_f16_e32 v64, v4
	v_cvt_f32_f16_sdwa v65, v4 dst_sel:DWORD dst_unused:UNUSED_PAD src0_sel:WORD_1
	s_waitcnt lgkmcnt(1)
	v_perm_b32 v69, v1, v68, s92
	ds_read_u16 v1, v87
	ds_read_u16 v71, v87 offset:32
	s_waitcnt lgkmcnt(1)
	v_perm_b32 v68, v63, v1, s92
	s_nop 1
	v_mfma_f32_16x16x16f16 v[64:67], v[68:69], v[8:9], v[64:67]
	s_nop 7
	s_nop 2
	v_cvt_f16_f32_e32 v1, v64
	v_cvt_f16_f32_e32 v4, v65
	;; [unrolled: 1-line block ×4, first 2 shown]
	v_cvt_f32_f16_sdwa v65, v6 dst_sel:DWORD dst_unused:UNUSED_PAD src0_sel:WORD_1
	v_pack_b32_f16 v4, v1, v4
	v_cvt_f32_f16_e32 v66, v5
	v_pack_b32_f16 v1, v63, v64
	ds_read_u16 v63, v167 offset:240
	ds_read_u16 v68, v167 offset:480
	v_cvt_f32_f16_e32 v64, v6
	v_cvt_f32_f16_sdwa v67, v5 dst_sel:DWORD dst_unused:UNUSED_PAD src0_sel:WORD_1
	s_waitcnt lgkmcnt(0)
	v_perm_b32 v69, v70, v68, s92
	v_perm_b32 v68, v63, v71, s92
	s_nop 1
	v_mfma_f32_16x16x16f16 v[64:67], v[68:69], v[8:9], v[64:67]
	s_nop 7
	s_nop 2
	v_cvt_f16_f32_e32 v5, v64
	v_cvt_f16_f32_e32 v6, v65
	v_cvt_f16_f32_e32 v63, v66
	v_cvt_f16_f32_e32 v64, v67
	v_cvt_f32_f16_sdwa v65, v10 dst_sel:DWORD dst_unused:UNUSED_PAD src0_sel:WORD_1
	v_pack_b32_f16 v6, v5, v6
	v_cvt_f32_f16_e32 v66, v7
	v_pack_b32_f16 v5, v63, v64
	ds_read_u16 v63, v87 offset:64
	ds_read_u16 v68, v168 offset:240
	ds_read_u16 v69, v168 offset:480
	ds_read_u16 v70, v89 offset:64
	v_cvt_f32_f16_e32 v64, v10
	v_cvt_f32_f16_sdwa v67, v7 dst_sel:DWORD dst_unused:UNUSED_PAD src0_sel:WORD_1
	s_waitcnt lgkmcnt(2)
	v_perm_b32 v68, v68, v63, s92
	s_waitcnt lgkmcnt(0)
	v_perm_b32 v69, v70, v69, s92
	s_nop 1
	v_mfma_f32_16x16x16f16 v[64:67], v[68:69], v[8:9], v[64:67]
	s_nop 7
	s_nop 2
	v_cvt_f16_f32_e32 v7, v64
	v_cvt_f16_f32_e32 v10, v65
	v_cvt_f16_f32_e32 v63, v66
	v_cvt_f16_f32_e32 v64, v67
	v_cvt_f32_f16_sdwa v65, v12 dst_sel:DWORD dst_unused:UNUSED_PAD src0_sel:WORD_1
	v_pack_b32_f16 v10, v7, v10
	v_cvt_f32_f16_e32 v66, v11
	v_pack_b32_f16 v7, v63, v64
	ds_read_u16 v63, v87 offset:96
	ds_read_u16 v68, v169 offset:240
	ds_read_u16 v69, v169 offset:480
	ds_read_u16 v70, v89 offset:96
	v_cvt_f32_f16_e32 v64, v12
	v_cvt_f32_f16_sdwa v67, v11 dst_sel:DWORD dst_unused:UNUSED_PAD src0_sel:WORD_1
	s_waitcnt lgkmcnt(2)
	v_perm_b32 v68, v68, v63, s92
	s_waitcnt lgkmcnt(0)
	;; [unrolled: 22-line block ×3, first 2 shown]
	v_perm_b32 v63, v70, v63, s92
	s_nop 1
	v_mfma_f32_16x16x16f16 v[62:65], v[62:63], v[8:9], v[64:67]
	s_nop 6
	v_cvt_f32_f16_e32 v66, v15
	v_cvt_f32_f16_sdwa v67, v15 dst_sel:DWORD dst_unused:UNUSED_PAD src0_sel:WORD_1
	s_nop 1
	v_cvt_f16_f32_e32 v13, v62
	v_cvt_f16_f32_e32 v62, v63
	;; [unrolled: 1-line block ×4, first 2 shown]
	v_cvt_f32_f16_sdwa v65, v35 dst_sel:DWORD dst_unused:UNUSED_PAD src0_sel:WORD_1
	v_pack_b32_f16 v62, v13, v62
	v_pack_b32_f16 v13, v63, v64
	ds_read_u16 v63, v87 offset:160
	ds_read_u16 v68, v171 offset:240
	;; [unrolled: 1-line block ×4, first 2 shown]
	v_cvt_f32_f16_e32 v64, v35
	s_waitcnt lgkmcnt(2)
	v_perm_b32 v68, v68, v63, s92
	s_waitcnt lgkmcnt(0)
	v_perm_b32 v69, v70, v69, s92
	s_nop 1
	v_mfma_f32_16x16x16f16 v[64:67], v[68:69], v[8:9], v[64:67]
	v_cvt_f32_f16_e32 v68, v23
	v_cvt_f32_f16_sdwa v69, v23 dst_sel:DWORD dst_unused:UNUSED_PAD src0_sel:WORD_1
	s_nop 7
	s_nop 0
	v_cvt_f16_f32_e32 v15, v64
	v_cvt_f16_f32_e32 v35, v65
	;; [unrolled: 1-line block ×4, first 2 shown]
	v_cvt_f32_f16_e32 v66, v29
	v_pack_b32_f16 v64, v15, v35
	v_cvt_f32_f16_sdwa v67, v29 dst_sel:DWORD dst_unused:UNUSED_PAD src0_sel:WORD_1
	v_pack_b32_f16 v15, v63, v65
	ds_read_u16 v35, v87 offset:192
	ds_read_u16 v63, v172 offset:240
	;; [unrolled: 1-line block ×4, first 2 shown]
	s_waitcnt lgkmcnt(0)
	s_barrier
	v_perm_b32 v71, v70, v65, s92
	v_perm_b32 v70, v63, v35, s92
	s_nop 1
	v_mfma_f32_16x16x16f16 v[66:69], v[70:71], v[8:9], v[66:69]
	s_nop 7
	s_nop 2
	v_cvt_f16_f32_e32 v8, v66
	v_cvt_f16_f32_e32 v9, v67
	;; [unrolled: 1-line block ×4, first 2 shown]
	v_pack_b32_f16 v8, v8, v9
	v_pack_b32_f16 v9, v23, v29
	ds_bpermute_b32 v23, v19, v3
	s_waitcnt lgkmcnt(0)
	v_add_f32_e32 v3, v3, v23
	ds_bpermute_b32 v23, v21, v3
	s_waitcnt lgkmcnt(0)
	v_add_f32_e32 v3, v3, v23
	s_and_saveexec_b64 s[74:75], s[10:11]
	s_xor_b64 s[10:11], exec, s[74:75]
	s_andn2_saveexec_b64 s[10:11], s[10:11]
	s_cbranch_execz .LBB19_50
; %bb.49:                               ;   in Loop: Header=BB19_16 Depth=1
	v_lshlrev_b32_e32 v23, 2, v28
	global_load_dword v23, v23, s[72:73]
	v_max_f32_e32 v35, v2, v2
	s_waitcnt vmcnt(0)
	v_max_f32_e32 v29, v23, v23
	v_max_f32_e32 v66, v35, v29
	v_sub_f32_e32 v2, v2, v66
	v_mul_f32_e32 v29, 0x3fb8aa3b, v2
	v_fma_f32 v35, v2, s39, -v29
	v_rndne_f32_e32 v63, v29
	v_fmac_f32_e32 v35, 0x32a5705f, v2
	v_sub_f32_e32 v29, v29, v63
	v_add_f32_e32 v29, v29, v35
	v_exp_f32_e32 v29, v29
	v_cvt_i32_f32_e32 v35, v63
	v_cmp_ngt_f32_e32 vcc, s67, v2
	v_sub_f32_e32 v23, v23, v66
	v_ldexp_f32 v29, v29, v35
	v_cndmask_b32_e32 v29, 0, v29, vcc
	v_cmp_nlt_f32_e32 vcc, s7, v2
	v_cndmask_b32_e32 v29, v174, v29, vcc
	v_cmp_le_f32_e32 vcc, s6, v2
	v_cndmask_b32_e32 v2, 0, v29, vcc
	v_cvt_f16_f32_e32 v29, v2
	v_cmp_ngt_f32_e32 vcc, s67, v23
	v_pk_mul_f16 v4, v29, v4 op_sel_hi:[0,1]
	v_pk_mul_f16 v1, v29, v1 op_sel_hi:[0,1]
	;; [unrolled: 1-line block ×14, first 2 shown]
	v_mul_f32_e32 v29, 0x3fb8aa3b, v23
	v_fma_f32 v35, v23, s39, -v29
	v_rndne_f32_e32 v63, v29
	v_fmac_f32_e32 v35, 0x32a5705f, v23
	v_sub_f32_e32 v29, v29, v63
	v_add_f32_e32 v29, v29, v35
	v_exp_f32_e32 v29, v29
	v_cvt_i32_f32_e32 v35, v63
	v_ldexp_f32 v29, v29, v35
	v_cndmask_b32_e32 v29, 0, v29, vcc
	v_cmp_nlt_f32_e32 vcc, s7, v23
	v_cndmask_b32_e32 v67, v174, v29, vcc
	v_fmac_f32_e32 v67, v3, v2
	v_pk_mov_b32 v[2:3], v[66:67], v[66:67] op_sel:[0,1]
.LBB19_50:                              ;   in Loop: Header=BB19_16 Depth=1
	s_or_b64 exec, exec, s[10:11]
	s_and_saveexec_b64 s[10:11], s[8:9]
	s_cbranch_execz .LBB19_52
; %bb.51:                               ;   in Loop: Header=BB19_16 Depth=1
	v_add_u32_e32 v23, 0, v106
	ds_write2_b32 v23, v2, v3 offset0:56 offset1:57
.LBB19_52:                              ;   in Loop: Header=BB19_16 Depth=1
	s_or_b64 exec, exec, s[10:11]
	s_waitcnt lgkmcnt(0)
	s_barrier
	s_and_saveexec_b64 s[10:11], s[12:13]
	s_xor_b64 s[10:11], exec, s[10:11]
	s_cbranch_execz .LBB19_54
; %bb.53:                               ;   in Loop: Header=BB19_16 Depth=1
	s_barrier
	s_waitcnt lgkmcnt(0)
                                        ; implicit-def: $vgpr19
                                        ; implicit-def: $vgpr21
.LBB19_54:                              ;   in Loop: Header=BB19_16 Depth=1
	s_andn2_saveexec_b64 s[10:11], s[10:11]
	s_cbranch_execz .LBB19_58
; %bb.55:                               ;   in Loop: Header=BB19_16 Depth=1
	v_add_u32_e32 v3, 0, v106
	ds_read_b64 v[66:67], v3 offset:224
	s_waitcnt lgkmcnt(0)
	s_barrier
	ds_bpermute_b32 v2, v19, v66
	v_max_f32_e32 v23, v66, v66
	s_waitcnt lgkmcnt(0)
	v_max_f32_e32 v2, v2, v2
	v_max_f32_e32 v2, v23, v2
	ds_bpermute_b32 v23, v21, v2
	s_waitcnt lgkmcnt(0)
	v_max_f32_e32 v23, v23, v23
	v_max_f32_e32 v2, v2, v23
	v_sub_f32_e32 v23, v66, v2
	v_mul_f32_e32 v29, 0x3fb8aa3b, v23
	v_fma_f32 v35, v23, s39, -v29
	v_rndne_f32_e32 v63, v29
	v_fmac_f32_e32 v35, 0x32a5705f, v23
	v_sub_f32_e32 v29, v29, v63
	v_add_f32_e32 v29, v29, v35
	v_cvt_i32_f32_e32 v63, v63
	v_exp_f32_e32 v29, v29
	v_cmp_ngt_f32_e32 vcc, s67, v23
	v_ldexp_f32 v29, v29, v63
	v_cndmask_b32_e32 v29, 0, v29, vcc
	v_cmp_nlt_f32_e32 vcc, s7, v23
	v_cndmask_b32_e32 v66, v174, v29, vcc
	v_mul_f32_e32 v23, v67, v66
	ds_bpermute_b32 v19, v19, v23
	s_waitcnt lgkmcnt(0)
	v_fmac_f32_e32 v19, v67, v66
	ds_bpermute_b32 v21, v21, v19
	s_waitcnt lgkmcnt(0)
	v_add_f32_e32 v67, v19, v21
	ds_write_b64 v3, v[66:67] offset:224
	s_and_saveexec_b64 s[74:75], s[8:9]
	s_cbranch_execz .LBB19_57
; %bb.56:                               ;   in Loop: Header=BB19_16 Depth=1
	v_mov_b32_e32 v3, v67
	global_store_dwordx2 v[24:25], v[2:3], off
.LBB19_57:                              ;   in Loop: Header=BB19_16 Depth=1
	s_or_b64 exec, exec, s[74:75]
.LBB19_58:                              ;   in Loop: Header=BB19_16 Depth=1
	s_or_b64 exec, exec, s[10:11]
	ds_write2_b32 v107, v4, v1 offset1:1
	ds_write2_b32 v107, v6, v5 offset0:8 offset1:9
	ds_write2_b32 v107, v10, v7 offset0:16 offset1:17
	;; [unrolled: 1-line block ×6, first 2 shown]
	s_waitcnt lgkmcnt(0)
	s_barrier
	s_and_saveexec_b64 s[74:75], s[4:5]
	s_cbranch_execz .LBB19_120
; %bb.59:                               ;   in Loop: Header=BB19_16 Depth=1
	v_add_u32_e32 v2, s45, v111
	v_or_b32_e32 v1, s85, v54
	v_cmp_gt_i32_e64 s[10:11], s36, v2
	v_cmp_gt_i32_e32 vcc, s33, v1
	s_and_b64 s[10:11], s[10:11], vcc
	v_mov_b32_e32 v1, 0x47
	s_and_saveexec_b64 s[76:77], s[10:11]
	s_cbranch_execz .LBB19_61
; %bb.60:                               ;   in Loop: Header=BB19_16 Depth=1
	v_add_u32_e32 v1, 0, v112
	v_add_u32_e32 v1, 0xe0, v1
	ds_read2st64_b32 v[4:5], v1 offset1:15
	ds_read2st64_b32 v[6:7], v113 offset1:15
	ds_read2st64_b32 v[8:9], v1 offset0:30 offset1:45
	ds_read2st64_b32 v[10:11], v113 offset0:30 offset1:45
	v_mad_u64_u32 v[2:3], s[10:11], v2, s37, v[54:55]
	s_waitcnt lgkmcnt(2)
	v_cvt_f32_f16_sdwa v13, v6 dst_sel:DWORD dst_unused:UNUSED_PAD src0_sel:WORD_1
	v_cvt_f32_f16_e32 v12, v6
	v_cvt_f32_f16_sdwa v63, v7 dst_sel:DWORD dst_unused:UNUSED_PAD src0_sel:WORD_1
	v_cvt_f32_f16_e32 v62, v7
	s_waitcnt lgkmcnt(0)
	v_cvt_f32_f16_sdwa v7, v10 dst_sel:DWORD dst_unused:UNUSED_PAD src0_sel:WORD_1
	v_cvt_f32_f16_e32 v6, v10
	v_pk_fma_f32 v[12:13], v[4:5], v[12:13], 0 op_sel_hi:[0,1,0]
	v_mov_b32_e32 v4, v5
	v_pk_fma_f32 v[4:5], v[4:5], v[62:63], v[12:13] op_sel_hi:[0,1,1]
	v_mad_u64_u32 v[2:3], s[10:11], v2, 56, v[46:47]
	v_pk_fma_f32 v[4:5], v[8:9], v[6:7], v[4:5] op_sel_hi:[0,1,1]
	v_cvt_f32_f16_sdwa v7, v11 dst_sel:DWORD dst_unused:UNUSED_PAD src0_sel:WORD_1
	v_cvt_f32_f16_e32 v6, v11
	v_ashrrev_i32_e32 v3, 31, v2
	v_lshlrev_b64 v[2:3], 3, v[2:3]
	v_add_co_u32_e64 v2, s[10:11], s83, v2
	v_mov_b32_e32 v1, s84
	v_mov_b32_e32 v8, v9
	v_addc_co_u32_e64 v3, s[10:11], v1, v3, s[10:11]
	v_pk_fma_f32 v[4:5], v[8:9], v[6:7], v[4:5] op_sel_hi:[0,1,1]
	v_mov_b32_e32 v1, 0
	global_store_dwordx2 v[2:3], v[4:5], off
.LBB19_61:                              ;   in Loop: Header=BB19_16 Depth=1
	s_or_b64 exec, exec, s[76:77]
	v_cmp_gt_i32_e64 s[10:11], s51, v1
	s_mov_b64 s[78:79], -1
	s_and_saveexec_b64 s[76:77], s[10:11]
; %bb.62:                               ;   in Loop: Header=BB19_16 Depth=1
	v_cmp_eq_u32_e64 s[10:11], 0, v1
	s_orn2_b64 s[78:79], s[10:11], exec
; %bb.63:                               ;   in Loop: Header=BB19_16 Depth=1
	s_or_b64 exec, exec, s[76:77]
	s_and_saveexec_b64 s[76:77], s[78:79]
	s_cbranch_execz .LBB19_96
; %bb.64:                               ;   in Loop: Header=BB19_16 Depth=1
	v_add_u32_e32 v2, s45, v114
	v_cmp_gt_i32_e64 s[10:11], s36, v2
	s_and_b64 s[10:11], s[10:11], vcc
	v_mov_b32_e32 v1, 0x47
	s_and_saveexec_b64 s[78:79], s[10:11]
	s_cbranch_execz .LBB19_66
; %bb.65:                               ;   in Loop: Header=BB19_16 Depth=1
	v_add_u32_e32 v1, 0, v115
	v_add_u32_e32 v1, 0xe0, v1
	ds_read2st64_b32 v[4:5], v1 offset1:15
	ds_read2st64_b32 v[6:7], v116 offset1:15
	ds_read2st64_b32 v[8:9], v1 offset0:30 offset1:45
	ds_read2st64_b32 v[10:11], v116 offset0:30 offset1:45
	v_mad_u64_u32 v[2:3], s[10:11], v2, s37, v[54:55]
	s_waitcnt lgkmcnt(2)
	v_cvt_f32_f16_sdwa v13, v6 dst_sel:DWORD dst_unused:UNUSED_PAD src0_sel:WORD_1
	v_cvt_f32_f16_e32 v12, v6
	v_cvt_f32_f16_sdwa v63, v7 dst_sel:DWORD dst_unused:UNUSED_PAD src0_sel:WORD_1
	v_cvt_f32_f16_e32 v62, v7
	s_waitcnt lgkmcnt(0)
	v_cvt_f32_f16_sdwa v7, v10 dst_sel:DWORD dst_unused:UNUSED_PAD src0_sel:WORD_1
	v_cvt_f32_f16_e32 v6, v10
	v_pk_fma_f32 v[12:13], v[4:5], v[12:13], 0 op_sel_hi:[0,1,0]
	v_mov_b32_e32 v4, v5
	v_pk_fma_f32 v[4:5], v[4:5], v[62:63], v[12:13] op_sel_hi:[0,1,1]
	v_mad_u64_u32 v[2:3], s[10:11], v2, 56, v[46:47]
	v_pk_fma_f32 v[4:5], v[8:9], v[6:7], v[4:5] op_sel_hi:[0,1,1]
	v_cvt_f32_f16_sdwa v7, v11 dst_sel:DWORD dst_unused:UNUSED_PAD src0_sel:WORD_1
	v_cvt_f32_f16_e32 v6, v11
	v_ashrrev_i32_e32 v3, 31, v2
	v_lshlrev_b64 v[2:3], 3, v[2:3]
	v_add_co_u32_e64 v2, s[10:11], s83, v2
	v_mov_b32_e32 v1, s84
	v_mov_b32_e32 v8, v9
	v_addc_co_u32_e64 v3, s[10:11], v1, v3, s[10:11]
	v_pk_fma_f32 v[4:5], v[8:9], v[6:7], v[4:5] op_sel_hi:[0,1,1]
	v_mov_b32_e32 v1, 0
	global_store_dwordx2 v[2:3], v[4:5], off
.LBB19_66:                              ;   in Loop: Header=BB19_16 Depth=1
	s_or_b64 exec, exec, s[78:79]
	v_cmp_gt_i32_e64 s[10:11], s51, v1
	s_mov_b64 s[78:79], -1
	s_and_saveexec_b64 s[80:81], s[10:11]
; %bb.67:                               ;   in Loop: Header=BB19_16 Depth=1
	v_cmp_eq_u32_e64 s[10:11], 0, v1
	s_orn2_b64 s[78:79], s[10:11], exec
; %bb.68:                               ;   in Loop: Header=BB19_16 Depth=1
	s_or_b64 exec, exec, s[80:81]
	s_and_b64 exec, exec, s[78:79]
	s_cbranch_execz .LBB19_96
; %bb.69:                               ;   in Loop: Header=BB19_16 Depth=1
	v_add_u32_e32 v2, s45, v117
	v_cmp_gt_i32_e64 s[10:11], s36, v2
	s_and_b64 s[10:11], s[10:11], vcc
	v_mov_b32_e32 v1, 0x47
	s_and_saveexec_b64 s[78:79], s[10:11]
	s_cbranch_execz .LBB19_71
; %bb.70:                               ;   in Loop: Header=BB19_16 Depth=1
	v_add_u32_e32 v1, 0, v118
	v_add_u32_e32 v1, 0xe0, v1
	ds_read2st64_b32 v[4:5], v1 offset1:15
	ds_read2st64_b32 v[6:7], v119 offset1:15
	ds_read2st64_b32 v[8:9], v1 offset0:30 offset1:45
	ds_read2st64_b32 v[10:11], v119 offset0:30 offset1:45
	v_mad_u64_u32 v[2:3], s[10:11], v2, s37, v[54:55]
	s_waitcnt lgkmcnt(2)
	v_cvt_f32_f16_sdwa v13, v6 dst_sel:DWORD dst_unused:UNUSED_PAD src0_sel:WORD_1
	v_cvt_f32_f16_e32 v12, v6
	v_cvt_f32_f16_sdwa v63, v7 dst_sel:DWORD dst_unused:UNUSED_PAD src0_sel:WORD_1
	v_cvt_f32_f16_e32 v62, v7
	s_waitcnt lgkmcnt(0)
	v_cvt_f32_f16_sdwa v7, v10 dst_sel:DWORD dst_unused:UNUSED_PAD src0_sel:WORD_1
	v_cvt_f32_f16_e32 v6, v10
	v_pk_fma_f32 v[12:13], v[4:5], v[12:13], 0 op_sel_hi:[0,1,0]
	v_mov_b32_e32 v4, v5
	v_pk_fma_f32 v[4:5], v[4:5], v[62:63], v[12:13] op_sel_hi:[0,1,1]
	v_mad_u64_u32 v[2:3], s[10:11], v2, 56, v[46:47]
	v_pk_fma_f32 v[4:5], v[8:9], v[6:7], v[4:5] op_sel_hi:[0,1,1]
	v_cvt_f32_f16_sdwa v7, v11 dst_sel:DWORD dst_unused:UNUSED_PAD src0_sel:WORD_1
	v_cvt_f32_f16_e32 v6, v11
	v_ashrrev_i32_e32 v3, 31, v2
	v_lshlrev_b64 v[2:3], 3, v[2:3]
	v_add_co_u32_e64 v2, s[10:11], s83, v2
	v_mov_b32_e32 v1, s84
	v_mov_b32_e32 v8, v9
	v_addc_co_u32_e64 v3, s[10:11], v1, v3, s[10:11]
	v_pk_fma_f32 v[4:5], v[8:9], v[6:7], v[4:5] op_sel_hi:[0,1,1]
	v_mov_b32_e32 v1, 0
	global_store_dwordx2 v[2:3], v[4:5], off
.LBB19_71:                              ;   in Loop: Header=BB19_16 Depth=1
	s_or_b64 exec, exec, s[78:79]
	v_cmp_gt_i32_e64 s[10:11], s51, v1
	s_mov_b64 s[78:79], -1
	s_and_saveexec_b64 s[80:81], s[10:11]
; %bb.72:                               ;   in Loop: Header=BB19_16 Depth=1
	v_cmp_eq_u32_e64 s[10:11], 0, v1
	s_orn2_b64 s[78:79], s[10:11], exec
; %bb.73:                               ;   in Loop: Header=BB19_16 Depth=1
	s_or_b64 exec, exec, s[80:81]
	s_and_b64 exec, exec, s[78:79]
	;; [unrolled: 51-line block ×6, first 2 shown]
	s_cbranch_execz .LBB19_96
; %bb.94:                               ;   in Loop: Header=BB19_16 Depth=1
	v_add_u32_e32 v1, s45, v132
	v_cmp_gt_i32_e64 s[10:11], s36, v1
	s_and_b64 s[10:11], s[10:11], vcc
	s_and_b64 exec, exec, s[10:11]
	s_cbranch_execz .LBB19_96
; %bb.95:                               ;   in Loop: Header=BB19_16 Depth=1
	v_mad_u64_u32 v[2:3], s[10:11], v1, s37, v[54:55]
	v_add_u32_e32 v1, 0, v133
	v_add_u32_e32 v1, 0xe0, v1
	ds_read2st64_b32 v[4:5], v1 offset1:15
	ds_read2st64_b32 v[6:7], v134 offset1:15
	ds_read2st64_b32 v[8:9], v1 offset0:30 offset1:45
	ds_read2st64_b32 v[10:11], v134 offset0:30 offset1:45
	v_mad_u64_u32 v[2:3], s[10:11], v2, 56, v[46:47]
	s_waitcnt lgkmcnt(2)
	v_cvt_f32_f16_sdwa v13, v6 dst_sel:DWORD dst_unused:UNUSED_PAD src0_sel:WORD_1
	v_cvt_f32_f16_e32 v12, v6
	v_cvt_f32_f16_sdwa v63, v7 dst_sel:DWORD dst_unused:UNUSED_PAD src0_sel:WORD_1
	v_cvt_f32_f16_e32 v62, v7
	s_waitcnt lgkmcnt(0)
	v_cvt_f32_f16_sdwa v7, v10 dst_sel:DWORD dst_unused:UNUSED_PAD src0_sel:WORD_1
	v_cvt_f32_f16_e32 v6, v10
	v_pk_fma_f32 v[12:13], v[4:5], v[12:13], 0 op_sel_hi:[0,1,0]
	v_mov_b32_e32 v4, v5
	v_pk_fma_f32 v[4:5], v[4:5], v[62:63], v[12:13] op_sel_hi:[0,1,1]
	v_pk_fma_f32 v[4:5], v[8:9], v[6:7], v[4:5] op_sel_hi:[0,1,1]
	v_cvt_f32_f16_sdwa v7, v11 dst_sel:DWORD dst_unused:UNUSED_PAD src0_sel:WORD_1
	v_cvt_f32_f16_e32 v6, v11
	v_ashrrev_i32_e32 v3, 31, v2
	v_lshlrev_b64 v[2:3], 3, v[2:3]
	v_add_co_u32_e32 v2, vcc, s83, v2
	v_mov_b32_e32 v1, s84
	v_mov_b32_e32 v8, v9
	v_addc_co_u32_e32 v3, vcc, v1, v3, vcc
	v_pk_fma_f32 v[4:5], v[8:9], v[6:7], v[4:5] op_sel_hi:[0,1,1]
	global_store_dwordx2 v[2:3], v[4:5], off
.LBB19_96:                              ;   in Loop: Header=BB19_16 Depth=1
	s_or_b64 exec, exec, s[76:77]
	v_add_u32_e32 v2, s45, v135
	v_or_b32_e32 v1, s85, v56
	v_cmp_gt_i32_e64 s[10:11], s36, v2
	v_cmp_gt_i32_e32 vcc, s33, v1
	s_and_b64 s[10:11], s[10:11], vcc
	v_mov_b32_e32 v1, 0x47
	s_and_saveexec_b64 s[76:77], s[10:11]
	s_cbranch_execz .LBB19_98
; %bb.97:                               ;   in Loop: Header=BB19_16 Depth=1
	v_mad_u64_u32 v[2:3], s[10:11], v2, s37, v[56:57]
	v_mul_lo_u32 v1, v2, 56
	v_add_u32_e32 v2, 0, v136
	v_add_u32_e32 v6, 0xe0, v2
	;; [unrolled: 1-line block ×3, first 2 shown]
	ds_read2st64_b32 v[2:3], v6 offset1:15
	ds_read2st64_b32 v[4:5], v8 offset1:15
	ds_read2st64_b32 v[6:7], v6 offset0:30 offset1:45
	ds_read2st64_b32 v[8:9], v8 offset0:30 offset1:45
	v_ashrrev_i32_e32 v11, 31, v1
	v_add_co_u32_e64 v10, s[10:11], v1, v14
	s_waitcnt lgkmcnt(2)
	v_cvt_f32_f16_sdwa v13, v4 dst_sel:DWORD dst_unused:UNUSED_PAD src0_sel:WORD_1
	v_cvt_f32_f16_e32 v12, v4
	v_cvt_f32_f16_sdwa v63, v5 dst_sel:DWORD dst_unused:UNUSED_PAD src0_sel:WORD_1
	v_cvt_f32_f16_e32 v62, v5
	s_waitcnt lgkmcnt(0)
	v_cvt_f32_f16_sdwa v5, v8 dst_sel:DWORD dst_unused:UNUSED_PAD src0_sel:WORD_1
	v_cvt_f32_f16_e32 v4, v8
	v_pk_fma_f32 v[12:13], v[2:3], v[12:13], 0 op_sel_hi:[0,1,0]
	v_mov_b32_e32 v2, v3
	v_pk_fma_f32 v[2:3], v[2:3], v[62:63], v[12:13] op_sel_hi:[0,1,1]
	v_pk_fma_f32 v[2:3], v[6:7], v[4:5], v[2:3] op_sel_hi:[0,1,1]
	v_cvt_f32_f16_sdwa v5, v9 dst_sel:DWORD dst_unused:UNUSED_PAD src0_sel:WORD_1
	v_cvt_f32_f16_e32 v4, v9
	v_addc_co_u32_e64 v11, s[10:11], 0, v11, s[10:11]
	v_lshlrev_b64 v[10:11], 3, v[10:11]
	v_add_co_u32_e64 v10, s[10:11], s83, v10
	v_mov_b32_e32 v1, s84
	v_mov_b32_e32 v6, v7
	v_addc_co_u32_e64 v11, s[10:11], v1, v11, s[10:11]
	v_pk_fma_f32 v[2:3], v[6:7], v[4:5], v[2:3] op_sel_hi:[0,1,1]
	v_mov_b32_e32 v1, 0
	global_store_dwordx2 v[10:11], v[2:3], off offset:256
.LBB19_98:                              ;   in Loop: Header=BB19_16 Depth=1
	s_or_b64 exec, exec, s[76:77]
	v_cmp_gt_i32_e64 s[10:11], s51, v1
	s_mov_b64 s[78:79], -1
	s_and_saveexec_b64 s[76:77], s[10:11]
; %bb.99:                               ;   in Loop: Header=BB19_16 Depth=1
	v_cmp_eq_u32_e64 s[10:11], 0, v1
	s_orn2_b64 s[78:79], s[10:11], exec
; %bb.100:                              ;   in Loop: Header=BB19_16 Depth=1
	s_or_b64 exec, exec, s[76:77]
	s_and_saveexec_b64 s[76:77], s[78:79]
	s_cbranch_execz .LBB19_113
; %bb.101:                              ;   in Loop: Header=BB19_16 Depth=1
	v_add_u32_e32 v2, s45, v138
	v_cmp_gt_i32_e64 s[10:11], s36, v2
	s_and_b64 s[10:11], s[10:11], vcc
	v_mov_b32_e32 v1, 0x47
	s_and_saveexec_b64 s[78:79], s[10:11]
	s_cbranch_execz .LBB19_103
; %bb.102:                              ;   in Loop: Header=BB19_16 Depth=1
	v_mad_u64_u32 v[2:3], s[10:11], v2, s37, v[56:57]
	v_mul_lo_u32 v1, v2, 56
	v_add_u32_e32 v2, 0, v139
	v_add_u32_e32 v6, 0xe0, v2
	;; [unrolled: 1-line block ×3, first 2 shown]
	ds_read2st64_b32 v[2:3], v6 offset1:15
	ds_read2st64_b32 v[4:5], v8 offset1:15
	ds_read2st64_b32 v[6:7], v6 offset0:30 offset1:45
	ds_read2st64_b32 v[8:9], v8 offset0:30 offset1:45
	v_ashrrev_i32_e32 v11, 31, v1
	v_add_co_u32_e64 v10, s[10:11], v1, v14
	s_waitcnt lgkmcnt(2)
	v_cvt_f32_f16_sdwa v13, v4 dst_sel:DWORD dst_unused:UNUSED_PAD src0_sel:WORD_1
	v_cvt_f32_f16_e32 v12, v4
	v_cvt_f32_f16_sdwa v63, v5 dst_sel:DWORD dst_unused:UNUSED_PAD src0_sel:WORD_1
	v_cvt_f32_f16_e32 v62, v5
	s_waitcnt lgkmcnt(0)
	v_cvt_f32_f16_sdwa v5, v8 dst_sel:DWORD dst_unused:UNUSED_PAD src0_sel:WORD_1
	v_cvt_f32_f16_e32 v4, v8
	v_pk_fma_f32 v[12:13], v[2:3], v[12:13], 0 op_sel_hi:[0,1,0]
	v_mov_b32_e32 v2, v3
	v_pk_fma_f32 v[2:3], v[2:3], v[62:63], v[12:13] op_sel_hi:[0,1,1]
	v_pk_fma_f32 v[2:3], v[6:7], v[4:5], v[2:3] op_sel_hi:[0,1,1]
	v_cvt_f32_f16_sdwa v5, v9 dst_sel:DWORD dst_unused:UNUSED_PAD src0_sel:WORD_1
	v_cvt_f32_f16_e32 v4, v9
	v_addc_co_u32_e64 v11, s[10:11], 0, v11, s[10:11]
	v_lshlrev_b64 v[10:11], 3, v[10:11]
	v_add_co_u32_e64 v10, s[10:11], s83, v10
	v_mov_b32_e32 v1, s84
	v_mov_b32_e32 v6, v7
	v_addc_co_u32_e64 v11, s[10:11], v1, v11, s[10:11]
	v_pk_fma_f32 v[2:3], v[6:7], v[4:5], v[2:3] op_sel_hi:[0,1,1]
	v_mov_b32_e32 v1, 0
	global_store_dwordx2 v[10:11], v[2:3], off offset:256
.LBB19_103:                             ;   in Loop: Header=BB19_16 Depth=1
	s_or_b64 exec, exec, s[78:79]
	v_cmp_gt_i32_e64 s[10:11], s51, v1
	s_mov_b64 s[78:79], -1
	s_and_saveexec_b64 s[80:81], s[10:11]
; %bb.104:                              ;   in Loop: Header=BB19_16 Depth=1
	v_cmp_eq_u32_e64 s[10:11], 0, v1
	s_orn2_b64 s[78:79], s[10:11], exec
; %bb.105:                              ;   in Loop: Header=BB19_16 Depth=1
	s_or_b64 exec, exec, s[80:81]
	s_and_b64 exec, exec, s[78:79]
	s_cbranch_execz .LBB19_113
; %bb.106:                              ;   in Loop: Header=BB19_16 Depth=1
	v_add_u32_e32 v2, s45, v141
	v_cmp_gt_i32_e64 s[10:11], s36, v2
	s_and_b64 s[10:11], s[10:11], vcc
	v_mov_b32_e32 v1, 0x47
	s_and_saveexec_b64 s[78:79], s[10:11]
	s_cbranch_execz .LBB19_108
; %bb.107:                              ;   in Loop: Header=BB19_16 Depth=1
	v_mad_u64_u32 v[2:3], s[10:11], v2, s37, v[56:57]
	v_mul_lo_u32 v1, v2, 56
	v_add_u32_e32 v2, 0, v142
	v_add_u32_e32 v6, 0xe0, v2
	;; [unrolled: 1-line block ×3, first 2 shown]
	ds_read2st64_b32 v[2:3], v6 offset1:15
	ds_read2st64_b32 v[4:5], v8 offset1:15
	ds_read2st64_b32 v[6:7], v6 offset0:30 offset1:45
	ds_read2st64_b32 v[8:9], v8 offset0:30 offset1:45
	v_ashrrev_i32_e32 v11, 31, v1
	v_add_co_u32_e64 v10, s[10:11], v1, v14
	s_waitcnt lgkmcnt(2)
	v_cvt_f32_f16_sdwa v13, v4 dst_sel:DWORD dst_unused:UNUSED_PAD src0_sel:WORD_1
	v_cvt_f32_f16_e32 v12, v4
	v_cvt_f32_f16_sdwa v63, v5 dst_sel:DWORD dst_unused:UNUSED_PAD src0_sel:WORD_1
	v_cvt_f32_f16_e32 v62, v5
	s_waitcnt lgkmcnt(0)
	v_cvt_f32_f16_sdwa v5, v8 dst_sel:DWORD dst_unused:UNUSED_PAD src0_sel:WORD_1
	v_cvt_f32_f16_e32 v4, v8
	v_pk_fma_f32 v[12:13], v[2:3], v[12:13], 0 op_sel_hi:[0,1,0]
	v_mov_b32_e32 v2, v3
	v_pk_fma_f32 v[2:3], v[2:3], v[62:63], v[12:13] op_sel_hi:[0,1,1]
	v_pk_fma_f32 v[2:3], v[6:7], v[4:5], v[2:3] op_sel_hi:[0,1,1]
	v_cvt_f32_f16_sdwa v5, v9 dst_sel:DWORD dst_unused:UNUSED_PAD src0_sel:WORD_1
	v_cvt_f32_f16_e32 v4, v9
	v_addc_co_u32_e64 v11, s[10:11], 0, v11, s[10:11]
	v_lshlrev_b64 v[10:11], 3, v[10:11]
	v_add_co_u32_e64 v10, s[10:11], s83, v10
	v_mov_b32_e32 v1, s84
	v_mov_b32_e32 v6, v7
	v_addc_co_u32_e64 v11, s[10:11], v1, v11, s[10:11]
	v_pk_fma_f32 v[2:3], v[6:7], v[4:5], v[2:3] op_sel_hi:[0,1,1]
	v_mov_b32_e32 v1, 0
	global_store_dwordx2 v[10:11], v[2:3], off offset:256
.LBB19_108:                             ;   in Loop: Header=BB19_16 Depth=1
	s_or_b64 exec, exec, s[78:79]
	v_cmp_gt_i32_e64 s[10:11], s51, v1
	s_mov_b64 s[78:79], -1
	s_and_saveexec_b64 s[80:81], s[10:11]
; %bb.109:                              ;   in Loop: Header=BB19_16 Depth=1
	v_cmp_eq_u32_e64 s[10:11], 0, v1
	s_orn2_b64 s[78:79], s[10:11], exec
; %bb.110:                              ;   in Loop: Header=BB19_16 Depth=1
	s_or_b64 exec, exec, s[80:81]
	s_and_b64 exec, exec, s[78:79]
	s_cbranch_execz .LBB19_113
; %bb.111:                              ;   in Loop: Header=BB19_16 Depth=1
	v_add_u32_e32 v1, s45, v144
	v_cmp_gt_i32_e64 s[10:11], s36, v1
	s_and_b64 s[10:11], s[10:11], vcc
	s_and_b64 exec, exec, s[10:11]
	s_cbranch_execz .LBB19_113
; %bb.112:                              ;   in Loop: Header=BB19_16 Depth=1
	v_mad_u64_u32 v[2:3], s[10:11], v1, s37, v[56:57]
	v_mul_lo_u32 v1, v2, 56
	v_add_u32_e32 v2, 0, v145
	v_add_u32_e32 v6, 0xe0, v2
	;; [unrolled: 1-line block ×3, first 2 shown]
	ds_read2st64_b32 v[2:3], v6 offset1:15
	ds_read2st64_b32 v[4:5], v8 offset1:15
	ds_read2st64_b32 v[6:7], v6 offset0:30 offset1:45
	ds_read2st64_b32 v[8:9], v8 offset0:30 offset1:45
	v_ashrrev_i32_e32 v11, 31, v1
	v_add_co_u32_e32 v10, vcc, v1, v14
	s_waitcnt lgkmcnt(2)
	v_cvt_f32_f16_sdwa v13, v4 dst_sel:DWORD dst_unused:UNUSED_PAD src0_sel:WORD_1
	v_cvt_f32_f16_e32 v12, v4
	v_cvt_f32_f16_sdwa v63, v5 dst_sel:DWORD dst_unused:UNUSED_PAD src0_sel:WORD_1
	v_cvt_f32_f16_e32 v62, v5
	s_waitcnt lgkmcnt(0)
	v_cvt_f32_f16_sdwa v5, v8 dst_sel:DWORD dst_unused:UNUSED_PAD src0_sel:WORD_1
	v_cvt_f32_f16_e32 v4, v8
	v_pk_fma_f32 v[12:13], v[2:3], v[12:13], 0 op_sel_hi:[0,1,0]
	v_mov_b32_e32 v2, v3
	v_pk_fma_f32 v[2:3], v[2:3], v[62:63], v[12:13] op_sel_hi:[0,1,1]
	v_pk_fma_f32 v[2:3], v[6:7], v[4:5], v[2:3] op_sel_hi:[0,1,1]
	v_cvt_f32_f16_sdwa v5, v9 dst_sel:DWORD dst_unused:UNUSED_PAD src0_sel:WORD_1
	v_cvt_f32_f16_e32 v4, v9
	v_addc_co_u32_e32 v11, vcc, 0, v11, vcc
	v_lshlrev_b64 v[10:11], 3, v[10:11]
	v_add_co_u32_e32 v10, vcc, s83, v10
	v_mov_b32_e32 v1, s84
	v_mov_b32_e32 v6, v7
	v_addc_co_u32_e32 v11, vcc, v1, v11, vcc
	v_pk_fma_f32 v[2:3], v[6:7], v[4:5], v[2:3] op_sel_hi:[0,1,1]
	global_store_dwordx2 v[10:11], v[2:3], off offset:256
.LBB19_113:                             ;   in Loop: Header=BB19_16 Depth=1
	s_or_b64 exec, exec, s[76:77]
	v_or_b32_e32 v1, s85, v50
	v_add_u32_e32 v2, s45, v147
	v_cmp_gt_i32_e32 vcc, s33, v1
	v_cmp_gt_i32_e64 s[10:11], s36, v2
	s_and_b64 s[10:11], s[10:11], vcc
	v_mov_b32_e32 v1, 0x47
	s_and_saveexec_b64 s[76:77], s[10:11]
	s_cbranch_execz .LBB19_115
; %bb.114:                              ;   in Loop: Header=BB19_16 Depth=1
	v_mad_u64_u32 v[2:3], s[10:11], v2, s37, v[50:51]
	v_mul_lo_u32 v1, v2, 56
	v_add_u32_e32 v2, 0, v148
	v_add_u32_e32 v6, 0xe0, v2
	;; [unrolled: 1-line block ×3, first 2 shown]
	ds_read2st64_b32 v[2:3], v6 offset1:15
	ds_read2st64_b32 v[4:5], v8 offset1:15
	ds_read2st64_b32 v[6:7], v6 offset0:30 offset1:45
	ds_read2st64_b32 v[8:9], v8 offset0:30 offset1:45
	v_ashrrev_i32_e32 v10, 31, v1
	v_or_b32_e32 v11, 0, v10
	s_waitcnt lgkmcnt(2)
	v_cvt_f32_f16_sdwa v13, v4 dst_sel:DWORD dst_unused:UNUSED_PAD src0_sel:WORD_1
	v_cvt_f32_f16_e32 v12, v4
	v_cvt_f32_f16_sdwa v63, v5 dst_sel:DWORD dst_unused:UNUSED_PAD src0_sel:WORD_1
	v_cvt_f32_f16_e32 v62, v5
	s_waitcnt lgkmcnt(0)
	v_cvt_f32_f16_sdwa v5, v8 dst_sel:DWORD dst_unused:UNUSED_PAD src0_sel:WORD_1
	v_cvt_f32_f16_e32 v4, v8
	v_pk_fma_f32 v[12:13], v[2:3], v[12:13], 0 op_sel_hi:[0,1,0]
	v_mov_b32_e32 v2, v3
	v_pk_fma_f32 v[2:3], v[2:3], v[62:63], v[12:13] op_sel_hi:[0,1,1]
	v_pk_fma_f32 v[2:3], v[6:7], v[4:5], v[2:3] op_sel_hi:[0,1,1]
	v_cvt_f32_f16_sdwa v5, v9 dst_sel:DWORD dst_unused:UNUSED_PAD src0_sel:WORD_1
	v_cvt_f32_f16_e32 v4, v9
	v_or_b32_e32 v10, v1, v34
	v_lshlrev_b64 v[10:11], 3, v[10:11]
	v_add_co_u32_e64 v10, s[10:11], s83, v10
	v_mov_b32_e32 v1, s84
	v_mov_b32_e32 v6, v7
	v_addc_co_u32_e64 v11, s[10:11], v1, v11, s[10:11]
	v_pk_fma_f32 v[2:3], v[6:7], v[4:5], v[2:3] op_sel_hi:[0,1,1]
	v_mov_b32_e32 v1, 0
	global_store_dwordx2 v[10:11], v[2:3], off offset:384
.LBB19_115:                             ;   in Loop: Header=BB19_16 Depth=1
	s_or_b64 exec, exec, s[76:77]
	v_cmp_gt_i32_e64 s[10:11], s51, v1
	s_mov_b64 s[76:77], -1
	s_and_saveexec_b64 s[78:79], s[10:11]
; %bb.116:                              ;   in Loop: Header=BB19_16 Depth=1
	v_cmp_eq_u32_e64 s[10:11], 0, v1
	s_orn2_b64 s[76:77], s[10:11], exec
; %bb.117:                              ;   in Loop: Header=BB19_16 Depth=1
	s_or_b64 exec, exec, s[78:79]
	s_and_b64 exec, exec, s[76:77]
	s_cbranch_execz .LBB19_120
; %bb.118:                              ;   in Loop: Header=BB19_16 Depth=1
	v_add_u32_e32 v1, s45, v150
	v_cmp_gt_i32_e64 s[10:11], s36, v1
	s_and_b64 s[10:11], s[10:11], vcc
	s_and_b64 exec, exec, s[10:11]
	s_cbranch_execz .LBB19_120
; %bb.119:                              ;   in Loop: Header=BB19_16 Depth=1
	v_mad_u64_u32 v[2:3], s[10:11], v1, s37, v[50:51]
	v_mul_lo_u32 v1, v2, 56
	v_add_u32_e32 v2, 0, v151
	v_add_u32_e32 v6, 0xe0, v2
	;; [unrolled: 1-line block ×3, first 2 shown]
	ds_read2st64_b32 v[2:3], v6 offset1:15
	ds_read2st64_b32 v[4:5], v8 offset1:15
	ds_read2st64_b32 v[6:7], v6 offset0:30 offset1:45
	ds_read2st64_b32 v[8:9], v8 offset0:30 offset1:45
	v_ashrrev_i32_e32 v10, 31, v1
	v_or_b32_e32 v11, 0, v10
	s_waitcnt lgkmcnt(2)
	v_cvt_f32_f16_sdwa v13, v4 dst_sel:DWORD dst_unused:UNUSED_PAD src0_sel:WORD_1
	v_cvt_f32_f16_e32 v12, v4
	v_cvt_f32_f16_sdwa v63, v5 dst_sel:DWORD dst_unused:UNUSED_PAD src0_sel:WORD_1
	v_cvt_f32_f16_e32 v62, v5
	s_waitcnt lgkmcnt(0)
	v_cvt_f32_f16_sdwa v5, v8 dst_sel:DWORD dst_unused:UNUSED_PAD src0_sel:WORD_1
	v_cvt_f32_f16_e32 v4, v8
	v_pk_fma_f32 v[12:13], v[2:3], v[12:13], 0 op_sel_hi:[0,1,0]
	v_mov_b32_e32 v2, v3
	v_pk_fma_f32 v[2:3], v[2:3], v[62:63], v[12:13] op_sel_hi:[0,1,1]
	v_pk_fma_f32 v[2:3], v[6:7], v[4:5], v[2:3] op_sel_hi:[0,1,1]
	v_cvt_f32_f16_sdwa v5, v9 dst_sel:DWORD dst_unused:UNUSED_PAD src0_sel:WORD_1
	v_cvt_f32_f16_e32 v4, v9
	v_or_b32_e32 v10, v1, v34
	v_lshlrev_b64 v[10:11], 3, v[10:11]
	v_add_co_u32_e32 v10, vcc, s83, v10
	v_mov_b32_e32 v1, s84
	v_mov_b32_e32 v6, v7
	v_addc_co_u32_e32 v11, vcc, v1, v11, vcc
	v_pk_fma_f32 v[2:3], v[6:7], v[4:5], v[2:3] op_sel_hi:[0,1,1]
	global_store_dwordx2 v[10:11], v[2:3], off offset:384
.LBB19_120:                             ;   in Loop: Header=BB19_16 Depth=1
	s_or_b64 exec, exec, s[74:75]
	s_barrier
	s_branch .LBB19_15
.LBB19_121:                             ;   in Loop: Header=BB19_16 Depth=1
	s_lshl_b32 s44, s44, 3
	v_cmp_gt_i32_e32 vcc, s33, v17
	v_add_u32_e32 v1, s44, v108
	s_xor_b64 s[10:11], vcc, -1
	v_cmp_le_i32_e32 vcc, s36, v1
	s_or_b64 s[74:75], vcc, s[10:11]
	s_and_saveexec_b64 s[76:77], s[74:75]
	s_xor_b64 s[74:75], exec, s[76:77]
	s_cbranch_execz .LBB19_123
; %bb.122:                              ;   in Loop: Header=BB19_16 Depth=1
	ds_write_b32 v109, v166
                                        ; implicit-def: $vgpr1
.LBB19_123:                             ;   in Loop: Header=BB19_16 Depth=1
	s_andn2_saveexec_b64 s[74:75], s[74:75]
	s_cbranch_execz .LBB19_125
; %bb.124:                              ;   in Loop: Header=BB19_16 Depth=1
	v_mad_u64_u32 v[2:3], s[76:77], v1, s55, v[58:59]
	v_ashrrev_i32_e32 v3, 31, v2
	v_lshlrev_b64 v[2:3], 3, v[2:3]
	v_mov_b32_e32 v1, s66
	v_add_co_u32_e32 v2, vcc, s56, v2
	v_addc_co_u32_e32 v3, vcc, v1, v3, vcc
	global_load_dwordx2 v[2:3], v[2:3], off
	s_waitcnt vmcnt(0)
	v_cvt_f16_f32_e32 v1, v2
	v_cvt_f16_f32_e32 v2, v3
	v_pack_b32_f16 v1, v1, v2
	v_pk_mul_f16 v1, v47, v1
	ds_write_b32 v109, v1
.LBB19_125:                             ;   in Loop: Header=BB19_16 Depth=1
	s_or_b64 exec, exec, s[74:75]
	v_add_u32_e32 v1, s44, v110
	v_cmp_le_i32_e32 vcc, s36, v1
	s_or_b64 s[10:11], vcc, s[10:11]
	s_and_saveexec_b64 s[74:75], s[10:11]
	s_xor_b64 s[10:11], exec, s[74:75]
	s_cbranch_execz .LBB19_127
; %bb.126:                              ;   in Loop: Header=BB19_16 Depth=1
	ds_write_b32 v109, v166 offset:1920
                                        ; implicit-def: $vgpr1
.LBB19_127:                             ;   in Loop: Header=BB19_16 Depth=1
	s_andn2_saveexec_b64 s[10:11], s[10:11]
	s_cbranch_execz .LBB19_129
; %bb.128:                              ;   in Loop: Header=BB19_16 Depth=1
	v_mad_u64_u32 v[2:3], s[74:75], v1, s55, v[58:59]
	v_ashrrev_i32_e32 v3, 31, v2
	v_lshlrev_b64 v[2:3], 3, v[2:3]
	v_mov_b32_e32 v1, s66
	v_add_co_u32_e32 v2, vcc, s56, v2
	v_addc_co_u32_e32 v3, vcc, v1, v3, vcc
	global_load_dwordx2 v[2:3], v[2:3], off
	s_waitcnt vmcnt(0)
	v_cvt_f16_f32_e32 v1, v2
	v_cvt_f16_f32_e32 v2, v3
	v_pack_b32_f16 v1, v1, v2
	v_pk_mul_f16 v1, v47, v1
	ds_write_b32 v109, v1 offset:1920
.LBB19_129:                             ;   in Loop: Header=BB19_16 Depth=1
	s_or_b64 exec, exec, s[10:11]
	v_add_u32_e32 v1, s44, v102
	v_or_b32_e32 v2, s85, v165
	v_cmp_gt_i32_e32 vcc, s36, v1
	v_cmp_gt_i32_e64 s[10:11], s33, v2
	s_and_b64 s[74:75], vcc, s[10:11]
	v_mov_b32_e32 v2, 0
	s_and_saveexec_b64 s[10:11], s[74:75]
	s_cbranch_execz .LBB19_131
; %bb.130:                              ;   in Loop: Header=BB19_16 Depth=1
	v_mad_u64_u32 v[2:3], s[74:75], v1, s55, v[48:49]
	v_ashrrev_i32_e32 v3, 31, v2
	v_lshlrev_b64 v[2:3], 3, v[2:3]
	v_mov_b32_e32 v1, s66
	v_add_co_u32_e32 v2, vcc, s56, v2
	v_addc_co_u32_e32 v3, vcc, v1, v3, vcc
	global_load_dwordx2 v[2:3], v[2:3], off
	s_waitcnt vmcnt(0)
	v_cvt_f16_f32_e32 v1, v2
	v_cvt_f16_f32_e32 v2, v3
	v_pack_b32_f16 v1, v1, v2
	v_pk_mul_f16 v2, v47, v1
.LBB19_131:                             ;   in Loop: Header=BB19_16 Depth=1
	s_or_b64 exec, exec, s[10:11]
	ds_write_b32 v103, v2 offset:128
	s_and_saveexec_b64 s[74:75], s[2:3]
	s_cbranch_execz .LBB19_136
; %bb.132:                              ;   in Loop: Header=BB19_16 Depth=1
	v_or_b32_e32 v1, s44, v104
	v_or_b32_e32 v2, s85, v50
	v_cmp_le_i32_e32 vcc, s36, v1
	v_cmp_le_i32_e64 s[10:11], s33, v2
	s_or_b64 s[10:11], vcc, s[10:11]
	s_and_saveexec_b64 s[76:77], s[10:11]
	s_xor_b64 s[10:11], exec, s[76:77]
	s_cbranch_execz .LBB19_134
; %bb.133:                              ;   in Loop: Header=BB19_16 Depth=1
	ds_write_b32 v105, v166 offset:192
                                        ; implicit-def: $vgpr1
.LBB19_134:                             ;   in Loop: Header=BB19_16 Depth=1
	s_andn2_saveexec_b64 s[10:11], s[10:11]
	s_cbranch_execz .LBB19_136
; %bb.135:                              ;   in Loop: Header=BB19_16 Depth=1
	v_mad_u64_u32 v[2:3], s[10:11], v1, s55, v[52:53]
	v_ashrrev_i32_e32 v3, 31, v2
	v_lshlrev_b64 v[2:3], 3, v[2:3]
	v_mov_b32_e32 v1, s66
	v_add_co_u32_e32 v2, vcc, s56, v2
	v_addc_co_u32_e32 v3, vcc, v1, v3, vcc
	global_load_dwordx2 v[2:3], v[2:3], off
	s_waitcnt vmcnt(0)
	v_cvt_f16_f32_e32 v1, v2
	v_cvt_f16_f32_e32 v2, v3
	v_pack_b32_f16 v1, v1, v2
	v_pk_mul_f16 v1, v47, v1
	ds_write_b32 v105, v1 offset:192
.LBB19_136:                             ;   in Loop: Header=BB19_16 Depth=1
	s_or_b64 exec, exec, s[74:75]
	s_waitcnt lgkmcnt(0)
	s_barrier
	ds_read2_b64 v[10:13], v51 offset1:4
	ds_read2_b64 v[6:9], v51 offset0:8 offset1:12
	ds_read2_b64 v[2:5], v51 offset0:16 offset1:20
	ds_read_b64 v[62:63], v51 offset:192
	v_add_u32_e32 v1, s44, v49
	v_readlane_b32 s10, v197, 6
	v_mul_hi_u32 v15, s10, v1
	v_readlane_b32 s11, v197, 7
	v_add_u32_e32 v15, v1, v15
	v_lshrrev_b32_e32 v15, s11, v15
	v_mul_lo_u32 v15, v15, s36
	s_cmp_lt_i32 s42, 2
	v_sub_u32_e32 v67, v1, v15
	s_mov_b32 s45, 0
	v_mov_b32_e32 v188, 0
	s_waitcnt lgkmcnt(0)
	s_barrier
	s_cbranch_scc1 .LBB19_143
; %bb.137:                              ;   in Loop: Header=BB19_16 Depth=1
	v_and_b32_e32 v1, 64, v163
	v_add_u32_e32 v1, 64, v1
	v_xor_b32_e32 v15, 32, v163
	v_cmp_lt_i32_e32 vcc, v15, v1
	v_cndmask_b32_e32 v15, v163, v15, vcc
	v_readlane_b32 s10, v197, 25
	v_lshlrev_b32_e32 v69, 2, v15
	v_xor_b32_e32 v15, 16, v163
	v_readlane_b32 s11, v197, 26
	v_cmp_lt_i32_e32 vcc, v15, v1
	v_mad_i64_i32 v[60:61], s[10:11], s10, v67, v[60:61]
	v_cndmask_b32_e32 v1, v163, v15, vcc
	v_add_co_u32_e32 v64, vcc, v153, v60
	v_addc_co_u32_e32 v65, vcc, v154, v61, vcc
	v_mov_b32_e32 v19, s59
	v_add_co_u32_e32 v66, vcc, s95, v155
	v_lshlrev_b32_e32 v177, 2, v1
	v_addc_co_u32_e32 v1, vcc, v156, v19, vcc
	v_add_co_u32_e32 v68, vcc, s95, v157
	v_addc_co_u32_e32 v15, vcc, v158, v19, vcc
	v_add_co_u32_e32 v70, vcc, s95, v94
	;; [unrolled: 2-line block ×3, first 2 shown]
	v_addc_co_u32_e32 v19, vcc, v97, v19, vcc
	v_mov_b32_e32 v35, s94
	v_add_co_u32_e32 v74, vcc, s93, v159
	v_addc_co_u32_e32 v21, vcc, v160, v35, vcc
	v_add_co_u32_e32 v76, vcc, s93, v161
	v_addc_co_u32_e32 v23, vcc, v162, v35, vcc
	;; [unrolled: 2-line block ×3, first 2 shown]
	s_add_i32 s45, s42, -1
	v_add_co_u32_e32 v80, vcc, s93, v100
	v_mov_b32_e32 v184, 0
	v_addc_co_u32_e32 v35, vcc, v101, v35, vcc
	v_mov_b32_e32 v190, 0
	v_mov_b32_e32 v191, 0xfeffffff
	s_mov_b32 s42, s45
	v_mov_b32_e32 v187, 0
	v_mov_b32_e32 v186, 0
	;; [unrolled: 1-line block ×13, first 2 shown]
	global_load_dword v60, v[64:65], off
	s_waitcnt vmcnt(0)
	ds_write_b32 v77, v60 offset:15360
	s_and_saveexec_b64 s[10:11], s[0:1]
	s_cbranch_execz .LBB19_139
.LBB19_138:                             ;   in Loop: Header=BB19_16 Depth=1
	v_mov_b32_e32 v61, s52
	v_add_co_u32_e32 v60, vcc, s65, v74
	v_addc_co_u32_e32 v61, vcc, v21, v61, vcc
	global_load_dwordx4 v[82:85], v[60:61], off
	s_waitcnt vmcnt(0)
	ds_write_b128 v79, v[82:85]
.LBB19_139:                             ;   Parent Loop BB19_16 Depth=1
                                        ; =>  This Inner Loop Header: Depth=2
	s_or_b64 exec, exec, s[10:11]
	v_add_co_u32_e32 v60, vcc, s65, v76
	v_mov_b32_e32 v192, s52
	v_addc_co_u32_e32 v61, vcc, v23, v192, vcc
	global_load_dwordx4 v[82:85], v[60:61], off
	v_add_co_u32_e32 v60, vcc, s65, v78
	v_addc_co_u32_e32 v61, vcc, v29, v192, vcc
	s_waitcnt vmcnt(0)
	ds_write_b128 v90, v[82:85]
	global_load_dwordx4 v[82:85], v[60:61], off
	v_add_co_u32_e32 v60, vcc, s65, v80
	v_addc_co_u32_e32 v61, vcc, v35, v192, vcc
	s_waitcnt vmcnt(0)
	ds_write_b128 v91, v[82:85]
	global_load_dwordx4 v[82:85], v[60:61], off
	s_waitcnt vmcnt(0)
	ds_write_b128 v173, v[82:85]
	s_waitcnt lgkmcnt(0)
	s_barrier
	ds_read2_b64 v[82:85], v81 offset1:4
	s_waitcnt lgkmcnt(0)
	v_mfma_f32_16x16x16f16 v[192:195], v[82:83], v[10:11], 0
	ds_read_b64 v[60:61], v81 offset:192
	v_mfma_f32_16x16x16f16 v[82:85], v[84:85], v[12:13], v[192:195]
	s_nop 7
	s_nop 0
	ds_read2_b64 v[192:195], v81 offset0:8 offset1:12
	s_waitcnt lgkmcnt(0)
	v_mfma_f32_16x16x16f16 v[82:85], v[192:193], v[6:7], v[82:85]
	v_mfma_f32_16x16x16f16 v[82:85], v[194:195], v[8:9], v[82:85]
	ds_read2_b64 v[192:195], v81 offset0:16 offset1:20
	s_waitcnt lgkmcnt(0)
	s_barrier
	v_mfma_f32_16x16x16f16 v[82:85], v[192:193], v[2:3], v[82:85]
	v_mfma_f32_16x16x16f16 v[82:85], v[194:195], v[4:5], v[82:85]
	;; [unrolled: 1-line block ×3, first 2 shown]
	v_add_u32_e32 v60, 0x3c00, v86
	ds_read2_b32 v[60:61], v60 offset1:1
	s_waitcnt lgkmcnt(0)
	s_nop 6
	v_cvt_f32_f16_e32 v84, v60
	v_cvt_f32_f16_sdwa v85, v60 dst_sel:DWORD dst_unused:UNUSED_PAD src0_sel:WORD_1
	v_cvt_f32_f16_e32 v82, v61
	v_cvt_f32_f16_sdwa v83, v61 dst_sel:DWORD dst_unused:UNUSED_PAD src0_sel:WORD_1
	v_pk_add_f32 v[84:85], v[192:193], v[84:85]
	v_add_f32_e32 v60, 0x40051340, v84
	v_pk_add_f32 v[82:83], v[194:195], v[82:83]
	v_add_f32_e32 v192, 0x40051340, v85
	v_add_f32_e32 v61, 0x40051340, v82
	;; [unrolled: 1-line block ×3, first 2 shown]
	v_max3_f32 v60, v191, v60, v192
	v_max3_f32 v60, v60, v61, v194
	ds_bpermute_b32 v61, v69, v60
	s_waitcnt lgkmcnt(0)
	v_max_f32_e32 v61, v61, v61
	v_max_f32_e32 v60, v60, v61
	ds_bpermute_b32 v61, v177, v60
	s_and_saveexec_b64 s[10:11], s[0:1]
	s_cbranch_execz .LBB19_141
; %bb.140:                              ;   in Loop: Header=BB19_139 Depth=2
	v_mov_b32_e32 v193, s60
	v_add_co_u32_e32 v192, vcc, s53, v66
	v_addc_co_u32_e32 v193, vcc, v1, v193, vcc
	global_load_dwordx4 v[192:195], v[192:193], off
	s_waitcnt vmcnt(0)
	ds_write_b128 v79, v[192:195]
.LBB19_141:                             ;   in Loop: Header=BB19_139 Depth=2
	s_or_b64 exec, exec, s[10:11]
	s_waitcnt lgkmcnt(0)
	v_max_f32_e32 v61, v61, v61
	v_max_f32_e32 v60, v60, v60
	;; [unrolled: 1-line block ×3, first 2 shown]
	v_pk_add_f32 v[84:85], v[84:85], v[60:61] op_sel_hi:[1,0] neg_lo:[0,1] neg_hi:[0,1]
	v_mul_f32_e32 v61, 0x3fb8aa3b, v85
	v_fma_f32 v192, v85, s39, -v61
	v_rndne_f32_e32 v193, v61
	v_fmac_f32_e32 v192, 0x32a5705f, v85
	v_sub_f32_e32 v61, v61, v193
	v_add_f32_e32 v61, v61, v192
	v_exp_f32_e32 v61, v61
	v_cvt_i32_f32_e32 v192, v193
	v_cmp_ngt_f32_e32 vcc, s67, v85
	s_add_i32 s42, s42, -1
	s_cmp_lg_u32 s42, 0
	v_ldexp_f32 v61, v61, v192
	v_cndmask_b32_e32 v61, 0, v61, vcc
	v_cmp_nlt_f32_e32 vcc, s7, v85
	v_cndmask_b32_e32 v192, v174, v61, vcc
	v_mul_f32_e32 v61, 0x3fb8aa3b, v84
	v_fma_f32 v85, v84, s39, -v61
	v_rndne_f32_e32 v193, v61
	v_fmac_f32_e32 v85, 0x32a5705f, v84
	v_sub_f32_e32 v61, v61, v193
	v_add_f32_e32 v61, v61, v85
	v_exp_f32_e32 v61, v61
	v_cvt_i32_f32_e32 v85, v193
	v_cmp_ngt_f32_e32 vcc, s67, v84
	v_ldexp_f32 v61, v61, v85
	v_cndmask_b32_e32 v61, 0, v61, vcc
	v_cmp_nlt_f32_e32 vcc, s7, v84
	v_pk_add_f32 v[82:83], v[82:83], v[60:61] op_sel_hi:[1,0] neg_lo:[0,1] neg_hi:[0,1]
	v_cndmask_b32_e32 v193, v174, v61, vcc
	v_mul_f32_e32 v61, 0x3fb8aa3b, v83
	v_fma_f32 v84, v83, s39, -v61
	v_rndne_f32_e32 v85, v61
	v_fmac_f32_e32 v84, 0x32a5705f, v83
	v_sub_f32_e32 v61, v61, v85
	v_add_f32_e32 v61, v61, v84
	v_exp_f32_e32 v61, v61
	v_cvt_i32_f32_e32 v84, v85
	v_cmp_ngt_f32_e32 vcc, s67, v83
	v_ldexp_f32 v61, v61, v84
	v_cndmask_b32_e32 v61, 0, v61, vcc
	v_cmp_nlt_f32_e32 vcc, s7, v83
	v_cndmask_b32_e32 v83, v174, v61, vcc
	v_mul_f32_e32 v61, 0x3fb8aa3b, v82
	v_fma_f32 v84, v82, s39, -v61
	v_rndne_f32_e32 v85, v61
	v_fmac_f32_e32 v84, 0x32a5705f, v82
	v_sub_f32_e32 v61, v61, v85
	v_add_f32_e32 v61, v61, v84
	v_exp_f32_e32 v61, v61
	v_cvt_i32_f32_e32 v84, v85
	v_cmp_ngt_f32_e32 vcc, s67, v82
	v_ldexp_f32 v61, v61, v84
	v_cndmask_b32_e32 v61, 0, v61, vcc
	v_cmp_nlt_f32_e32 vcc, s7, v82
	v_sub_f32_e32 v82, v191, v60
	v_mul_f32_e32 v84, 0x3fb8aa3b, v82
	v_fma_f32 v85, v82, s39, -v84
	v_rndne_f32_e32 v191, v84
	v_fmac_f32_e32 v85, 0x32a5705f, v82
	v_sub_f32_e32 v84, v84, v191
	v_add_f32_e32 v84, v84, v85
	v_exp_f32_e32 v84, v84
	v_cvt_i32_f32_e32 v85, v191
	v_cndmask_b32_e32 v194, v174, v61, vcc
	v_cmp_ngt_f32_e32 vcc, s67, v82
	v_add_f32_e32 v61, v193, v192
	v_ldexp_f32 v84, v84, v85
	v_cndmask_b32_e32 v84, 0, v84, vcc
	v_cmp_nlt_f32_e32 vcc, s7, v82
	v_add_f32_e32 v61, v194, v61
	v_cndmask_b32_e32 v84, v174, v84, vcc
	v_cmp_le_f32_e32 vcc, s6, v82
	v_add_f32_e32 v61, v83, v61
	v_cndmask_b32_e32 v82, 0, v84, vcc
	v_fmac_f32_e32 v61, v190, v82
	v_cvt_f16_f32_e32 v82, v82
	v_cvt_f16_f32_e32 v83, v83
	v_pk_mul_f16 v176, v82, v176 op_sel_hi:[0,1]
	v_pk_mul_f16 v71, v82, v71 op_sel_hi:[0,1]
	;; [unrolled: 1-line block ×14, first 2 shown]
	v_cvt_f16_f32_e32 v82, v192
	v_cvt_f16_f32_e32 v187, v193
	v_add_co_u32_e32 v188, vcc, s53, v68
	v_pack_b32_f16 v82, v187, v82
	v_cvt_f16_f32_e32 v187, v194
	v_pack_b32_f16 v83, v187, v83
	v_mov_b32_e32 v187, s60
	v_addc_co_u32_e32 v189, vcc, v15, v187, vcc
	global_load_dwordx4 v[192:195], v[188:189], off
	v_add_co_u32_e32 v188, vcc, s53, v70
	v_addc_co_u32_e32 v189, vcc, v17, v187, vcc
	s_waitcnt vmcnt(0)
	ds_write_b128 v90, v[192:195]
	global_load_dwordx4 v[192:195], v[188:189], off
	v_add_co_u32_e32 v188, vcc, s53, v72
	v_addc_co_u32_e32 v189, vcc, v19, v187, vcc
	v_add_co_u32_e32 v64, vcc, s57, v64
	v_addc_co_u32_e32 v65, vcc, 0, v65, vcc
	v_add_co_u32_e32 v66, vcc, s68, v66
	s_waitcnt vmcnt(0)
	ds_write_b128 v91, v[192:195]
	global_load_dwordx4 v[192:195], v[188:189], off
	s_waitcnt vmcnt(0)
	ds_write_b128 v173, v[192:195]
	s_waitcnt lgkmcnt(0)
	s_barrier
	ds_read_u16 v187, v88 offset:240
	ds_read_u16 v188, v88 offset:480
	v_cvt_f32_f16_e32 v194, v71
	v_cvt_f32_f16_sdwa v195, v71 dst_sel:DWORD dst_unused:UNUSED_PAD src0_sel:WORD_1
	ds_read_u16 v71, v89
	ds_read_u16 v191, v89 offset:32
	v_cvt_f32_f16_e32 v192, v176
	v_cvt_f32_f16_sdwa v193, v176 dst_sel:DWORD dst_unused:UNUSED_PAD src0_sel:WORD_1
	s_waitcnt lgkmcnt(1)
	v_perm_b32 v189, v71, v188, s92
	ds_read_u16 v71, v87
	ds_read_u16 v196, v87 offset:32
	s_waitcnt lgkmcnt(1)
	v_perm_b32 v188, v187, v71, s92
	s_nop 1
	v_mfma_f32_16x16x16f16 v[192:195], v[188:189], v[82:83], v[192:195]
	s_nop 7
	s_nop 2
	v_cvt_f16_f32_e32 v71, v192
	v_cvt_f16_f32_e32 v176, v193
	;; [unrolled: 1-line block ×4, first 2 shown]
	v_cvt_f32_f16_e32 v192, v179
	v_pack_b32_f16 v176, v71, v176
	v_cvt_f32_f16_sdwa v193, v179 dst_sel:DWORD dst_unused:UNUSED_PAD src0_sel:WORD_1
	v_pack_b32_f16 v71, v187, v188
	ds_read_u16 v187, v167 offset:240
	ds_read_u16 v188, v167 offset:480
	v_cvt_f32_f16_e32 v194, v178
	v_cvt_f32_f16_sdwa v195, v178 dst_sel:DWORD dst_unused:UNUSED_PAD src0_sel:WORD_1
	s_waitcnt lgkmcnt(1)
	v_perm_b32 v178, v187, v196, s92
	s_waitcnt lgkmcnt(0)
	v_perm_b32 v179, v191, v188, s92
	s_nop 1
	v_mfma_f32_16x16x16f16 v[192:195], v[178:179], v[82:83], v[192:195]
	s_nop 7
	s_nop 2
	v_cvt_f16_f32_e32 v178, v192
	v_cvt_f16_f32_e32 v179, v193
	v_cvt_f16_f32_e32 v187, v194
	v_cvt_f16_f32_e32 v188, v195
	v_cvt_f32_f16_e32 v192, v181
	v_pack_b32_f16 v179, v178, v179
	v_cvt_f32_f16_sdwa v193, v181 dst_sel:DWORD dst_unused:UNUSED_PAD src0_sel:WORD_1
	v_pack_b32_f16 v178, v187, v188
	ds_read_u16 v187, v87 offset:64
	ds_read_u16 v188, v168 offset:240
	ds_read_u16 v189, v168 offset:480
	ds_read_u16 v191, v89 offset:64
	v_cvt_f32_f16_e32 v194, v180
	v_cvt_f32_f16_sdwa v195, v180 dst_sel:DWORD dst_unused:UNUSED_PAD src0_sel:WORD_1
	s_waitcnt lgkmcnt(2)
	v_perm_b32 v180, v188, v187, s92
	s_waitcnt lgkmcnt(0)
	v_perm_b32 v181, v191, v189, s92
	s_nop 1
	v_mfma_f32_16x16x16f16 v[192:195], v[180:181], v[82:83], v[192:195]
	s_nop 7
	s_nop 2
	v_cvt_f16_f32_e32 v180, v192
	v_cvt_f16_f32_e32 v181, v193
	v_cvt_f16_f32_e32 v187, v194
	v_cvt_f16_f32_e32 v188, v195
	v_cvt_f32_f16_e32 v192, v183
	v_pack_b32_f16 v181, v180, v181
	v_cvt_f32_f16_sdwa v193, v183 dst_sel:DWORD dst_unused:UNUSED_PAD src0_sel:WORD_1
	v_pack_b32_f16 v180, v187, v188
	ds_read_u16 v187, v87 offset:96
	ds_read_u16 v188, v169 offset:240
	;; [unrolled: 22-line block ×3, first 2 shown]
	ds_read_u16 v187, v170 offset:480
	ds_read_u16 v191, v89 offset:128
	v_cvt_f32_f16_e32 v194, v185
	v_cvt_f32_f16_sdwa v195, v185 dst_sel:DWORD dst_unused:UNUSED_PAD src0_sel:WORD_1
	s_waitcnt lgkmcnt(2)
	v_perm_b32 v186, v189, v188, s92
	s_waitcnt lgkmcnt(0)
	v_perm_b32 v187, v191, v187, s92
	v_cvt_f32_f16_sdwa v191, v184 dst_sel:DWORD dst_unused:UNUSED_PAD src0_sel:WORD_1
	s_nop 0
	v_mfma_f32_16x16x16f16 v[186:189], v[186:187], v[82:83], v[192:195]
	s_nop 7
	s_nop 2
	v_cvt_f16_f32_e32 v185, v186
	v_cvt_f16_f32_e32 v186, v187
	;; [unrolled: 1-line block ×4, first 2 shown]
	v_cvt_f32_f16_sdwa v189, v190 dst_sel:DWORD dst_unused:UNUSED_PAD src0_sel:WORD_1
	v_pack_b32_f16 v186, v185, v186
	v_pack_b32_f16 v185, v187, v188
	ds_read_u16 v187, v87 offset:160
	ds_read_u16 v192, v171 offset:240
	;; [unrolled: 1-line block ×4, first 2 shown]
	v_cvt_f32_f16_e32 v188, v190
	v_cvt_f32_f16_e32 v190, v184
	s_waitcnt lgkmcnt(2)
	v_perm_b32 v192, v192, v187, s92
	s_waitcnt lgkmcnt(0)
	v_perm_b32 v193, v194, v193, s92
	s_nop 1
	v_mfma_f32_16x16x16f16 v[188:191], v[192:193], v[82:83], v[188:191]
	ds_read_u16 v192, v87 offset:192
	ds_read_u16 v193, v172 offset:240
	ds_read_u16 v194, v172 offset:480
	ds_read_u16 v195, v89 offset:192
	s_waitcnt lgkmcnt(0)
	s_barrier
	s_nop 4
	v_cvt_f16_f32_e32 v184, v188
	v_cvt_f16_f32_e32 v187, v189
	;; [unrolled: 1-line block ×4, first 2 shown]
	v_cvt_f32_f16_e32 v190, v84
	v_pack_b32_f16 v184, v184, v187
	v_cvt_f32_f16_sdwa v191, v84 dst_sel:DWORD dst_unused:UNUSED_PAD src0_sel:WORD_1
	v_pack_b32_f16 v187, v188, v189
	v_cvt_f32_f16_e32 v188, v85
	v_cvt_f32_f16_sdwa v189, v85 dst_sel:DWORD dst_unused:UNUSED_PAD src0_sel:WORD_1
	v_perm_b32 v85, v195, v194, s92
	v_perm_b32 v84, v193, v192, s92
	s_nop 1
	v_mfma_f32_16x16x16f16 v[82:85], v[84:85], v[82:83], v[188:191]
	s_nop 7
	s_nop 2
	v_cvt_f16_f32_e32 v82, v82
	v_cvt_f16_f32_e32 v83, v83
	;; [unrolled: 1-line block ×4, first 2 shown]
	v_pack_b32_f16 v189, v82, v83
	v_mov_b32_e32 v82, s69
	v_addc_co_u32_e32 v1, vcc, v1, v82, vcc
	v_add_co_u32_e32 v68, vcc, s68, v68
	v_addc_co_u32_e32 v15, vcc, v15, v82, vcc
	v_add_co_u32_e32 v70, vcc, s68, v70
	v_addc_co_u32_e32 v17, vcc, v17, v82, vcc
	v_add_co_u32_e32 v72, vcc, s68, v72
	v_addc_co_u32_e32 v19, vcc, v19, v82, vcc
	v_add_co_u32_e32 v74, vcc, s70, v74
	v_mov_b32_e32 v82, s71
	v_addc_co_u32_e32 v21, vcc, v21, v82, vcc
	v_add_co_u32_e32 v76, vcc, s70, v76
	v_addc_co_u32_e32 v23, vcc, v23, v82, vcc
	v_add_co_u32_e32 v78, vcc, s70, v78
	v_addc_co_u32_e32 v29, vcc, v29, v82, vcc
	v_add_co_u32_e32 v80, vcc, s70, v80
	v_pack_b32_f16 v188, v84, v85
	v_addc_co_u32_e32 v35, vcc, v35, v82, vcc
	s_cbranch_scc0 .LBB19_144
; %bb.142:                              ;   in Loop: Header=BB19_139 Depth=2
	v_mov_b32_e32 v190, v61
	v_mov_b32_e32 v191, v60
	global_load_dword v60, v[64:65], off
	s_waitcnt vmcnt(0)
	ds_write_b32 v77, v60 offset:15360
	s_and_saveexec_b64 s[10:11], s[0:1]
	s_cbranch_execnz .LBB19_138
	s_branch .LBB19_139
.LBB19_143:                             ;   in Loop: Header=BB19_16 Depth=1
	v_mov_b32_e32 v61, 0
	v_mov_b32_e32 v60, 0xfeffffff
	v_mov_b32_e32 v189, 0
	v_mov_b32_e32 v71, 0
	v_mov_b32_e32 v176, 0
	v_mov_b32_e32 v178, 0
	v_mov_b32_e32 v179, 0
	v_mov_b32_e32 v180, 0
	v_mov_b32_e32 v181, 0
	v_mov_b32_e32 v182, 0
	v_mov_b32_e32 v183, 0
	v_mov_b32_e32 v185, 0
	v_mov_b32_e32 v186, 0
	v_mov_b32_e32 v187, 0
	v_mov_b32_e32 v184, 0
.LBB19_144:                             ;   in Loop: Header=BB19_16 Depth=1
	v_mad_i64_i32 v[64:65], s[10:11], v67, s38, 0
	s_lshl_b32 s60, s45, 6
	s_lshl_b64 s[10:11], s[60:61], 1
	v_mov_b32_e32 v1, s11
	v_add_co_u32_e32 v15, vcc, s10, v59
	v_addc_co_u32_e32 v1, vcc, v175, v1, vcc
	v_lshlrev_b64 v[64:65], 1, v[64:65]
	v_add_co_u32_e32 v15, vcc, v15, v64
	v_addc_co_u32_e32 v1, vcc, v1, v65, vcc
	v_lshlrev_b32_e32 v17, 1, v16
	v_add_co_u32_e32 v64, vcc, v15, v17
	v_addc_co_u32_e32 v65, vcc, 0, v1, vcc
	global_load_dword v1, v[64:65], off
	s_mul_i32 s11, s35, s60
	s_mul_hi_u32 s42, s34, s60
	s_mul_i32 s10, s34, s60
	s_add_i32 s11, s42, s11
	s_lshl_b64 s[10:11], s[10:11], 2
	s_add_u32 s45, s64, s10
	s_addc_u32 s42, s63, s11
	s_waitcnt vmcnt(0)
	ds_write_b32 v77, v1 offset:15360
	s_and_saveexec_b64 s[10:11], s[0:1]
	s_cbranch_execz .LBB19_146
; %bb.145:                              ;   in Loop: Header=BB19_16 Depth=1
	v_mov_b32_e32 v1, s42
	v_add_co_u32_e32 v15, vcc, s45, v38
	v_addc_co_u32_e32 v1, vcc, v1, v39, vcc
	v_lshlrev_b32_e32 v17, 2, v18
	v_add_co_u32_e32 v64, vcc, v15, v17
	v_addc_co_u32_e32 v65, vcc, 0, v1, vcc
	global_load_dwordx4 v[64:67], v[64:65], off offset:192
	s_waitcnt vmcnt(0)
	ds_write_b128 v92, v[64:67]
.LBB19_146:                             ;   in Loop: Header=BB19_16 Depth=1
	s_or_b64 exec, exec, s[10:11]
	v_add_co_u32_e32 v1, vcc, s45, v40
	v_mov_b32_e32 v15, s42
	v_addc_co_u32_e32 v17, vcc, v15, v41, vcc
	v_lshlrev_b32_e32 v15, 2, v20
	v_add_co_u32_e32 v64, vcc, v1, v15
	v_addc_co_u32_e32 v65, vcc, 0, v17, vcc
	global_load_dwordx4 v[64:67], v[64:65], off offset:128
	v_add_co_u32_e32 v17, vcc, s45, v42
	v_mov_b32_e32 v1, s42
	v_addc_co_u32_e32 v19, vcc, v1, v43, vcc
	v_lshlrev_b32_e32 v1, 2, v22
	s_mul_i32 s10, s60, s15
	s_mul_hi_u32 s11, s60, s14
	s_add_i32 s11, s11, s10
	s_mul_i32 s10, s60, s14
	s_lshl_b64 s[10:11], s[10:11], 2
	s_waitcnt vmcnt(0)
	ds_write_b128 v90, v[64:67]
	v_add_co_u32_e32 v64, vcc, v17, v1
	v_addc_co_u32_e32 v65, vcc, 0, v19, vcc
	global_load_dwordx4 v[64:67], v[64:65], off
	v_add_co_u32_e32 v17, vcc, s45, v44
	v_mov_b32_e32 v19, s42
	v_addc_co_u32_e32 v19, vcc, v19, v45, vcc
	s_add_u32 s42, s82, s10
	s_addc_u32 s45, s62, s11
	s_waitcnt vmcnt(0)
	ds_write_b128 v91, v[64:67]
	v_add_co_u32_e32 v64, vcc, v17, v1
	v_addc_co_u32_e32 v65, vcc, 0, v19, vcc
	global_load_dwordx4 v[64:67], v[64:65], off
	s_waitcnt vmcnt(0)
	ds_write_b128 v173, v[64:67]
	s_waitcnt lgkmcnt(0)
	s_barrier
	ds_read2_b64 v[64:67], v81 offset1:4
	s_waitcnt lgkmcnt(0)
	v_mfma_f32_16x16x16f16 v[82:85], v[64:65], v[10:11], 0
	v_mfma_f32_16x16x16f16 v[10:13], v[66:67], v[12:13], v[82:85]
	ds_read2_b64 v[64:67], v81 offset0:8 offset1:12
	s_waitcnt lgkmcnt(0)
	v_mfma_f32_16x16x16f16 v[10:13], v[64:65], v[6:7], v[10:13]
	v_mfma_f32_16x16x16f16 v[6:9], v[66:67], v[8:9], v[10:13]
	s_nop 7
	s_nop 1
	ds_read2_b64 v[10:13], v81 offset0:16 offset1:20
	s_waitcnt lgkmcnt(0)
	v_mfma_f32_16x16x16f16 v[6:9], v[10:11], v[2:3], v[6:9]
	v_mfma_f32_16x16x16f16 v[2:5], v[12:13], v[4:5], v[6:9]
	s_nop 7
	s_nop 1
	ds_read_b64 v[6:7], v81 offset:192
	v_and_b32_e32 v8, 64, v163
	s_waitcnt lgkmcnt(0)
	v_mfma_f32_16x16x16f16 v[2:5], v[6:7], v[62:63], v[2:5]
	v_add_u32_e32 v6, 0x3c00, v86
	v_add_u32_e32 v8, 64, v8
	v_xor_b32_e32 v9, 32, v163
	s_barrier
	ds_read2_b32 v[6:7], v6 offset1:1
	v_cmp_lt_i32_e32 vcc, v9, v8
	v_cndmask_b32_e32 v9, v163, v9, vcc
	v_lshlrev_b32_e32 v17, 2, v9
	v_xor_b32_e32 v9, 16, v163
	v_cmp_lt_i32_e32 vcc, v9, v8
	v_cndmask_b32_e32 v8, v163, v9, vcc
	v_lshlrev_b32_e32 v19, 2, v8
	s_waitcnt lgkmcnt(0)
	v_cvt_f32_f16_e32 v8, v7
	v_cvt_f32_f16_sdwa v9, v7 dst_sel:DWORD dst_unused:UNUSED_PAD src0_sel:WORD_1
	v_pk_add_f32 v[4:5], v[4:5], v[8:9]
	v_cvt_f32_f16_e32 v8, v6
	v_cvt_f32_f16_sdwa v9, v6 dst_sel:DWORD dst_unused:UNUSED_PAD src0_sel:WORD_1
	v_add_f32_e32 v10, 0x40051340, v4
	v_add_f32_e32 v11, 0x40051340, v5
	v_pk_add_f32 v[6:7], v[2:3], v[8:9]
	v_add_f32_e32 v2, 0x40051340, v6
	v_add_f32_e32 v3, 0x40051340, v7
	v_max3_f32 v2, v60, v2, v3
	v_max3_f32 v2, v2, v10, v11
	ds_bpermute_b32 v3, v17, v2
	s_waitcnt lgkmcnt(0)
	v_max_f32_e32 v3, v3, v3
	v_max_f32_e32 v2, v2, v3
	ds_bpermute_b32 v3, v19, v2
	s_and_saveexec_b64 s[10:11], s[0:1]
	s_cbranch_execz .LBB19_148
; %bb.147:                              ;   in Loop: Header=BB19_16 Depth=1
	v_mov_b32_e32 v8, s45
	v_add_co_u32_e32 v9, vcc, s42, v26
	v_addc_co_u32_e32 v10, vcc, v8, v27, vcc
	v_lshlrev_b32_e32 v8, 2, v18
	v_add_co_u32_e32 v8, vcc, v9, v8
	v_addc_co_u32_e32 v9, vcc, 0, v10, vcc
	global_load_dwordx4 v[8:11], v[8:9], off offset:192
	s_waitcnt vmcnt(0)
	ds_write_b128 v79, v[8:11]
.LBB19_148:                             ;   in Loop: Header=BB19_16 Depth=1
	s_or_b64 exec, exec, s[10:11]
	s_waitcnt lgkmcnt(0)
	v_max_f32_e32 v3, v3, v3
	v_max_f32_e32 v2, v2, v2
	;; [unrolled: 1-line block ×3, first 2 shown]
	v_pk_add_f32 v[66:67], v[6:7], v[2:3] op_sel_hi:[1,0] neg_lo:[0,1] neg_hi:[0,1]
	v_mul_f32_e32 v3, 0x3fb8aa3b, v67
	v_fma_f32 v6, v67, s39, -v3
	v_rndne_f32_e32 v7, v3
	v_fmac_f32_e32 v6, 0x32a5705f, v67
	v_sub_f32_e32 v3, v3, v7
	v_add_f32_e32 v3, v3, v6
	v_exp_f32_e32 v3, v3
	v_cvt_i32_f32_e32 v6, v7
	v_add_co_u32_e32 v7, vcc, s42, v30
	v_mul_f32_e32 v21, 0x3fb8aa3b, v66
	v_ldexp_f32 v3, v3, v6
	v_mov_b32_e32 v6, s45
	v_addc_co_u32_e32 v8, vcc, v6, v31, vcc
	v_add_co_u32_e32 v6, vcc, v7, v15
	v_addc_co_u32_e32 v7, vcc, 0, v8, vcc
	v_mov_b32_e32 v8, s45
	v_add_co_u32_e32 v9, vcc, s42, v32
	v_addc_co_u32_e32 v8, vcc, v8, v33, vcc
	v_add_co_u32_e32 v10, vcc, v9, v1
	v_addc_co_u32_e32 v11, vcc, 0, v8, vcc
	v_mov_b32_e32 v15, s45
	v_add_co_u32_e32 v35, vcc, s42, v36
	v_addc_co_u32_e32 v15, vcc, v15, v37, vcc
	global_load_dwordx4 v[6:9], v[6:7], off offset:128
	s_nop 0
	global_load_dwordx4 v[10:13], v[10:11], off
	v_add_co_u32_e32 v62, vcc, v35, v1
	v_addc_co_u32_e32 v63, vcc, 0, v15, vcc
	global_load_dwordx4 v[62:65], v[62:63], off
	v_fma_f32 v23, v66, s39, -v21
	v_rndne_f32_e32 v29, v21
	v_fmac_f32_e32 v23, 0x32a5705f, v66
	v_sub_f32_e32 v1, v21, v29
	v_add_f32_e32 v1, v1, v23
	v_exp_f32_e32 v1, v1
	v_cvt_i32_f32_e32 v15, v29
	v_cmp_ngt_f32_e32 vcc, s67, v67
	v_cndmask_b32_e32 v3, 0, v3, vcc
	v_cmp_nlt_f32_e32 vcc, s7, v67
	v_cndmask_b32_e32 v3, v174, v3, vcc
	v_pk_add_f32 v[4:5], v[4:5], v[2:3] op_sel_hi:[1,0] neg_lo:[0,1] neg_hi:[0,1]
	v_ldexp_f32 v1, v1, v15
	v_mul_f32_e32 v15, 0x3fb8aa3b, v5
	v_fma_f32 v21, v5, s39, -v15
	v_rndne_f32_e32 v23, v15
	v_fmac_f32_e32 v21, 0x32a5705f, v5
	v_sub_f32_e32 v15, v15, v23
	v_add_f32_e32 v15, v15, v21
	v_exp_f32_e32 v15, v15
	v_cvt_i32_f32_e32 v21, v23
	v_cmp_ngt_f32_e32 vcc, s67, v66
	v_cndmask_b32_e32 v1, 0, v1, vcc
	v_cmp_nlt_f32_e32 vcc, s7, v66
	v_ldexp_f32 v15, v15, v21
	v_mul_f32_e32 v21, 0x3fb8aa3b, v4
	v_fma_f32 v23, v4, s39, -v21
	v_rndne_f32_e32 v29, v21
	v_fmac_f32_e32 v23, 0x32a5705f, v4
	v_sub_f32_e32 v21, v21, v29
	v_add_f32_e32 v21, v21, v23
	v_exp_f32_e32 v21, v21
	v_cvt_i32_f32_e32 v23, v29
	v_cndmask_b32_e32 v1, v174, v1, vcc
	v_cmp_ngt_f32_e32 vcc, s67, v5
	v_cndmask_b32_e32 v15, 0, v15, vcc
	v_cmp_nlt_f32_e32 vcc, s7, v5
	v_cndmask_b32_e32 v5, v174, v15, vcc
	v_ldexp_f32 v15, v21, v23
	v_sub_f32_e32 v21, v60, v2
	v_mul_f32_e32 v23, 0x3fb8aa3b, v21
	v_fma_f32 v29, v21, s39, -v23
	v_rndne_f32_e32 v35, v23
	v_fmac_f32_e32 v29, 0x32a5705f, v21
	v_sub_f32_e32 v23, v23, v35
	v_add_f32_e32 v23, v23, v29
	v_exp_f32_e32 v23, v23
	v_cvt_i32_f32_e32 v29, v35
	v_cmp_ngt_f32_e32 vcc, s67, v4
	v_cndmask_b32_e32 v15, 0, v15, vcc
	v_cmp_nlt_f32_e32 vcc, s7, v4
	v_cndmask_b32_e32 v4, v174, v15, vcc
	v_ldexp_f32 v23, v23, v29
	v_cmp_ngt_f32_e32 vcc, s67, v21
	v_cndmask_b32_e32 v23, 0, v23, vcc
	v_cmp_nlt_f32_e32 vcc, s7, v21
	v_cndmask_b32_e32 v23, v174, v23, vcc
	v_cmp_le_f32_e32 vcc, s6, v21
	v_cndmask_b32_e32 v21, 0, v23, vcc
	v_cvt_f16_f32_e32 v23, v21
	v_add_f32_e32 v15, v1, v3
	v_add_f32_e32 v15, v4, v15
	s_waitcnt vmcnt(2)
	ds_write_b128 v90, v[6:9]
	s_waitcnt vmcnt(1)
	ds_write_b128 v91, v[10:13]
	;; [unrolled: 2-line block ×3, first 2 shown]
	s_waitcnt lgkmcnt(0)
	s_barrier
	ds_read_u16 v7, v88 offset:240
	v_add_f32_e32 v15, v5, v15
	v_fmac_f32_e32 v15, v61, v21
	v_pk_mul_f16 v21, v23, v176 op_sel_hi:[0,1]
	v_cvt_f16_f32_e32 v61, v5
	v_cvt_f16_f32_e32 v69, v4
	v_cvt_f32_f16_e32 v4, v21
	v_cvt_f32_f16_sdwa v5, v21 dst_sel:DWORD dst_unused:UNUSED_PAD src0_sel:WORD_1
	ds_read_u16 v8, v88 offset:480
	ds_read_u16 v9, v89
	ds_read_u16 v10, v89 offset:32
	ds_read_u16 v13, v89 offset:64
	;; [unrolled: 1-line block ×6, first 2 shown]
	s_waitcnt lgkmcnt(6)
	v_perm_b32 v9, v9, v8, s92
	ds_read_u16 v8, v87
	ds_read_u16 v12, v87 offset:32
	ds_read_u16 v62, v87 offset:64
	;; [unrolled: 1-line block ×6, first 2 shown]
	v_pk_mul_f16 v29, v23, v71 op_sel_hi:[0,1]
	v_cvt_f16_f32_e32 v3, v3
	v_cvt_f16_f32_e32 v1, v1
	s_waitcnt lgkmcnt(6)
	v_perm_b32 v8, v7, v8, s92
	v_cvt_f32_f16_e32 v6, v29
	v_cvt_f32_f16_sdwa v7, v29 dst_sel:DWORD dst_unused:UNUSED_PAD src0_sel:WORD_1
	v_pack_b32_f16 v68, v1, v3
	v_pack_b32_f16 v69, v69, v61
	v_pk_mul_f16 v35, v23, v179 op_sel_hi:[0,1]
	v_pk_mul_f16 v59, v23, v178 op_sel_hi:[0,1]
	v_mfma_f32_16x16x16f16 v[4:7], v[8:9], v[68:69], v[4:7]
	v_cvt_f32_f16_e32 v8, v59
	v_pk_mul_f16 v60, v23, v181 op_sel_hi:[0,1]
	v_pk_mul_f16 v66, v23, v180 op_sel_hi:[0,1]
	;; [unrolled: 1-line block ×6, first 2 shown]
	s_nop 3
	v_cvt_f16_f32_e32 v1, v4
	v_cvt_f16_f32_e32 v3, v5
	;; [unrolled: 1-line block ×4, first 2 shown]
	v_cvt_f32_f16_e32 v6, v35
	v_cvt_f32_f16_sdwa v7, v35 dst_sel:DWORD dst_unused:UNUSED_PAD src0_sel:WORD_1
	ds_read_u16 v4, v167 offset:240
	ds_read_u16 v9, v167 offset:480
	;; [unrolled: 1-line block ×8, first 2 shown]
	s_waitcnt lgkmcnt(6)
	v_perm_b32 v11, v10, v9, s92
	v_perm_b32 v10, v4, v12, s92
	v_cvt_f32_f16_sdwa v9, v59 dst_sel:DWORD dst_unused:UNUSED_PAD src0_sel:WORD_1
	v_pack_b32_f16 v4, v1, v3
	v_pack_b32_f16 v1, v5, v61
	v_mfma_f32_16x16x16f16 v[6:9], v[10:11], v[68:69], v[6:9]
	v_cvt_f32_f16_e32 v10, v60
	v_cvt_f32_f16_sdwa v11, v60 dst_sel:DWORD dst_unused:UNUSED_PAD src0_sel:WORD_1
	s_waitcnt lgkmcnt(4)
	v_perm_b32 v61, v13, v65, s92
	v_perm_b32 v60, v35, v62, s92
	v_cvt_f32_f16_e32 v12, v66
	v_cvt_f32_f16_sdwa v13, v66 dst_sel:DWORD dst_unused:UNUSED_PAD src0_sel:WORD_1
	s_waitcnt lgkmcnt(0)
	v_perm_b32 v65, v63, v177, s92
	s_nop 1
	v_cvt_f16_f32_e32 v5, v7
	v_cvt_f16_f32_e32 v7, v8
	;; [unrolled: 1-line block ×3, first 2 shown]
	v_mfma_f32_16x16x16f16 v[8:11], v[60:61], v[68:69], v[10:13]
	v_cvt_f16_f32_e32 v3, v6
	v_perm_b32 v61, v21, v175, s92
	v_perm_b32 v60, v85, v64, s92
	;; [unrolled: 1-line block ×3, first 2 shown]
	v_pack_b32_f16 v6, v3, v5
	s_nop 1
	v_cvt_f32_f16_e32 v12, v70
	v_cvt_f32_f16_sdwa v13, v70 dst_sel:DWORD dst_unused:UNUSED_PAD src0_sel:WORD_1
	s_nop 1
	v_cvt_f16_f32_e32 v3, v8
	v_cvt_f16_f32_e32 v8, v9
	;; [unrolled: 1-line block ×4, first 2 shown]
	v_cvt_f32_f16_e32 v10, v67
	v_cvt_f32_f16_sdwa v11, v67 dst_sel:DWORD dst_unused:UNUSED_PAD src0_sel:WORD_1
	v_cvt_f32_f16_e32 v62, v72
	v_cvt_f32_f16_sdwa v63, v72 dst_sel:DWORD dst_unused:UNUSED_PAD src0_sel:WORD_1
	v_mfma_f32_16x16x16f16 v[10:13], v[60:61], v[68:69], v[10:13]
	v_cvt_f32_f16_e32 v60, v71
	v_cvt_f32_f16_sdwa v61, v71 dst_sel:DWORD dst_unused:UNUSED_PAD src0_sel:WORD_1
	v_pack_b32_f16 v5, v7, v35
	v_pack_b32_f16 v8, v3, v8
	;; [unrolled: 1-line block ×3, first 2 shown]
	v_pk_mul_f16 v74, v23, v184 op_sel_hi:[0,1]
	v_pk_mul_f16 v76, v23, v187 op_sel_hi:[0,1]
	s_nop 3
	v_cvt_f16_f32_e32 v3, v10
	v_cvt_f16_f32_e32 v9, v11
	v_mfma_f32_16x16x16f16 v[60:63], v[64:65], v[68:69], v[60:63]
	v_cvt_f16_f32_e32 v11, v12
	v_cvt_f16_f32_e32 v12, v13
	v_pack_b32_f16 v10, v3, v9
	ds_read_u16 v9, v171 offset:240
	ds_read_u16 v59, v171 offset:480
	ds_read_u16 v67, v172 offset:240
	ds_read_u16 v70, v172 offset:480
	v_pk_mul_f16 v29, v23, v189 op_sel_hi:[0,1]
	v_pk_mul_f16 v23, v23, v188 op_sel_hi:[0,1]
	s_waitcnt lgkmcnt(3)
	v_perm_b32 v64, v9, v83, s92
	s_waitcnt lgkmcnt(2)
	v_perm_b32 v65, v78, v59, s92
	v_cvt_f16_f32_e32 v3, v60
	v_cvt_f16_f32_e32 v13, v61
	;; [unrolled: 1-line block ×4, first 2 shown]
	v_cvt_f32_f16_e32 v60, v74
	v_cvt_f32_f16_sdwa v61, v74 dst_sel:DWORD dst_unused:UNUSED_PAD src0_sel:WORD_1
	v_cvt_f32_f16_e32 v62, v76
	v_cvt_f32_f16_sdwa v63, v76 dst_sel:DWORD dst_unused:UNUSED_PAD src0_sel:WORD_1
	s_waitcnt lgkmcnt(0)
	v_perm_b32 v71, v80, v70, s92
	v_perm_b32 v70, v67, v84, s92
	v_mfma_f32_16x16x16f16 v[60:63], v[64:65], v[68:69], v[60:63]
	v_cvt_f32_f16_e32 v64, v29
	v_cvt_f32_f16_sdwa v65, v29 dst_sel:DWORD dst_unused:UNUSED_PAD src0_sel:WORD_1
	v_cvt_f32_f16_e32 v66, v23
	v_cvt_f32_f16_sdwa v67, v23 dst_sel:DWORD dst_unused:UNUSED_PAD src0_sel:WORD_1
	v_pack_b32_f16 v9, v11, v12
	v_pack_b32_f16 v11, v21, v35
	;; [unrolled: 1-line block ×3, first 2 shown]
	s_nop 3
	v_cvt_f16_f32_e32 v21, v62
	v_cvt_f16_f32_e32 v23, v63
	v_mfma_f32_16x16x16f16 v[62:65], v[70:71], v[68:69], v[64:67]
	v_cvt_f16_f32_e32 v3, v60
	v_cvt_f16_f32_e32 v13, v61
	ds_bpermute_b32 v35, v17, v15
	s_cmp_eq_u64 s[72:73], 0
	s_cselect_b64 s[10:11], -1, 0
	v_pack_b32_f16 v60, v3, v13
	v_pack_b32_f16 v13, v21, v23
	s_nop 3
	v_cvt_f16_f32_e32 v3, v62
	v_cvt_f16_f32_e32 v29, v63
	v_cvt_f16_f32_e32 v21, v64
	v_cvt_f16_f32_e32 v23, v65
	s_xor_b64 s[52:53], s[4:5], -1
	v_pack_b32_f16 v62, v3, v29
	s_waitcnt lgkmcnt(0)
	v_add_f32_e32 v3, v15, v35
	ds_bpermute_b32 v29, v19, v3
	v_pack_b32_f16 v15, v21, v23
	s_or_b64 s[10:11], s[52:53], s[10:11]
	s_waitcnt lgkmcnt(0)
	s_barrier
	v_add_f32_e32 v3, v3, v29
	s_and_saveexec_b64 s[52:53], s[10:11]
	s_xor_b64 s[10:11], exec, s[52:53]
	s_andn2_saveexec_b64 s[10:11], s[10:11]
	s_cbranch_execz .LBB19_150
; %bb.149:                              ;   in Loop: Header=BB19_16 Depth=1
	v_lshlrev_b32_e32 v21, 2, v28
	global_load_dword v21, v21, s[72:73]
	v_max_f32_e32 v23, v2, v2
	s_waitcnt vmcnt(0)
	v_max_f32_e32 v29, v21, v21
	v_max_f32_e32 v64, v23, v29
	v_sub_f32_e32 v2, v2, v64
	v_sub_f32_e32 v21, v21, v64
	v_mul_f32_e32 v23, 0x3fb8aa3b, v2
	v_mul_f32_e32 v29, 0x3fb8aa3b, v21
	v_fma_f32 v35, v2, s39, -v23
	v_rndne_f32_e32 v59, v23
	v_fma_f32 v61, v21, s39, -v29
	v_rndne_f32_e32 v63, v29
	v_fmac_f32_e32 v35, 0x32a5705f, v2
	v_sub_f32_e32 v23, v23, v59
	v_fmac_f32_e32 v61, 0x32a5705f, v21
	v_sub_f32_e32 v29, v29, v63
	v_add_f32_e32 v23, v23, v35
	v_cvt_i32_f32_e32 v59, v59
	v_add_f32_e32 v29, v29, v61
	v_exp_f32_e32 v23, v23
	v_cvt_i32_f32_e32 v63, v63
	v_exp_f32_e32 v29, v29
	v_cmp_ngt_f32_e32 vcc, s67, v2
	v_ldexp_f32 v23, v23, v59
	v_cndmask_b32_e32 v23, 0, v23, vcc
	v_ldexp_f32 v29, v29, v63
	v_cmp_ngt_f32_e32 vcc, s67, v21
	v_cndmask_b32_e32 v29, 0, v29, vcc
	v_cmp_nlt_f32_e32 vcc, s7, v2
	v_cndmask_b32_e32 v23, v174, v23, vcc
	v_cmp_le_f32_e32 vcc, s6, v2
	v_cndmask_b32_e32 v2, 0, v23, vcc
	v_cvt_f16_f32_e32 v23, v2
	v_cmp_nlt_f32_e32 vcc, s7, v21
	v_cndmask_b32_e32 v65, v174, v29, vcc
	v_fmac_f32_e32 v65, v3, v2
	v_pk_mul_f16 v4, v23, v4 op_sel_hi:[0,1]
	v_pk_mul_f16 v1, v23, v1 op_sel_hi:[0,1]
	;; [unrolled: 1-line block ×14, first 2 shown]
	v_pk_mov_b32 v[2:3], v[64:65], v[64:65] op_sel:[0,1]
.LBB19_150:                             ;   in Loop: Header=BB19_16 Depth=1
	s_or_b64 exec, exec, s[10:11]
	s_and_saveexec_b64 s[10:11], s[8:9]
	s_cbranch_execz .LBB19_152
; %bb.151:                              ;   in Loop: Header=BB19_16 Depth=1
	v_add_u32_e32 v21, 0, v106
	ds_write2_b32 v21, v2, v3 offset0:56 offset1:57
.LBB19_152:                             ;   in Loop: Header=BB19_16 Depth=1
	s_or_b64 exec, exec, s[10:11]
	s_waitcnt lgkmcnt(0)
	s_barrier
	s_and_saveexec_b64 s[10:11], s[12:13]
	s_xor_b64 s[10:11], exec, s[10:11]
	s_cbranch_execz .LBB19_154
; %bb.153:                              ;   in Loop: Header=BB19_16 Depth=1
	s_barrier
	s_waitcnt lgkmcnt(0)
                                        ; implicit-def: $vgpr17
                                        ; implicit-def: $vgpr19
.LBB19_154:                             ;   in Loop: Header=BB19_16 Depth=1
	s_andn2_saveexec_b64 s[10:11], s[10:11]
	s_cbranch_execz .LBB19_156
; %bb.155:                              ;   in Loop: Header=BB19_16 Depth=1
	v_add_u32_e32 v21, 0, v106
	ds_read_b64 v[2:3], v21 offset:224
	s_waitcnt lgkmcnt(0)
	s_barrier
	ds_bpermute_b32 v23, v17, v2
	v_max_f32_e32 v29, v2, v2
	s_waitcnt lgkmcnt(0)
	v_max_f32_e32 v23, v23, v23
	v_max_f32_e32 v23, v29, v23
	ds_bpermute_b32 v29, v19, v23
	s_waitcnt lgkmcnt(0)
	v_max_f32_e32 v29, v29, v29
	v_max_f32_e32 v23, v23, v29
	v_sub_f32_e32 v2, v2, v23
	v_mul_f32_e32 v23, 0x3fb8aa3b, v2
	v_fma_f32 v29, v2, s39, -v23
	v_rndne_f32_e32 v35, v23
	v_fmac_f32_e32 v29, 0x32a5705f, v2
	v_sub_f32_e32 v23, v23, v35
	v_add_f32_e32 v23, v23, v29
	v_cvt_i32_f32_e32 v35, v35
	v_exp_f32_e32 v23, v23
	v_cmp_ngt_f32_e32 vcc, s67, v2
	v_ldexp_f32 v23, v23, v35
	v_cndmask_b32_e32 v23, 0, v23, vcc
	v_cmp_nlt_f32_e32 vcc, s7, v2
	v_cndmask_b32_e32 v2, v174, v23, vcc
	v_mul_f32_e32 v23, v3, v2
	ds_bpermute_b32 v17, v17, v23
	s_waitcnt lgkmcnt(0)
	v_fmac_f32_e32 v17, v3, v2
	ds_bpermute_b32 v3, v19, v17
	s_waitcnt lgkmcnt(0)
	v_add_f32_e32 v3, v17, v3
	ds_write_b64 v21, v[2:3] offset:224
.LBB19_156:                             ;   in Loop: Header=BB19_16 Depth=1
	s_or_b64 exec, exec, s[10:11]
	ds_write2_b32 v107, v4, v1 offset1:1
	ds_write2_b32 v107, v6, v5 offset0:8 offset1:9
	ds_write2_b32 v107, v8, v7 offset0:16 offset1:17
	;; [unrolled: 1-line block ×6, first 2 shown]
	s_waitcnt lgkmcnt(0)
	s_barrier
	s_and_saveexec_b64 s[72:73], s[4:5]
	s_cbranch_execz .LBB19_14
; %bb.157:                              ;   in Loop: Header=BB19_16 Depth=1
	v_add_u32_e32 v2, s44, v111
	v_or_b32_e32 v1, s85, v54
	v_cmp_gt_i32_e32 vcc, s36, v2
	v_cmp_gt_i32_e64 s[10:11], s33, v1
	s_and_b64 s[52:53], vcc, s[10:11]
	v_mov_b32_e32 v1, 0x47
	s_and_saveexec_b64 s[74:75], s[52:53]
	s_cbranch_execz .LBB19_159
; %bb.158:                              ;   in Loop: Header=BB19_16 Depth=1
	ds_read2st64_b32 v[6:7], v113 offset1:15
	v_add_u32_e32 v1, 0, v112
	ds_read2_b32 v[4:5], v1 offset0:56 offset1:57
	v_mad_u64_u32 v[2:3], s[52:53], v2, s37, v[54:55]
	v_add_u32_e32 v3, 0xe0, v1
	s_waitcnt lgkmcnt(1)
	v_cvt_f32_f16_sdwa v61, v6 dst_sel:DWORD dst_unused:UNUSED_PAD src0_sel:WORD_1
	v_cvt_f32_f16_e32 v60, v6
	ds_read2st64_b32 v[8:9], v3 offset0:15 offset1:30
	ds_read2st64_b32 v[10:11], v113 offset0:30 offset1:45
	ds_read_b32 v12, v1 offset:11744
	v_cvt_f32_f16_sdwa v63, v7 dst_sel:DWORD dst_unused:UNUSED_PAD src0_sel:WORD_1
	v_cvt_f32_f16_e32 v62, v7
	s_waitcnt lgkmcnt(3)
	v_pk_fma_f32 v[60:61], v[4:5], v[60:61], 0 op_sel_hi:[0,1,0]
	s_waitcnt lgkmcnt(2)
	v_mov_b32_e32 v4, v9
	v_mad_u64_u32 v[2:3], s[52:53], v2, 56, v[46:47]
	v_pk_fma_f32 v[6:7], v[8:9], v[62:63], v[60:61] op_sel_hi:[0,1,1]
	s_waitcnt lgkmcnt(1)
	v_cvt_f32_f16_sdwa v61, v10 dst_sel:DWORD dst_unused:UNUSED_PAD src0_sel:WORD_1
	v_cvt_f32_f16_e32 v60, v10
	v_cvt_f32_f16_sdwa v9, v11 dst_sel:DWORD dst_unused:UNUSED_PAD src0_sel:WORD_1
	v_cvt_f32_f16_e32 v8, v11
	v_ashrrev_i32_e32 v3, 31, v2
	v_lshlrev_b64 v[2:3], 3, v[2:3]
	v_pk_fma_f32 v[6:7], v[4:5], v[60:61], v[6:7] op_sel_hi:[0,1,1]
	v_add_co_u32_e32 v2, vcc, s83, v2
	v_mov_b32_e32 v1, s84
	s_waitcnt lgkmcnt(0)
	v_pk_fma_f32 v[6:7], v[12:13], v[8:9], v[6:7] op_sel_hi:[0,1,1]
	v_addc_co_u32_e32 v3, vcc, v1, v3, vcc
	v_div_scale_f32 v1, s[52:53], v5, v5, v7
	v_rcp_f32_e32 v4, v1
	v_fma_f32 v8, -v1, v4, 1.0
	v_fmac_f32_e32 v4, v8, v4
	v_div_scale_f32 v8, vcc, v7, v5, v7
	v_mul_f32_e32 v9, v8, v4
	v_fma_f32 v10, -v1, v9, v8
	v_fmac_f32_e32 v9, v10, v4
	v_fma_f32 v1, -v1, v9, v8
	v_div_fmas_f32 v1, v1, v4, v9
	v_div_fixup_f32 v7, v1, v5, v7
	v_div_scale_f32 v1, s[52:53], v5, v5, v6
	v_rcp_f32_e32 v4, v1
	v_fma_f32 v8, -v1, v4, 1.0
	v_fmac_f32_e32 v4, v8, v4
	v_div_scale_f32 v8, vcc, v6, v5, v6
	v_mul_f32_e32 v9, v8, v4
	v_fma_f32 v10, -v1, v9, v8
	v_fmac_f32_e32 v9, v10, v4
	v_fma_f32 v1, -v1, v9, v8
	v_div_fmas_f32 v1, v1, v4, v9
	v_div_fixup_f32 v6, v1, v5, v6
	v_mov_b32_e32 v1, 0
	global_store_dwordx2 v[2:3], v[6:7], off
.LBB19_159:                             ;   in Loop: Header=BB19_16 Depth=1
	s_or_b64 exec, exec, s[74:75]
	v_cmp_gt_i32_e32 vcc, s51, v1
	s_mov_b64 s[76:77], -1
	s_and_saveexec_b64 s[74:75], vcc
; %bb.160:                              ;   in Loop: Header=BB19_16 Depth=1
	v_cmp_eq_u32_e32 vcc, 0, v1
	s_orn2_b64 s[76:77], vcc, exec
; %bb.161:                              ;   in Loop: Header=BB19_16 Depth=1
	s_or_b64 exec, exec, s[74:75]
	s_and_saveexec_b64 s[74:75], s[76:77]
	s_cbranch_execz .LBB19_194
; %bb.162:                              ;   in Loop: Header=BB19_16 Depth=1
	v_add_u32_e32 v2, s44, v114
	v_cmp_gt_i32_e32 vcc, s36, v2
	s_and_b64 s[52:53], vcc, s[10:11]
	v_mov_b32_e32 v1, 0x47
	s_and_saveexec_b64 s[76:77], s[52:53]
	s_cbranch_execz .LBB19_164
; %bb.163:                              ;   in Loop: Header=BB19_16 Depth=1
	ds_read2st64_b32 v[6:7], v116 offset1:15
	v_add_u32_e32 v1, 0, v115
	ds_read2_b32 v[4:5], v1 offset0:56 offset1:57
	v_mad_u64_u32 v[2:3], s[52:53], v2, s37, v[54:55]
	v_add_u32_e32 v3, 0xe0, v1
	s_waitcnt lgkmcnt(1)
	v_cvt_f32_f16_sdwa v61, v6 dst_sel:DWORD dst_unused:UNUSED_PAD src0_sel:WORD_1
	v_cvt_f32_f16_e32 v60, v6
	ds_read2st64_b32 v[8:9], v3 offset0:15 offset1:30
	ds_read2st64_b32 v[10:11], v116 offset0:30 offset1:45
	ds_read_b32 v12, v1 offset:11744
	v_cvt_f32_f16_sdwa v63, v7 dst_sel:DWORD dst_unused:UNUSED_PAD src0_sel:WORD_1
	v_cvt_f32_f16_e32 v62, v7
	s_waitcnt lgkmcnt(3)
	v_pk_fma_f32 v[60:61], v[4:5], v[60:61], 0 op_sel_hi:[0,1,0]
	s_waitcnt lgkmcnt(2)
	v_mov_b32_e32 v4, v9
	v_mad_u64_u32 v[2:3], s[52:53], v2, 56, v[46:47]
	v_pk_fma_f32 v[6:7], v[8:9], v[62:63], v[60:61] op_sel_hi:[0,1,1]
	s_waitcnt lgkmcnt(1)
	v_cvt_f32_f16_sdwa v61, v10 dst_sel:DWORD dst_unused:UNUSED_PAD src0_sel:WORD_1
	v_cvt_f32_f16_e32 v60, v10
	v_cvt_f32_f16_sdwa v9, v11 dst_sel:DWORD dst_unused:UNUSED_PAD src0_sel:WORD_1
	v_cvt_f32_f16_e32 v8, v11
	v_ashrrev_i32_e32 v3, 31, v2
	v_lshlrev_b64 v[2:3], 3, v[2:3]
	v_pk_fma_f32 v[6:7], v[4:5], v[60:61], v[6:7] op_sel_hi:[0,1,1]
	v_add_co_u32_e32 v2, vcc, s83, v2
	v_mov_b32_e32 v1, s84
	s_waitcnt lgkmcnt(0)
	v_pk_fma_f32 v[6:7], v[12:13], v[8:9], v[6:7] op_sel_hi:[0,1,1]
	v_addc_co_u32_e32 v3, vcc, v1, v3, vcc
	v_div_scale_f32 v1, s[52:53], v5, v5, v7
	v_rcp_f32_e32 v4, v1
	v_fma_f32 v8, -v1, v4, 1.0
	v_fmac_f32_e32 v4, v8, v4
	v_div_scale_f32 v8, vcc, v7, v5, v7
	v_mul_f32_e32 v9, v8, v4
	v_fma_f32 v10, -v1, v9, v8
	v_fmac_f32_e32 v9, v10, v4
	v_fma_f32 v1, -v1, v9, v8
	v_div_fmas_f32 v1, v1, v4, v9
	v_div_fixup_f32 v7, v1, v5, v7
	v_div_scale_f32 v1, s[52:53], v5, v5, v6
	v_rcp_f32_e32 v4, v1
	v_fma_f32 v8, -v1, v4, 1.0
	v_fmac_f32_e32 v4, v8, v4
	v_div_scale_f32 v8, vcc, v6, v5, v6
	v_mul_f32_e32 v9, v8, v4
	v_fma_f32 v10, -v1, v9, v8
	v_fmac_f32_e32 v9, v10, v4
	v_fma_f32 v1, -v1, v9, v8
	v_div_fmas_f32 v1, v1, v4, v9
	v_div_fixup_f32 v6, v1, v5, v6
	v_mov_b32_e32 v1, 0
	global_store_dwordx2 v[2:3], v[6:7], off
.LBB19_164:                             ;   in Loop: Header=BB19_16 Depth=1
	s_or_b64 exec, exec, s[76:77]
	v_cmp_gt_i32_e32 vcc, s51, v1
	s_mov_b64 s[76:77], -1
	s_and_saveexec_b64 s[78:79], vcc
; %bb.165:                              ;   in Loop: Header=BB19_16 Depth=1
	v_cmp_eq_u32_e32 vcc, 0, v1
	s_orn2_b64 s[76:77], vcc, exec
; %bb.166:                              ;   in Loop: Header=BB19_16 Depth=1
	s_or_b64 exec, exec, s[78:79]
	s_and_b64 exec, exec, s[76:77]
	s_cbranch_execz .LBB19_194
; %bb.167:                              ;   in Loop: Header=BB19_16 Depth=1
	v_add_u32_e32 v2, s44, v117
	v_cmp_gt_i32_e32 vcc, s36, v2
	s_and_b64 s[52:53], vcc, s[10:11]
	v_mov_b32_e32 v1, 0x47
	s_and_saveexec_b64 s[76:77], s[52:53]
	s_cbranch_execz .LBB19_169
; %bb.168:                              ;   in Loop: Header=BB19_16 Depth=1
	ds_read2st64_b32 v[6:7], v119 offset1:15
	v_add_u32_e32 v1, 0, v118
	ds_read2_b32 v[4:5], v1 offset0:56 offset1:57
	v_mad_u64_u32 v[2:3], s[52:53], v2, s37, v[54:55]
	v_add_u32_e32 v3, 0xe0, v1
	s_waitcnt lgkmcnt(1)
	v_cvt_f32_f16_sdwa v61, v6 dst_sel:DWORD dst_unused:UNUSED_PAD src0_sel:WORD_1
	v_cvt_f32_f16_e32 v60, v6
	ds_read2st64_b32 v[8:9], v3 offset0:15 offset1:30
	ds_read2st64_b32 v[10:11], v119 offset0:30 offset1:45
	ds_read_b32 v12, v1 offset:11744
	v_cvt_f32_f16_sdwa v63, v7 dst_sel:DWORD dst_unused:UNUSED_PAD src0_sel:WORD_1
	v_cvt_f32_f16_e32 v62, v7
	s_waitcnt lgkmcnt(3)
	v_pk_fma_f32 v[60:61], v[4:5], v[60:61], 0 op_sel_hi:[0,1,0]
	s_waitcnt lgkmcnt(2)
	v_mov_b32_e32 v4, v9
	v_mad_u64_u32 v[2:3], s[52:53], v2, 56, v[46:47]
	v_pk_fma_f32 v[6:7], v[8:9], v[62:63], v[60:61] op_sel_hi:[0,1,1]
	s_waitcnt lgkmcnt(1)
	v_cvt_f32_f16_sdwa v61, v10 dst_sel:DWORD dst_unused:UNUSED_PAD src0_sel:WORD_1
	v_cvt_f32_f16_e32 v60, v10
	v_cvt_f32_f16_sdwa v9, v11 dst_sel:DWORD dst_unused:UNUSED_PAD src0_sel:WORD_1
	v_cvt_f32_f16_e32 v8, v11
	v_ashrrev_i32_e32 v3, 31, v2
	v_lshlrev_b64 v[2:3], 3, v[2:3]
	v_pk_fma_f32 v[6:7], v[4:5], v[60:61], v[6:7] op_sel_hi:[0,1,1]
	v_add_co_u32_e32 v2, vcc, s83, v2
	v_mov_b32_e32 v1, s84
	s_waitcnt lgkmcnt(0)
	v_pk_fma_f32 v[6:7], v[12:13], v[8:9], v[6:7] op_sel_hi:[0,1,1]
	v_addc_co_u32_e32 v3, vcc, v1, v3, vcc
	v_div_scale_f32 v1, s[52:53], v5, v5, v7
	v_rcp_f32_e32 v4, v1
	v_fma_f32 v8, -v1, v4, 1.0
	v_fmac_f32_e32 v4, v8, v4
	v_div_scale_f32 v8, vcc, v7, v5, v7
	v_mul_f32_e32 v9, v8, v4
	v_fma_f32 v10, -v1, v9, v8
	v_fmac_f32_e32 v9, v10, v4
	v_fma_f32 v1, -v1, v9, v8
	v_div_fmas_f32 v1, v1, v4, v9
	v_div_fixup_f32 v7, v1, v5, v7
	v_div_scale_f32 v1, s[52:53], v5, v5, v6
	v_rcp_f32_e32 v4, v1
	v_fma_f32 v8, -v1, v4, 1.0
	v_fmac_f32_e32 v4, v8, v4
	v_div_scale_f32 v8, vcc, v6, v5, v6
	v_mul_f32_e32 v9, v8, v4
	v_fma_f32 v10, -v1, v9, v8
	v_fmac_f32_e32 v9, v10, v4
	v_fma_f32 v1, -v1, v9, v8
	v_div_fmas_f32 v1, v1, v4, v9
	v_div_fixup_f32 v6, v1, v5, v6
	v_mov_b32_e32 v1, 0
	global_store_dwordx2 v[2:3], v[6:7], off
.LBB19_169:                             ;   in Loop: Header=BB19_16 Depth=1
	s_or_b64 exec, exec, s[76:77]
	v_cmp_gt_i32_e32 vcc, s51, v1
	s_mov_b64 s[76:77], -1
	s_and_saveexec_b64 s[78:79], vcc
; %bb.170:                              ;   in Loop: Header=BB19_16 Depth=1
	v_cmp_eq_u32_e32 vcc, 0, v1
	s_orn2_b64 s[76:77], vcc, exec
; %bb.171:                              ;   in Loop: Header=BB19_16 Depth=1
	s_or_b64 exec, exec, s[78:79]
	s_and_b64 exec, exec, s[76:77]
	s_cbranch_execz .LBB19_194
; %bb.172:                              ;   in Loop: Header=BB19_16 Depth=1
	v_add_u32_e32 v2, s44, v120
	v_cmp_gt_i32_e32 vcc, s36, v2
	s_and_b64 s[52:53], vcc, s[10:11]
	v_mov_b32_e32 v1, 0x47
	s_and_saveexec_b64 s[76:77], s[52:53]
	s_cbranch_execz .LBB19_174
; %bb.173:                              ;   in Loop: Header=BB19_16 Depth=1
	ds_read2st64_b32 v[6:7], v122 offset1:15
	v_add_u32_e32 v1, 0, v121
	ds_read2_b32 v[4:5], v1 offset0:56 offset1:57
	v_mad_u64_u32 v[2:3], s[52:53], v2, s37, v[54:55]
	v_add_u32_e32 v3, 0xe0, v1
	s_waitcnt lgkmcnt(1)
	v_cvt_f32_f16_sdwa v61, v6 dst_sel:DWORD dst_unused:UNUSED_PAD src0_sel:WORD_1
	v_cvt_f32_f16_e32 v60, v6
	ds_read2st64_b32 v[8:9], v3 offset0:15 offset1:30
	ds_read2st64_b32 v[10:11], v122 offset0:30 offset1:45
	ds_read_b32 v12, v1 offset:11744
	v_cvt_f32_f16_sdwa v63, v7 dst_sel:DWORD dst_unused:UNUSED_PAD src0_sel:WORD_1
	v_cvt_f32_f16_e32 v62, v7
	s_waitcnt lgkmcnt(3)
	v_pk_fma_f32 v[60:61], v[4:5], v[60:61], 0 op_sel_hi:[0,1,0]
	s_waitcnt lgkmcnt(2)
	v_mov_b32_e32 v4, v9
	v_mad_u64_u32 v[2:3], s[52:53], v2, 56, v[46:47]
	v_pk_fma_f32 v[6:7], v[8:9], v[62:63], v[60:61] op_sel_hi:[0,1,1]
	s_waitcnt lgkmcnt(1)
	v_cvt_f32_f16_sdwa v61, v10 dst_sel:DWORD dst_unused:UNUSED_PAD src0_sel:WORD_1
	v_cvt_f32_f16_e32 v60, v10
	v_cvt_f32_f16_sdwa v9, v11 dst_sel:DWORD dst_unused:UNUSED_PAD src0_sel:WORD_1
	v_cvt_f32_f16_e32 v8, v11
	v_ashrrev_i32_e32 v3, 31, v2
	v_lshlrev_b64 v[2:3], 3, v[2:3]
	v_pk_fma_f32 v[6:7], v[4:5], v[60:61], v[6:7] op_sel_hi:[0,1,1]
	v_add_co_u32_e32 v2, vcc, s83, v2
	v_mov_b32_e32 v1, s84
	s_waitcnt lgkmcnt(0)
	v_pk_fma_f32 v[6:7], v[12:13], v[8:9], v[6:7] op_sel_hi:[0,1,1]
	v_addc_co_u32_e32 v3, vcc, v1, v3, vcc
	v_div_scale_f32 v1, s[52:53], v5, v5, v7
	v_rcp_f32_e32 v4, v1
	v_fma_f32 v8, -v1, v4, 1.0
	v_fmac_f32_e32 v4, v8, v4
	v_div_scale_f32 v8, vcc, v7, v5, v7
	v_mul_f32_e32 v9, v8, v4
	v_fma_f32 v10, -v1, v9, v8
	v_fmac_f32_e32 v9, v10, v4
	v_fma_f32 v1, -v1, v9, v8
	v_div_fmas_f32 v1, v1, v4, v9
	v_div_fixup_f32 v7, v1, v5, v7
	v_div_scale_f32 v1, s[52:53], v5, v5, v6
	v_rcp_f32_e32 v4, v1
	v_fma_f32 v8, -v1, v4, 1.0
	v_fmac_f32_e32 v4, v8, v4
	v_div_scale_f32 v8, vcc, v6, v5, v6
	v_mul_f32_e32 v9, v8, v4
	v_fma_f32 v10, -v1, v9, v8
	v_fmac_f32_e32 v9, v10, v4
	v_fma_f32 v1, -v1, v9, v8
	v_div_fmas_f32 v1, v1, v4, v9
	v_div_fixup_f32 v6, v1, v5, v6
	v_mov_b32_e32 v1, 0
	global_store_dwordx2 v[2:3], v[6:7], off
.LBB19_174:                             ;   in Loop: Header=BB19_16 Depth=1
	s_or_b64 exec, exec, s[76:77]
	v_cmp_gt_i32_e32 vcc, s51, v1
	s_mov_b64 s[76:77], -1
	s_and_saveexec_b64 s[78:79], vcc
; %bb.175:                              ;   in Loop: Header=BB19_16 Depth=1
	v_cmp_eq_u32_e32 vcc, 0, v1
	s_orn2_b64 s[76:77], vcc, exec
; %bb.176:                              ;   in Loop: Header=BB19_16 Depth=1
	s_or_b64 exec, exec, s[78:79]
	s_and_b64 exec, exec, s[76:77]
	s_cbranch_execz .LBB19_194
; %bb.177:                              ;   in Loop: Header=BB19_16 Depth=1
	v_add_u32_e32 v2, s44, v123
	v_cmp_gt_i32_e32 vcc, s36, v2
	s_and_b64 s[52:53], vcc, s[10:11]
	v_mov_b32_e32 v1, 0x47
	s_and_saveexec_b64 s[76:77], s[52:53]
	s_cbranch_execz .LBB19_179
; %bb.178:                              ;   in Loop: Header=BB19_16 Depth=1
	ds_read2st64_b32 v[6:7], v125 offset1:15
	v_add_u32_e32 v1, 0, v124
	ds_read2_b32 v[4:5], v1 offset0:56 offset1:57
	v_mad_u64_u32 v[2:3], s[52:53], v2, s37, v[54:55]
	v_add_u32_e32 v3, 0xe0, v1
	s_waitcnt lgkmcnt(1)
	v_cvt_f32_f16_sdwa v61, v6 dst_sel:DWORD dst_unused:UNUSED_PAD src0_sel:WORD_1
	v_cvt_f32_f16_e32 v60, v6
	ds_read2st64_b32 v[8:9], v3 offset0:15 offset1:30
	ds_read2st64_b32 v[10:11], v125 offset0:30 offset1:45
	ds_read_b32 v12, v1 offset:11744
	v_cvt_f32_f16_sdwa v63, v7 dst_sel:DWORD dst_unused:UNUSED_PAD src0_sel:WORD_1
	v_cvt_f32_f16_e32 v62, v7
	s_waitcnt lgkmcnt(3)
	v_pk_fma_f32 v[60:61], v[4:5], v[60:61], 0 op_sel_hi:[0,1,0]
	s_waitcnt lgkmcnt(2)
	v_mov_b32_e32 v4, v9
	v_mad_u64_u32 v[2:3], s[52:53], v2, 56, v[46:47]
	v_pk_fma_f32 v[6:7], v[8:9], v[62:63], v[60:61] op_sel_hi:[0,1,1]
	s_waitcnt lgkmcnt(1)
	v_cvt_f32_f16_sdwa v61, v10 dst_sel:DWORD dst_unused:UNUSED_PAD src0_sel:WORD_1
	v_cvt_f32_f16_e32 v60, v10
	v_cvt_f32_f16_sdwa v9, v11 dst_sel:DWORD dst_unused:UNUSED_PAD src0_sel:WORD_1
	v_cvt_f32_f16_e32 v8, v11
	v_ashrrev_i32_e32 v3, 31, v2
	v_lshlrev_b64 v[2:3], 3, v[2:3]
	v_pk_fma_f32 v[6:7], v[4:5], v[60:61], v[6:7] op_sel_hi:[0,1,1]
	v_add_co_u32_e32 v2, vcc, s83, v2
	v_mov_b32_e32 v1, s84
	s_waitcnt lgkmcnt(0)
	v_pk_fma_f32 v[6:7], v[12:13], v[8:9], v[6:7] op_sel_hi:[0,1,1]
	v_addc_co_u32_e32 v3, vcc, v1, v3, vcc
	v_div_scale_f32 v1, s[52:53], v5, v5, v7
	v_rcp_f32_e32 v4, v1
	v_fma_f32 v8, -v1, v4, 1.0
	v_fmac_f32_e32 v4, v8, v4
	v_div_scale_f32 v8, vcc, v7, v5, v7
	v_mul_f32_e32 v9, v8, v4
	v_fma_f32 v10, -v1, v9, v8
	v_fmac_f32_e32 v9, v10, v4
	v_fma_f32 v1, -v1, v9, v8
	v_div_fmas_f32 v1, v1, v4, v9
	v_div_fixup_f32 v7, v1, v5, v7
	v_div_scale_f32 v1, s[52:53], v5, v5, v6
	v_rcp_f32_e32 v4, v1
	v_fma_f32 v8, -v1, v4, 1.0
	v_fmac_f32_e32 v4, v8, v4
	v_div_scale_f32 v8, vcc, v6, v5, v6
	v_mul_f32_e32 v9, v8, v4
	v_fma_f32 v10, -v1, v9, v8
	v_fmac_f32_e32 v9, v10, v4
	v_fma_f32 v1, -v1, v9, v8
	v_div_fmas_f32 v1, v1, v4, v9
	v_div_fixup_f32 v6, v1, v5, v6
	v_mov_b32_e32 v1, 0
	global_store_dwordx2 v[2:3], v[6:7], off
.LBB19_179:                             ;   in Loop: Header=BB19_16 Depth=1
	s_or_b64 exec, exec, s[76:77]
	v_cmp_gt_i32_e32 vcc, s51, v1
	s_mov_b64 s[76:77], -1
	s_and_saveexec_b64 s[78:79], vcc
; %bb.180:                              ;   in Loop: Header=BB19_16 Depth=1
	v_cmp_eq_u32_e32 vcc, 0, v1
	s_orn2_b64 s[76:77], vcc, exec
; %bb.181:                              ;   in Loop: Header=BB19_16 Depth=1
	s_or_b64 exec, exec, s[78:79]
	s_and_b64 exec, exec, s[76:77]
	s_cbranch_execz .LBB19_194
; %bb.182:                              ;   in Loop: Header=BB19_16 Depth=1
	v_add_u32_e32 v2, s44, v126
	v_cmp_gt_i32_e32 vcc, s36, v2
	s_and_b64 s[52:53], vcc, s[10:11]
	v_mov_b32_e32 v1, 0x47
	s_and_saveexec_b64 s[76:77], s[52:53]
	s_cbranch_execz .LBB19_184
; %bb.183:                              ;   in Loop: Header=BB19_16 Depth=1
	ds_read2st64_b32 v[6:7], v128 offset1:15
	v_add_u32_e32 v1, 0, v127
	ds_read2_b32 v[4:5], v1 offset0:56 offset1:57
	v_mad_u64_u32 v[2:3], s[52:53], v2, s37, v[54:55]
	v_add_u32_e32 v3, 0xe0, v1
	s_waitcnt lgkmcnt(1)
	v_cvt_f32_f16_sdwa v61, v6 dst_sel:DWORD dst_unused:UNUSED_PAD src0_sel:WORD_1
	v_cvt_f32_f16_e32 v60, v6
	ds_read2st64_b32 v[8:9], v3 offset0:15 offset1:30
	ds_read2st64_b32 v[10:11], v128 offset0:30 offset1:45
	ds_read_b32 v12, v1 offset:11744
	v_cvt_f32_f16_sdwa v63, v7 dst_sel:DWORD dst_unused:UNUSED_PAD src0_sel:WORD_1
	v_cvt_f32_f16_e32 v62, v7
	s_waitcnt lgkmcnt(3)
	v_pk_fma_f32 v[60:61], v[4:5], v[60:61], 0 op_sel_hi:[0,1,0]
	s_waitcnt lgkmcnt(2)
	v_mov_b32_e32 v4, v9
	v_mad_u64_u32 v[2:3], s[52:53], v2, 56, v[46:47]
	v_pk_fma_f32 v[6:7], v[8:9], v[62:63], v[60:61] op_sel_hi:[0,1,1]
	s_waitcnt lgkmcnt(1)
	v_cvt_f32_f16_sdwa v61, v10 dst_sel:DWORD dst_unused:UNUSED_PAD src0_sel:WORD_1
	v_cvt_f32_f16_e32 v60, v10
	v_cvt_f32_f16_sdwa v9, v11 dst_sel:DWORD dst_unused:UNUSED_PAD src0_sel:WORD_1
	v_cvt_f32_f16_e32 v8, v11
	v_ashrrev_i32_e32 v3, 31, v2
	v_lshlrev_b64 v[2:3], 3, v[2:3]
	v_pk_fma_f32 v[6:7], v[4:5], v[60:61], v[6:7] op_sel_hi:[0,1,1]
	v_add_co_u32_e32 v2, vcc, s83, v2
	v_mov_b32_e32 v1, s84
	s_waitcnt lgkmcnt(0)
	v_pk_fma_f32 v[6:7], v[12:13], v[8:9], v[6:7] op_sel_hi:[0,1,1]
	v_addc_co_u32_e32 v3, vcc, v1, v3, vcc
	v_div_scale_f32 v1, s[52:53], v5, v5, v7
	v_rcp_f32_e32 v4, v1
	v_fma_f32 v8, -v1, v4, 1.0
	v_fmac_f32_e32 v4, v8, v4
	v_div_scale_f32 v8, vcc, v7, v5, v7
	v_mul_f32_e32 v9, v8, v4
	v_fma_f32 v10, -v1, v9, v8
	v_fmac_f32_e32 v9, v10, v4
	v_fma_f32 v1, -v1, v9, v8
	v_div_fmas_f32 v1, v1, v4, v9
	v_div_fixup_f32 v7, v1, v5, v7
	v_div_scale_f32 v1, s[52:53], v5, v5, v6
	v_rcp_f32_e32 v4, v1
	v_fma_f32 v8, -v1, v4, 1.0
	v_fmac_f32_e32 v4, v8, v4
	v_div_scale_f32 v8, vcc, v6, v5, v6
	v_mul_f32_e32 v9, v8, v4
	v_fma_f32 v10, -v1, v9, v8
	v_fmac_f32_e32 v9, v10, v4
	v_fma_f32 v1, -v1, v9, v8
	v_div_fmas_f32 v1, v1, v4, v9
	v_div_fixup_f32 v6, v1, v5, v6
	v_mov_b32_e32 v1, 0
	global_store_dwordx2 v[2:3], v[6:7], off
.LBB19_184:                             ;   in Loop: Header=BB19_16 Depth=1
	s_or_b64 exec, exec, s[76:77]
	v_cmp_gt_i32_e32 vcc, s51, v1
	s_mov_b64 s[76:77], -1
	s_and_saveexec_b64 s[78:79], vcc
; %bb.185:                              ;   in Loop: Header=BB19_16 Depth=1
	v_cmp_eq_u32_e32 vcc, 0, v1
	s_orn2_b64 s[76:77], vcc, exec
; %bb.186:                              ;   in Loop: Header=BB19_16 Depth=1
	s_or_b64 exec, exec, s[78:79]
	s_and_b64 exec, exec, s[76:77]
	s_cbranch_execz .LBB19_194
; %bb.187:                              ;   in Loop: Header=BB19_16 Depth=1
	v_add_u32_e32 v2, s44, v129
	v_cmp_gt_i32_e32 vcc, s36, v2
	s_and_b64 s[52:53], vcc, s[10:11]
	v_mov_b32_e32 v1, 0x47
	s_and_saveexec_b64 s[76:77], s[52:53]
	s_cbranch_execz .LBB19_189
; %bb.188:                              ;   in Loop: Header=BB19_16 Depth=1
	ds_read2st64_b32 v[6:7], v131 offset1:15
	v_add_u32_e32 v1, 0, v130
	ds_read2_b32 v[4:5], v1 offset0:56 offset1:57
	v_mad_u64_u32 v[2:3], s[52:53], v2, s37, v[54:55]
	v_add_u32_e32 v3, 0xe0, v1
	s_waitcnt lgkmcnt(1)
	v_cvt_f32_f16_sdwa v61, v6 dst_sel:DWORD dst_unused:UNUSED_PAD src0_sel:WORD_1
	v_cvt_f32_f16_e32 v60, v6
	ds_read2st64_b32 v[8:9], v3 offset0:15 offset1:30
	ds_read2st64_b32 v[10:11], v131 offset0:30 offset1:45
	ds_read_b32 v12, v1 offset:11744
	v_cvt_f32_f16_sdwa v63, v7 dst_sel:DWORD dst_unused:UNUSED_PAD src0_sel:WORD_1
	v_cvt_f32_f16_e32 v62, v7
	s_waitcnt lgkmcnt(3)
	v_pk_fma_f32 v[60:61], v[4:5], v[60:61], 0 op_sel_hi:[0,1,0]
	s_waitcnt lgkmcnt(2)
	v_mov_b32_e32 v4, v9
	v_mad_u64_u32 v[2:3], s[52:53], v2, 56, v[46:47]
	v_pk_fma_f32 v[6:7], v[8:9], v[62:63], v[60:61] op_sel_hi:[0,1,1]
	s_waitcnt lgkmcnt(1)
	v_cvt_f32_f16_sdwa v61, v10 dst_sel:DWORD dst_unused:UNUSED_PAD src0_sel:WORD_1
	v_cvt_f32_f16_e32 v60, v10
	v_cvt_f32_f16_sdwa v9, v11 dst_sel:DWORD dst_unused:UNUSED_PAD src0_sel:WORD_1
	v_cvt_f32_f16_e32 v8, v11
	v_ashrrev_i32_e32 v3, 31, v2
	v_lshlrev_b64 v[2:3], 3, v[2:3]
	v_pk_fma_f32 v[6:7], v[4:5], v[60:61], v[6:7] op_sel_hi:[0,1,1]
	v_add_co_u32_e32 v2, vcc, s83, v2
	v_mov_b32_e32 v1, s84
	s_waitcnt lgkmcnt(0)
	v_pk_fma_f32 v[6:7], v[12:13], v[8:9], v[6:7] op_sel_hi:[0,1,1]
	v_addc_co_u32_e32 v3, vcc, v1, v3, vcc
	v_div_scale_f32 v1, s[52:53], v5, v5, v7
	v_rcp_f32_e32 v4, v1
	v_fma_f32 v8, -v1, v4, 1.0
	v_fmac_f32_e32 v4, v8, v4
	v_div_scale_f32 v8, vcc, v7, v5, v7
	v_mul_f32_e32 v9, v8, v4
	v_fma_f32 v10, -v1, v9, v8
	v_fmac_f32_e32 v9, v10, v4
	v_fma_f32 v1, -v1, v9, v8
	v_div_fmas_f32 v1, v1, v4, v9
	v_div_fixup_f32 v7, v1, v5, v7
	v_div_scale_f32 v1, s[52:53], v5, v5, v6
	v_rcp_f32_e32 v4, v1
	v_fma_f32 v8, -v1, v4, 1.0
	v_fmac_f32_e32 v4, v8, v4
	v_div_scale_f32 v8, vcc, v6, v5, v6
	v_mul_f32_e32 v9, v8, v4
	v_fma_f32 v10, -v1, v9, v8
	v_fmac_f32_e32 v9, v10, v4
	v_fma_f32 v1, -v1, v9, v8
	v_div_fmas_f32 v1, v1, v4, v9
	v_div_fixup_f32 v6, v1, v5, v6
	v_mov_b32_e32 v1, 0
	global_store_dwordx2 v[2:3], v[6:7], off
.LBB19_189:                             ;   in Loop: Header=BB19_16 Depth=1
	s_or_b64 exec, exec, s[76:77]
	v_cmp_gt_i32_e32 vcc, s51, v1
	s_mov_b64 s[76:77], -1
	s_and_saveexec_b64 s[78:79], vcc
; %bb.190:                              ;   in Loop: Header=BB19_16 Depth=1
	v_cmp_eq_u32_e32 vcc, 0, v1
	s_orn2_b64 s[76:77], vcc, exec
; %bb.191:                              ;   in Loop: Header=BB19_16 Depth=1
	s_or_b64 exec, exec, s[78:79]
	s_and_b64 exec, exec, s[76:77]
	s_cbranch_execz .LBB19_194
; %bb.192:                              ;   in Loop: Header=BB19_16 Depth=1
	v_add_u32_e32 v1, s44, v132
	v_cmp_gt_i32_e32 vcc, s36, v1
	s_and_b64 s[10:11], vcc, s[10:11]
	s_and_b64 exec, exec, s[10:11]
	s_cbranch_execz .LBB19_194
; %bb.193:                              ;   in Loop: Header=BB19_16 Depth=1
	ds_read2st64_b32 v[4:5], v134 offset1:15
	v_add_u32_e32 v12, 0, v133
	v_mad_u64_u32 v[2:3], s[10:11], v1, s37, v[54:55]
	v_add_u32_e32 v1, 0xe0, v12
	ds_read2st64_b32 v[6:7], v1 offset0:15 offset1:30
	ds_read2st64_b32 v[8:9], v134 offset0:30 offset1:45
	ds_read2_b32 v[10:11], v12 offset0:56 offset1:57
	ds_read_b32 v12, v12 offset:11744
	s_waitcnt lgkmcnt(4)
	v_cvt_f32_f16_sdwa v61, v4 dst_sel:DWORD dst_unused:UNUSED_PAD src0_sel:WORD_1
	v_cvt_f32_f16_e32 v60, v4
	v_cvt_f32_f16_sdwa v63, v5 dst_sel:DWORD dst_unused:UNUSED_PAD src0_sel:WORD_1
	v_cvt_f32_f16_e32 v62, v5
	s_waitcnt lgkmcnt(2)
	v_cvt_f32_f16_sdwa v5, v8 dst_sel:DWORD dst_unused:UNUSED_PAD src0_sel:WORD_1
	v_cvt_f32_f16_e32 v4, v8
	v_cvt_f32_f16_sdwa v65, v9 dst_sel:DWORD dst_unused:UNUSED_PAD src0_sel:WORD_1
	v_cvt_f32_f16_e32 v64, v9
	s_waitcnt lgkmcnt(1)
	v_pk_fma_f32 v[60:61], v[10:11], v[60:61], 0 op_sel_hi:[0,1,0]
	v_pk_fma_f32 v[8:9], v[6:7], v[62:63], v[60:61] op_sel_hi:[0,1,1]
	v_mov_b32_e32 v6, v7
	v_pk_fma_f32 v[4:5], v[6:7], v[4:5], v[8:9] op_sel_hi:[0,1,1]
	s_waitcnt lgkmcnt(0)
	v_pk_fma_f32 v[4:5], v[12:13], v[64:65], v[4:5] op_sel_hi:[0,1,1]
	v_div_scale_f32 v6, s[10:11], v11, v11, v5
	v_mad_u64_u32 v[2:3], s[10:11], v2, 56, v[46:47]
	v_rcp_f32_e32 v7, v6
	v_ashrrev_i32_e32 v3, 31, v2
	v_lshlrev_b64 v[2:3], 3, v[2:3]
	v_mov_b32_e32 v1, s84
	v_add_co_u32_e32 v2, vcc, s83, v2
	v_addc_co_u32_e32 v3, vcc, v1, v3, vcc
	v_fma_f32 v1, -v6, v7, 1.0
	v_fmac_f32_e32 v7, v1, v7
	v_div_scale_f32 v1, vcc, v5, v11, v5
	v_mul_f32_e32 v8, v1, v7
	v_fma_f32 v9, -v6, v8, v1
	v_fmac_f32_e32 v8, v9, v7
	v_fma_f32 v1, -v6, v8, v1
	v_div_scale_f32 v6, s[10:11], v11, v11, v4
	v_rcp_f32_e32 v9, v6
	v_div_fmas_f32 v1, v1, v7, v8
	v_div_fixup_f32 v5, v1, v11, v5
	v_fma_f32 v1, -v6, v9, 1.0
	v_fmac_f32_e32 v9, v1, v9
	v_div_scale_f32 v1, vcc, v4, v11, v4
	v_mul_f32_e32 v7, v1, v9
	v_fma_f32 v8, -v6, v7, v1
	v_fmac_f32_e32 v7, v8, v9
	v_fma_f32 v1, -v6, v7, v1
	v_div_fmas_f32 v1, v1, v9, v7
	v_div_fixup_f32 v4, v1, v11, v4
	global_store_dwordx2 v[2:3], v[4:5], off
.LBB19_194:                             ;   in Loop: Header=BB19_16 Depth=1
	s_or_b64 exec, exec, s[74:75]
	v_add_u32_e32 v2, s44, v135
	v_or_b32_e32 v1, s85, v56
	v_cmp_gt_i32_e32 vcc, s36, v2
	v_cmp_gt_i32_e64 s[10:11], s33, v1
	s_and_b64 s[52:53], vcc, s[10:11]
	v_mov_b32_e32 v1, 0x47
	s_and_saveexec_b64 s[74:75], s[52:53]
	s_cbranch_execz .LBB19_196
; %bb.195:                              ;   in Loop: Header=BB19_16 Depth=1
	v_mad_u64_u32 v[2:3], s[52:53], v2, s37, v[56:57]
	v_add_u32_e32 v8, 0x80, v137
	v_mul_lo_u32 v11, v2, 56
	ds_read2st64_b32 v[2:3], v8 offset1:15
	v_add_u32_e32 v1, 0, v136
	ds_read2_b32 v[4:5], v1 offset0:56 offset1:57
	v_add_u32_e32 v6, 0xe0, v1
	ds_read2st64_b32 v[6:7], v6 offset0:15 offset1:30
	ds_read2st64_b32 v[8:9], v8 offset0:30 offset1:45
	ds_read_b32 v10, v1 offset:11744
	s_waitcnt lgkmcnt(4)
	v_cvt_f32_f16_sdwa v61, v2 dst_sel:DWORD dst_unused:UNUSED_PAD src0_sel:WORD_1
	v_cvt_f32_f16_e32 v60, v2
	v_cvt_f32_f16_sdwa v63, v3 dst_sel:DWORD dst_unused:UNUSED_PAD src0_sel:WORD_1
	v_cvt_f32_f16_e32 v62, v3
	v_ashrrev_i32_e32 v1, 31, v11
	s_waitcnt lgkmcnt(3)
	v_pk_fma_f32 v[60:61], v[4:5], v[60:61], 0 op_sel_hi:[0,1,0]
	s_waitcnt lgkmcnt(2)
	v_mov_b32_e32 v4, v7
	v_pk_fma_f32 v[2:3], v[6:7], v[62:63], v[60:61] op_sel_hi:[0,1,1]
	s_waitcnt lgkmcnt(1)
	v_cvt_f32_f16_sdwa v61, v8 dst_sel:DWORD dst_unused:UNUSED_PAD src0_sel:WORD_1
	v_cvt_f32_f16_e32 v60, v8
	v_cvt_f32_f16_sdwa v7, v9 dst_sel:DWORD dst_unused:UNUSED_PAD src0_sel:WORD_1
	v_cvt_f32_f16_e32 v6, v9
	v_add_co_u32_e32 v12, vcc, v11, v14
	v_addc_co_u32_e32 v13, vcc, 0, v1, vcc
	v_lshlrev_b64 v[12:13], 3, v[12:13]
	v_pk_fma_f32 v[2:3], v[4:5], v[60:61], v[2:3] op_sel_hi:[0,1,1]
	v_add_co_u32_e32 v12, vcc, s83, v12
	v_mov_b32_e32 v1, s84
	s_waitcnt lgkmcnt(0)
	v_pk_fma_f32 v[2:3], v[10:11], v[6:7], v[2:3] op_sel_hi:[0,1,1]
	v_addc_co_u32_e32 v13, vcc, v1, v13, vcc
	v_div_scale_f32 v1, s[52:53], v5, v5, v3
	v_rcp_f32_e32 v4, v1
	v_fma_f32 v6, -v1, v4, 1.0
	v_fmac_f32_e32 v4, v6, v4
	v_div_scale_f32 v6, vcc, v3, v5, v3
	v_mul_f32_e32 v7, v6, v4
	v_fma_f32 v8, -v1, v7, v6
	v_fmac_f32_e32 v7, v8, v4
	v_fma_f32 v1, -v1, v7, v6
	v_div_fmas_f32 v1, v1, v4, v7
	v_div_fixup_f32 v3, v1, v5, v3
	v_div_scale_f32 v1, s[52:53], v5, v5, v2
	v_rcp_f32_e32 v4, v1
	v_fma_f32 v6, -v1, v4, 1.0
	v_fmac_f32_e32 v4, v6, v4
	v_div_scale_f32 v6, vcc, v2, v5, v2
	v_mul_f32_e32 v7, v6, v4
	v_fma_f32 v8, -v1, v7, v6
	v_fmac_f32_e32 v7, v8, v4
	v_fma_f32 v1, -v1, v7, v6
	v_div_fmas_f32 v1, v1, v4, v7
	v_div_fixup_f32 v2, v1, v5, v2
	v_mov_b32_e32 v1, 0
	global_store_dwordx2 v[12:13], v[2:3], off offset:256
.LBB19_196:                             ;   in Loop: Header=BB19_16 Depth=1
	s_or_b64 exec, exec, s[74:75]
	v_cmp_gt_i32_e32 vcc, s51, v1
	s_mov_b64 s[76:77], -1
	s_and_saveexec_b64 s[74:75], vcc
; %bb.197:                              ;   in Loop: Header=BB19_16 Depth=1
	v_cmp_eq_u32_e32 vcc, 0, v1
	s_orn2_b64 s[76:77], vcc, exec
; %bb.198:                              ;   in Loop: Header=BB19_16 Depth=1
	s_or_b64 exec, exec, s[74:75]
	s_and_saveexec_b64 s[74:75], s[76:77]
	s_cbranch_execz .LBB19_211
; %bb.199:                              ;   in Loop: Header=BB19_16 Depth=1
	v_add_u32_e32 v2, s44, v138
	v_cmp_gt_i32_e32 vcc, s36, v2
	s_and_b64 s[52:53], vcc, s[10:11]
	v_mov_b32_e32 v1, 0x47
	s_and_saveexec_b64 s[76:77], s[52:53]
	s_cbranch_execz .LBB19_201
; %bb.200:                              ;   in Loop: Header=BB19_16 Depth=1
	v_mad_u64_u32 v[2:3], s[52:53], v2, s37, v[56:57]
	v_add_u32_e32 v8, 0x80, v140
	v_mul_lo_u32 v11, v2, 56
	ds_read2st64_b32 v[2:3], v8 offset1:15
	v_add_u32_e32 v1, 0, v139
	ds_read2_b32 v[4:5], v1 offset0:56 offset1:57
	v_add_u32_e32 v6, 0xe0, v1
	ds_read2st64_b32 v[6:7], v6 offset0:15 offset1:30
	ds_read2st64_b32 v[8:9], v8 offset0:30 offset1:45
	ds_read_b32 v10, v1 offset:11744
	s_waitcnt lgkmcnt(4)
	v_cvt_f32_f16_sdwa v61, v2 dst_sel:DWORD dst_unused:UNUSED_PAD src0_sel:WORD_1
	v_cvt_f32_f16_e32 v60, v2
	v_cvt_f32_f16_sdwa v63, v3 dst_sel:DWORD dst_unused:UNUSED_PAD src0_sel:WORD_1
	v_cvt_f32_f16_e32 v62, v3
	v_ashrrev_i32_e32 v1, 31, v11
	s_waitcnt lgkmcnt(3)
	v_pk_fma_f32 v[60:61], v[4:5], v[60:61], 0 op_sel_hi:[0,1,0]
	s_waitcnt lgkmcnt(2)
	v_mov_b32_e32 v4, v7
	v_pk_fma_f32 v[2:3], v[6:7], v[62:63], v[60:61] op_sel_hi:[0,1,1]
	s_waitcnt lgkmcnt(1)
	v_cvt_f32_f16_sdwa v61, v8 dst_sel:DWORD dst_unused:UNUSED_PAD src0_sel:WORD_1
	v_cvt_f32_f16_e32 v60, v8
	v_cvt_f32_f16_sdwa v7, v9 dst_sel:DWORD dst_unused:UNUSED_PAD src0_sel:WORD_1
	v_cvt_f32_f16_e32 v6, v9
	v_add_co_u32_e32 v12, vcc, v11, v14
	v_addc_co_u32_e32 v13, vcc, 0, v1, vcc
	v_lshlrev_b64 v[12:13], 3, v[12:13]
	v_pk_fma_f32 v[2:3], v[4:5], v[60:61], v[2:3] op_sel_hi:[0,1,1]
	v_add_co_u32_e32 v12, vcc, s83, v12
	v_mov_b32_e32 v1, s84
	s_waitcnt lgkmcnt(0)
	v_pk_fma_f32 v[2:3], v[10:11], v[6:7], v[2:3] op_sel_hi:[0,1,1]
	v_addc_co_u32_e32 v13, vcc, v1, v13, vcc
	v_div_scale_f32 v1, s[52:53], v5, v5, v3
	v_rcp_f32_e32 v4, v1
	v_fma_f32 v6, -v1, v4, 1.0
	v_fmac_f32_e32 v4, v6, v4
	v_div_scale_f32 v6, vcc, v3, v5, v3
	v_mul_f32_e32 v7, v6, v4
	v_fma_f32 v8, -v1, v7, v6
	v_fmac_f32_e32 v7, v8, v4
	v_fma_f32 v1, -v1, v7, v6
	v_div_fmas_f32 v1, v1, v4, v7
	v_div_fixup_f32 v3, v1, v5, v3
	v_div_scale_f32 v1, s[52:53], v5, v5, v2
	v_rcp_f32_e32 v4, v1
	v_fma_f32 v6, -v1, v4, 1.0
	v_fmac_f32_e32 v4, v6, v4
	v_div_scale_f32 v6, vcc, v2, v5, v2
	v_mul_f32_e32 v7, v6, v4
	v_fma_f32 v8, -v1, v7, v6
	v_fmac_f32_e32 v7, v8, v4
	v_fma_f32 v1, -v1, v7, v6
	v_div_fmas_f32 v1, v1, v4, v7
	v_div_fixup_f32 v2, v1, v5, v2
	v_mov_b32_e32 v1, 0
	global_store_dwordx2 v[12:13], v[2:3], off offset:256
.LBB19_201:                             ;   in Loop: Header=BB19_16 Depth=1
	s_or_b64 exec, exec, s[76:77]
	v_cmp_gt_i32_e32 vcc, s51, v1
	s_mov_b64 s[76:77], -1
	s_and_saveexec_b64 s[78:79], vcc
; %bb.202:                              ;   in Loop: Header=BB19_16 Depth=1
	v_cmp_eq_u32_e32 vcc, 0, v1
	s_orn2_b64 s[76:77], vcc, exec
; %bb.203:                              ;   in Loop: Header=BB19_16 Depth=1
	s_or_b64 exec, exec, s[78:79]
	s_and_b64 exec, exec, s[76:77]
	s_cbranch_execz .LBB19_211
; %bb.204:                              ;   in Loop: Header=BB19_16 Depth=1
	v_add_u32_e32 v2, s44, v141
	v_cmp_gt_i32_e32 vcc, s36, v2
	s_and_b64 s[52:53], vcc, s[10:11]
	v_mov_b32_e32 v1, 0x47
	s_and_saveexec_b64 s[76:77], s[52:53]
	s_cbranch_execz .LBB19_206
; %bb.205:                              ;   in Loop: Header=BB19_16 Depth=1
	v_mad_u64_u32 v[2:3], s[52:53], v2, s37, v[56:57]
	v_add_u32_e32 v8, 0x80, v143
	v_mul_lo_u32 v11, v2, 56
	ds_read2st64_b32 v[2:3], v8 offset1:15
	v_add_u32_e32 v1, 0, v142
	ds_read2_b32 v[4:5], v1 offset0:56 offset1:57
	v_add_u32_e32 v6, 0xe0, v1
	ds_read2st64_b32 v[6:7], v6 offset0:15 offset1:30
	ds_read2st64_b32 v[8:9], v8 offset0:30 offset1:45
	ds_read_b32 v10, v1 offset:11744
	s_waitcnt lgkmcnt(4)
	v_cvt_f32_f16_sdwa v61, v2 dst_sel:DWORD dst_unused:UNUSED_PAD src0_sel:WORD_1
	v_cvt_f32_f16_e32 v60, v2
	v_cvt_f32_f16_sdwa v63, v3 dst_sel:DWORD dst_unused:UNUSED_PAD src0_sel:WORD_1
	v_cvt_f32_f16_e32 v62, v3
	v_ashrrev_i32_e32 v1, 31, v11
	s_waitcnt lgkmcnt(3)
	v_pk_fma_f32 v[60:61], v[4:5], v[60:61], 0 op_sel_hi:[0,1,0]
	s_waitcnt lgkmcnt(2)
	v_mov_b32_e32 v4, v7
	v_pk_fma_f32 v[2:3], v[6:7], v[62:63], v[60:61] op_sel_hi:[0,1,1]
	s_waitcnt lgkmcnt(1)
	v_cvt_f32_f16_sdwa v61, v8 dst_sel:DWORD dst_unused:UNUSED_PAD src0_sel:WORD_1
	v_cvt_f32_f16_e32 v60, v8
	v_cvt_f32_f16_sdwa v7, v9 dst_sel:DWORD dst_unused:UNUSED_PAD src0_sel:WORD_1
	v_cvt_f32_f16_e32 v6, v9
	v_add_co_u32_e32 v12, vcc, v11, v14
	v_addc_co_u32_e32 v13, vcc, 0, v1, vcc
	v_lshlrev_b64 v[12:13], 3, v[12:13]
	v_pk_fma_f32 v[2:3], v[4:5], v[60:61], v[2:3] op_sel_hi:[0,1,1]
	v_add_co_u32_e32 v12, vcc, s83, v12
	v_mov_b32_e32 v1, s84
	s_waitcnt lgkmcnt(0)
	v_pk_fma_f32 v[2:3], v[10:11], v[6:7], v[2:3] op_sel_hi:[0,1,1]
	v_addc_co_u32_e32 v13, vcc, v1, v13, vcc
	v_div_scale_f32 v1, s[52:53], v5, v5, v3
	v_rcp_f32_e32 v4, v1
	v_fma_f32 v6, -v1, v4, 1.0
	v_fmac_f32_e32 v4, v6, v4
	v_div_scale_f32 v6, vcc, v3, v5, v3
	v_mul_f32_e32 v7, v6, v4
	v_fma_f32 v8, -v1, v7, v6
	v_fmac_f32_e32 v7, v8, v4
	v_fma_f32 v1, -v1, v7, v6
	v_div_fmas_f32 v1, v1, v4, v7
	v_div_fixup_f32 v3, v1, v5, v3
	v_div_scale_f32 v1, s[52:53], v5, v5, v2
	v_rcp_f32_e32 v4, v1
	v_fma_f32 v6, -v1, v4, 1.0
	v_fmac_f32_e32 v4, v6, v4
	v_div_scale_f32 v6, vcc, v2, v5, v2
	v_mul_f32_e32 v7, v6, v4
	v_fma_f32 v8, -v1, v7, v6
	v_fmac_f32_e32 v7, v8, v4
	v_fma_f32 v1, -v1, v7, v6
	v_div_fmas_f32 v1, v1, v4, v7
	v_div_fixup_f32 v2, v1, v5, v2
	v_mov_b32_e32 v1, 0
	global_store_dwordx2 v[12:13], v[2:3], off offset:256
.LBB19_206:                             ;   in Loop: Header=BB19_16 Depth=1
	s_or_b64 exec, exec, s[76:77]
	v_cmp_gt_i32_e32 vcc, s51, v1
	s_mov_b64 s[76:77], -1
	s_and_saveexec_b64 s[78:79], vcc
; %bb.207:                              ;   in Loop: Header=BB19_16 Depth=1
	v_cmp_eq_u32_e32 vcc, 0, v1
	s_orn2_b64 s[76:77], vcc, exec
; %bb.208:                              ;   in Loop: Header=BB19_16 Depth=1
	s_or_b64 exec, exec, s[78:79]
	s_and_b64 exec, exec, s[76:77]
	s_cbranch_execz .LBB19_211
; %bb.209:                              ;   in Loop: Header=BB19_16 Depth=1
	v_add_u32_e32 v1, s44, v144
	v_cmp_gt_i32_e32 vcc, s36, v1
	s_and_b64 s[10:11], vcc, s[10:11]
	s_and_b64 exec, exec, s[10:11]
	s_cbranch_execz .LBB19_211
; %bb.210:                              ;   in Loop: Header=BB19_16 Depth=1
	v_mad_u64_u32 v[2:3], s[10:11], v1, s37, v[56:57]
	v_add_u32_e32 v6, 0x80, v146
	v_mul_lo_u32 v1, v2, 56
	ds_read2st64_b32 v[2:3], v6 offset1:15
	v_add_u32_e32 v10, 0, v145
	v_add_u32_e32 v4, 0xe0, v10
	ds_read2st64_b32 v[4:5], v4 offset0:15 offset1:30
	ds_read2st64_b32 v[6:7], v6 offset0:30 offset1:45
	ds_read2_b32 v[8:9], v10 offset0:56 offset1:57
	ds_read_b32 v10, v10 offset:11744
	v_ashrrev_i32_e32 v11, 31, v1
	s_waitcnt lgkmcnt(4)
	v_cvt_f32_f16_sdwa v13, v2 dst_sel:DWORD dst_unused:UNUSED_PAD src0_sel:WORD_1
	v_cvt_f32_f16_e32 v12, v2
	v_cvt_f32_f16_sdwa v63, v3 dst_sel:DWORD dst_unused:UNUSED_PAD src0_sel:WORD_1
	v_cvt_f32_f16_e32 v62, v3
	s_waitcnt lgkmcnt(2)
	v_cvt_f32_f16_sdwa v3, v6 dst_sel:DWORD dst_unused:UNUSED_PAD src0_sel:WORD_1
	v_cvt_f32_f16_e32 v2, v6
	v_cvt_f32_f16_sdwa v65, v7 dst_sel:DWORD dst_unused:UNUSED_PAD src0_sel:WORD_1
	v_cvt_f32_f16_e32 v64, v7
	s_waitcnt lgkmcnt(1)
	v_pk_fma_f32 v[12:13], v[8:9], v[12:13], 0 op_sel_hi:[0,1,0]
	v_pk_fma_f32 v[6:7], v[4:5], v[62:63], v[12:13] op_sel_hi:[0,1,1]
	v_mov_b32_e32 v4, v5
	v_pk_fma_f32 v[2:3], v[4:5], v[2:3], v[6:7] op_sel_hi:[0,1,1]
	s_waitcnt lgkmcnt(0)
	v_pk_fma_f32 v[2:3], v[10:11], v[64:65], v[2:3] op_sel_hi:[0,1,1]
	v_div_scale_f32 v6, s[10:11], v9, v9, v3
	v_add_co_u32_e32 v60, vcc, v1, v14
	v_rcp_f32_e32 v7, v6
	v_addc_co_u32_e32 v61, vcc, 0, v11, vcc
	v_lshlrev_b64 v[60:61], 3, v[60:61]
	v_mov_b32_e32 v1, s84
	v_add_co_u32_e32 v4, vcc, s83, v60
	v_addc_co_u32_e32 v5, vcc, v1, v61, vcc
	v_fma_f32 v1, -v6, v7, 1.0
	v_fmac_f32_e32 v7, v1, v7
	v_div_scale_f32 v1, vcc, v3, v9, v3
	v_mul_f32_e32 v8, v1, v7
	v_fma_f32 v10, -v6, v8, v1
	v_fmac_f32_e32 v8, v10, v7
	v_fma_f32 v1, -v6, v8, v1
	v_div_scale_f32 v6, s[10:11], v9, v9, v2
	v_rcp_f32_e32 v10, v6
	v_div_fmas_f32 v1, v1, v7, v8
	v_div_fixup_f32 v3, v1, v9, v3
	v_fma_f32 v1, -v6, v10, 1.0
	v_fmac_f32_e32 v10, v1, v10
	v_div_scale_f32 v1, vcc, v2, v9, v2
	v_mul_f32_e32 v7, v1, v10
	v_fma_f32 v8, -v6, v7, v1
	v_fmac_f32_e32 v7, v8, v10
	v_fma_f32 v1, -v6, v7, v1
	v_div_fmas_f32 v1, v1, v10, v7
	v_div_fixup_f32 v2, v1, v9, v2
	global_store_dwordx2 v[4:5], v[2:3], off offset:256
.LBB19_211:                             ;   in Loop: Header=BB19_16 Depth=1
	s_or_b64 exec, exec, s[74:75]
	v_or_b32_e32 v1, s85, v50
	v_add_u32_e32 v2, s44, v147
	v_cmp_gt_i32_e64 s[10:11], s33, v1
	v_cmp_gt_i32_e32 vcc, s36, v2
	s_and_b64 s[52:53], vcc, s[10:11]
	v_mov_b32_e32 v1, 0x47
	s_and_saveexec_b64 s[74:75], s[52:53]
	s_cbranch_execz .LBB19_213
; %bb.212:                              ;   in Loop: Header=BB19_16 Depth=1
	v_mad_u64_u32 v[2:3], s[52:53], v2, s37, v[50:51]
	v_add_u32_e32 v6, 0xc0, v149
	v_mul_lo_u32 v11, v2, 56
	ds_read2st64_b32 v[2:3], v6 offset1:15
	v_add_u32_e32 v1, 0, v148
	v_add_u32_e32 v4, 0xe0, v1
	ds_read2st64_b32 v[4:5], v4 offset0:15 offset1:30
	ds_read2st64_b32 v[6:7], v6 offset0:30 offset1:45
	ds_read2_b32 v[8:9], v1 offset0:56 offset1:57
	ds_read_b32 v10, v1 offset:11744
	v_ashrrev_i32_e32 v1, 31, v11
	s_waitcnt lgkmcnt(4)
	v_cvt_f32_f16_sdwa v61, v2 dst_sel:DWORD dst_unused:UNUSED_PAD src0_sel:WORD_1
	v_cvt_f32_f16_e32 v60, v2
	v_cvt_f32_f16_sdwa v63, v3 dst_sel:DWORD dst_unused:UNUSED_PAD src0_sel:WORD_1
	v_cvt_f32_f16_e32 v62, v3
	s_waitcnt lgkmcnt(2)
	v_cvt_f32_f16_sdwa v3, v6 dst_sel:DWORD dst_unused:UNUSED_PAD src0_sel:WORD_1
	v_cvt_f32_f16_e32 v2, v6
	v_cvt_f32_f16_sdwa v65, v7 dst_sel:DWORD dst_unused:UNUSED_PAD src0_sel:WORD_1
	v_cvt_f32_f16_e32 v64, v7
	s_waitcnt lgkmcnt(1)
	v_pk_fma_f32 v[60:61], v[8:9], v[60:61], 0 op_sel_hi:[0,1,0]
	v_pk_fma_f32 v[6:7], v[4:5], v[62:63], v[60:61] op_sel_hi:[0,1,1]
	v_mov_b32_e32 v4, v5
	v_pk_fma_f32 v[2:3], v[4:5], v[2:3], v[6:7] op_sel_hi:[0,1,1]
	s_waitcnt lgkmcnt(0)
	v_pk_fma_f32 v[2:3], v[10:11], v[64:65], v[2:3] op_sel_hi:[0,1,1]
	v_div_scale_f32 v6, s[52:53], v9, v9, v3
	v_rcp_f32_e32 v7, v6
	v_or_b32_e32 v13, 0, v1
	v_or_b32_e32 v12, v11, v34
	v_lshlrev_b64 v[12:13], 3, v[12:13]
	v_mov_b32_e32 v1, s84
	v_add_co_u32_e32 v4, vcc, s83, v12
	v_addc_co_u32_e32 v5, vcc, v1, v13, vcc
	v_fma_f32 v1, -v6, v7, 1.0
	v_fmac_f32_e32 v7, v1, v7
	v_div_scale_f32 v1, vcc, v3, v9, v3
	v_mul_f32_e32 v8, v1, v7
	v_fma_f32 v10, -v6, v8, v1
	v_fmac_f32_e32 v8, v10, v7
	v_fma_f32 v1, -v6, v8, v1
	v_div_scale_f32 v6, s[52:53], v9, v9, v2
	v_rcp_f32_e32 v10, v6
	v_div_fmas_f32 v1, v1, v7, v8
	v_div_fixup_f32 v3, v1, v9, v3
	v_fma_f32 v1, -v6, v10, 1.0
	v_fmac_f32_e32 v10, v1, v10
	v_div_scale_f32 v1, vcc, v2, v9, v2
	v_mul_f32_e32 v7, v1, v10
	v_fma_f32 v8, -v6, v7, v1
	v_fmac_f32_e32 v7, v8, v10
	v_fma_f32 v1, -v6, v7, v1
	v_div_fmas_f32 v1, v1, v10, v7
	v_div_fixup_f32 v2, v1, v9, v2
	v_mov_b32_e32 v1, 0
	global_store_dwordx2 v[4:5], v[2:3], off offset:384
.LBB19_213:                             ;   in Loop: Header=BB19_16 Depth=1
	s_or_b64 exec, exec, s[74:75]
	v_cmp_gt_i32_e32 vcc, s51, v1
	s_mov_b64 s[74:75], -1
	s_and_saveexec_b64 s[76:77], vcc
; %bb.214:                              ;   in Loop: Header=BB19_16 Depth=1
	v_cmp_eq_u32_e32 vcc, 0, v1
	s_orn2_b64 s[74:75], vcc, exec
; %bb.215:                              ;   in Loop: Header=BB19_16 Depth=1
	s_or_b64 exec, exec, s[76:77]
	s_and_b64 exec, exec, s[74:75]
	s_cbranch_execz .LBB19_14
; %bb.216:                              ;   in Loop: Header=BB19_16 Depth=1
	v_add_u32_e32 v1, s44, v150
	v_cmp_gt_i32_e32 vcc, s36, v1
	s_and_b64 s[10:11], vcc, s[10:11]
	s_and_b64 exec, exec, s[10:11]
	s_cbranch_execz .LBB19_14
; %bb.217:                              ;   in Loop: Header=BB19_16 Depth=1
	v_mad_u64_u32 v[2:3], s[10:11], v1, s37, v[50:51]
	v_add_u32_e32 v6, 0xc0, v152
	v_mul_lo_u32 v1, v2, 56
	ds_read2st64_b32 v[2:3], v6 offset1:15
	v_add_u32_e32 v10, 0, v151
	v_add_u32_e32 v4, 0xe0, v10
	ds_read2st64_b32 v[4:5], v4 offset0:15 offset1:30
	ds_read2st64_b32 v[6:7], v6 offset0:30 offset1:45
	ds_read2_b32 v[8:9], v10 offset0:56 offset1:57
	ds_read_b32 v10, v10 offset:11744
	v_ashrrev_i32_e32 v11, 31, v1
	s_waitcnt lgkmcnt(4)
	v_cvt_f32_f16_sdwa v61, v2 dst_sel:DWORD dst_unused:UNUSED_PAD src0_sel:WORD_1
	v_cvt_f32_f16_e32 v60, v2
	v_cvt_f32_f16_sdwa v63, v3 dst_sel:DWORD dst_unused:UNUSED_PAD src0_sel:WORD_1
	v_cvt_f32_f16_e32 v62, v3
	s_waitcnt lgkmcnt(2)
	v_cvt_f32_f16_sdwa v3, v6 dst_sel:DWORD dst_unused:UNUSED_PAD src0_sel:WORD_1
	v_cvt_f32_f16_e32 v2, v6
	v_cvt_f32_f16_sdwa v65, v7 dst_sel:DWORD dst_unused:UNUSED_PAD src0_sel:WORD_1
	v_cvt_f32_f16_e32 v64, v7
	s_waitcnt lgkmcnt(1)
	v_pk_fma_f32 v[60:61], v[8:9], v[60:61], 0 op_sel_hi:[0,1,0]
	v_pk_fma_f32 v[6:7], v[4:5], v[62:63], v[60:61] op_sel_hi:[0,1,1]
	v_mov_b32_e32 v4, v5
	v_pk_fma_f32 v[2:3], v[4:5], v[2:3], v[6:7] op_sel_hi:[0,1,1]
	s_waitcnt lgkmcnt(0)
	v_pk_fma_f32 v[2:3], v[10:11], v[64:65], v[2:3] op_sel_hi:[0,1,1]
	v_div_scale_f32 v6, s[10:11], v9, v9, v3
	v_rcp_f32_e32 v7, v6
	v_or_b32_e32 v13, 0, v11
	v_or_b32_e32 v12, v1, v34
	v_lshlrev_b64 v[12:13], 3, v[12:13]
	v_mov_b32_e32 v1, s84
	v_add_co_u32_e32 v4, vcc, s83, v12
	v_addc_co_u32_e32 v5, vcc, v1, v13, vcc
	v_fma_f32 v1, -v6, v7, 1.0
	v_fmac_f32_e32 v7, v1, v7
	v_div_scale_f32 v1, vcc, v3, v9, v3
	v_mul_f32_e32 v8, v1, v7
	v_fma_f32 v10, -v6, v8, v1
	v_fmac_f32_e32 v8, v10, v7
	v_fma_f32 v1, -v6, v8, v1
	v_div_scale_f32 v6, s[10:11], v9, v9, v2
	v_rcp_f32_e32 v10, v6
	v_div_fmas_f32 v1, v1, v7, v8
	v_div_fixup_f32 v3, v1, v9, v3
	v_fma_f32 v1, -v6, v10, 1.0
	v_fmac_f32_e32 v10, v1, v10
	v_div_scale_f32 v1, vcc, v2, v9, v2
	v_mul_f32_e32 v7, v1, v10
	v_fma_f32 v8, -v6, v7, v1
	v_fmac_f32_e32 v7, v8, v10
	v_fma_f32 v1, -v6, v7, v1
	v_div_fmas_f32 v1, v1, v10, v7
	v_div_fixup_f32 v2, v1, v9, v2
	global_store_dwordx2 v[4:5], v[2:3], off offset:384
	s_branch .LBB19_14
.LBB19_218:
	v_readlane_b32 s44, v197, 16
	v_readlane_b32 s35, v197, 11
	;; [unrolled: 1-line block ×5, first 2 shown]
	s_andn2_b64 vcc, exec, s[10:11]
	s_cbranch_vccnz .LBB19_12
.LBB19_219:
	v_readlane_b32 s6, v197, 3
	s_abs_i32 s0, s6
	v_cvt_f32_u32_e32 v1, s0
	s_sub_i32 s3, 0, s0
	s_abs_i32 s2, s54
	s_xor_b32 s1, s54, s6
	v_rcp_iflag_f32_e32 v1, v1
	s_ashr_i32 s1, s1, 31
	v_readlane_b32 s8, v197, 2
	v_readlane_b32 s9, v197, 1
	v_mul_f32_e32 v1, 0x4f7ffffe, v1
	v_cvt_u32_f32_e32 v1, v1
	v_mov_b32_e32 v13, s42
	v_readfirstlane_b32 s4, v1
	s_mul_i32 s3, s3, s4
	s_mul_hi_u32 s3, s4, s3
	s_add_i32 s4, s4, s3
	s_mul_hi_u32 s3, s2, s4
	s_mul_i32 s4, s3, s0
	s_sub_i32 s2, s2, s4
	s_add_i32 s5, s3, 1
	s_sub_i32 s4, s2, s0
	s_cmp_ge_u32 s2, s0
	s_cselect_b32 s3, s5, s3
	s_cselect_b32 s2, s4, s2
	s_add_i32 s4, s3, 1
	s_cmp_ge_u32 s2, s0
	s_cselect_b32 s0, s4, s3
	s_abs_i32 s2, s8
	v_cvt_f32_u32_e32 v1, s2
	s_xor_b32 s0, s0, s1
	s_sub_i32 s4, s0, s1
	s_sub_i32 s3, 0, s2
	v_rcp_iflag_f32_e32 v1, v1
	s_mul_i32 s0, s4, s6
	s_sub_i32 s0, s54, s0
	s_abs_i32 s5, s0
	v_mul_f32_e32 v1, 0x4f7ffffe, v1
	v_cvt_u32_f32_e32 v1, v1
	s_xor_b32 s1, s0, s8
	s_ashr_i32 s1, s1, 31
	v_readfirstlane_b32 s6, v1
	s_mul_i32 s3, s3, s6
	s_mul_hi_u32 s3, s6, s3
	s_add_i32 s6, s6, s3
	s_mul_hi_u32 s3, s5, s6
	s_mul_i32 s6, s3, s2
	s_sub_i32 s5, s5, s6
	s_add_i32 s7, s3, 1
	s_sub_i32 s6, s5, s2
	s_cmp_ge_u32 s5, s2
	s_cselect_b32 s3, s7, s3
	s_cselect_b32 s5, s6, s5
	s_add_i32 s6, s3, 1
	s_cmp_ge_u32 s5, s2
	s_cselect_b32 s2, s6, s3
	s_abs_i32 s3, s9
	v_cvt_f32_u32_e32 v1, s3
	s_xor_b32 s2, s2, s1
	s_sub_i32 s6, 0, s3
	s_sub_i32 s5, s2, s1
	v_rcp_iflag_f32_e32 v1, v1
	s_mul_i32 s1, s5, s8
	s_sub_i32 s1, s0, s1
	s_abs_i32 s2, s1
	v_mul_f32_e32 v1, 0x4f7ffffe, v1
	v_cvt_u32_f32_e32 v1, v1
	s_xor_b32 s0, s1, s9
	s_ashr_i32 s0, s0, 31
	v_readfirstlane_b32 s7, v1
	s_mul_i32 s6, s6, s7
	s_mul_hi_u32 s6, s7, s6
	s_add_i32 s7, s7, s6
	s_mul_hi_u32 s6, s2, s7
	s_mul_i32 s7, s6, s3
	s_sub_i32 s2, s2, s7
	s_add_i32 s8, s6, 1
	s_sub_i32 s7, s2, s3
	s_cmp_ge_u32 s2, s3
	s_cselect_b32 s6, s8, s6
	s_cselect_b32 s2, s7, s2
	s_add_i32 s7, s6, 1
	s_cmp_ge_u32 s2, s3
	s_cselect_b32 s2, s7, s6
	s_xor_b32 s2, s2, s0
	s_sub_i32 s0, s2, s0
	s_mul_i32 s2, s0, s9
	s_sub_i32 s1, s1, s2
	s_ashr_i32 s2, s1, 31
	v_readlane_b32 s3, v197, 10
	s_abs_i32 s1, s1
	s_xor_b32 s2, s2, s3
	s_mul_hi_u32 s3, s1, s50
	s_mul_i32 s6, s3, s87
	s_sub_i32 s1, s1, s6
	s_add_i32 s6, s3, 1
	s_sub_i32 s7, s1, s87
	s_cmp_ge_u32 s1, s87
	s_cselect_b32 s3, s6, s3
	s_cselect_b32 s1, s7, s1
	s_add_i32 s6, s3, 1
	s_cmp_ge_u32 s1, s87
	s_cselect_b32 s1, s6, s3
	s_abs_i32 s6, s12
	v_cvt_f32_u32_e32 v1, s6
	s_xor_b32 s1, s1, s2
	s_sub_i32 s1, s1, s2
	s_cmp_eq_u64 s[26:27], 0
	v_rcp_iflag_f32_e32 v1, v1
	v_mul_f32_e32 v1, 0x4f7ffffe, v1
	v_cvt_u32_f32_e32 v1, v1
	v_readfirstlane_b32 s11, v1
	s_cbranch_scc1 .LBB19_221
; %bb.220:
	v_readlane_b32 s2, v197, 0
	s_mul_i32 s2, s4, s2
	s_add_i32 s2, s1, s2
	s_ashr_i32 s3, s2, 31
	s_lshl_b64 s[2:3], s[2:3], 2
	s_add_u32 s2, s26, s2
	s_addc_u32 s3, s27, s3
	v_mov_b32_e32 v1, 0
	global_load_dword v1, v1, s[2:3]
	s_waitcnt vmcnt(0)
	v_ashrrev_i32_e32 v2, 31, v1
	v_lshrrev_b32_e32 v2, 26, v2
	v_add_u32_e32 v1, v1, v2
	v_ashrrev_i32_e32 v1, 6, v1
	v_min_i32_e32 v13, s42, v1
.LBB19_221:
	v_readlane_b32 s8, v197, 4
	s_mul_i32 s2, s5, s33
	s_lshl_b32 s10, s0, 1
	v_readlane_b32 s9, v197, 5
	s_add_i32 s0, s10, s2
	s_mul_i32 s2, s4, s9
	s_ashr_i32 s3, s2, 31
	s_add_u32 s2, s16, s2
	s_mul_i32 s0, s0, s8
	v_and_b32_e32 v29, 0x3ff, v0
	s_addc_u32 s3, s17, s3
	s_ashr_i32 s8, s0, 31
	v_bfe_u32 v0, v29, 5, 1
	s_add_u32 s7, s2, s0
	v_and_b32_e32 v30, 31, v29
	v_or_b32_e32 v1, s10, v0
	s_addc_u32 s9, s3, s8
	v_lshrrev_b32_e32 v54, 5, v29
	v_cmp_gt_i32_e32 vcc, s33, v1
	v_mad_u64_u32 v[0:1], s[2:3], s52, v0, v[30:31]
	v_add_u16_e32 v1, v54, v53
	s_lshl_b32 s8, s1, 3
	v_lshrrev_b16_e32 v1, 1, v1
	v_add_u32_e32 v1, s8, v1
	s_xor_b64 s[0:1], vcc, -1
	v_cmp_le_i32_e32 vcc, s36, v1
	v_add_u32_e32 v12, v54, v53
	s_or_b64 s[2:3], vcc, s[0:1]
	s_and_saveexec_b64 s[12:13], s[2:3]
	s_xor_b64 s[2:3], exec, s[12:13]
	s_cbranch_execz .LBB19_223
; %bb.222:
	v_mad_u32_u24 v1, v12, 60, v30
	v_lshl_add_u32 v1, v1, 2, 0
	v_mov_b32_e32 v2, 0
	ds_write_b32 v1, v2
                                        ; implicit-def: $vgpr1
.LBB19_223:
	s_or_saveexec_b64 s[2:3], s[2:3]
	s_sub_i32 s12, 0, s6
	s_xor_b64 exec, exec, s[2:3]
	s_cbranch_execz .LBB19_225
; %bb.224:
	v_mad_u64_u32 v[2:3], s[16:17], v1, s55, v[0:1]
	v_ashrrev_i32_e32 v3, 31, v2
	v_lshlrev_b64 v[2:3], 3, v[2:3]
	v_mov_b32_e32 v1, s9
	v_add_co_u32_e32 v2, vcc, s7, v2
	v_addc_co_u32_e32 v3, vcc, v1, v3, vcc
	global_load_dwordx2 v[2:3], v[2:3], off
	s_waitcnt vmcnt(0)
	v_cvt_f16_f32_e32 v1, v2
	v_cvt_f16_f32_e32 v2, v3
	v_mad_u32_u24 v3, v12, 60, v30
	v_pack_b32_f16 v1, v1, v2
	v_pk_mul_f16 v1, v47, v1
	v_lshl_add_u32 v2, v3, 2, 0
	ds_write_b32 v2, v1
.LBB19_225:
	s_or_b64 exec, exec, s[2:3]
	v_add_u32_e32 v1, 8, v12
	v_lshrrev_b32_e32 v2, 1, v1
	v_add_u32_e32 v2, s8, v2
	v_cmp_le_i32_e32 vcc, s36, v2
	s_mul_i32 s12, s12, s11
	s_or_b64 s[0:1], vcc, s[0:1]
	s_and_saveexec_b64 s[2:3], s[0:1]
	s_xor_b64 s[0:1], exec, s[2:3]
	s_cbranch_execz .LBB19_227
; %bb.226:
	v_mad_u32_u24 v0, v1, 60, v30
	v_lshl_add_u32 v0, v0, 2, 0
	v_mov_b32_e32 v1, 0
	ds_write_b32 v0, v1
                                        ; implicit-def: $vgpr0_vgpr1
                                        ; implicit-def: $vgpr2
                                        ; implicit-def: $vgpr1
.LBB19_227:
	s_or_saveexec_b64 s[0:1], s[0:1]
	s_mul_hi_u32 s2, s11, s12
	s_xor_b64 exec, exec, s[0:1]
	s_cbranch_execz .LBB19_229
; %bb.228:
	v_mad_u64_u32 v[2:3], s[12:13], v2, s55, v[0:1]
	v_ashrrev_i32_e32 v3, 31, v2
	v_lshlrev_b64 v[2:3], 3, v[2:3]
	v_mov_b32_e32 v0, s9
	v_add_co_u32_e32 v2, vcc, s7, v2
	v_addc_co_u32_e32 v3, vcc, v0, v3, vcc
	global_load_dwordx2 v[2:3], v[2:3], off
	v_mad_u32_u24 v1, v1, 60, v30
	v_lshl_add_u32 v1, v1, 2, 0
	s_waitcnt vmcnt(0)
	v_cvt_f16_f32_e32 v0, v2
	v_cvt_f16_f32_e32 v2, v3
	v_pack_b32_f16 v0, v0, v2
	v_pk_mul_f16 v0, v47, v0
	ds_write_b32 v1, v0
.LBB19_229:
	s_or_b64 exec, exec, s[0:1]
	v_lshrrev_b32_e32 v52, 4, v29
	v_add_u32_e32 v0, v73, v52
	v_lshrrev_b32_e32 v2, 1, v0
	v_and_b32_e32 v1, 1, v52
	v_add_u32_e32 v2, s8, v2
	v_or_b32_e32 v3, s10, v1
	v_cmp_le_i32_e32 vcc, s36, v2
	v_cmp_le_i32_e64 s[0:1], s33, v3
	s_abs_i32 s12, s4
	s_add_i32 s11, s11, s2
	s_or_b64 s[0:1], vcc, s[0:1]
	v_and_b32_e32 v28, 15, v29
	s_and_saveexec_b64 s[2:3], s[0:1]
	s_xor_b64 s[0:1], exec, s[2:3]
	s_cbranch_execz .LBB19_231
; %bb.230:
	v_mad_u32_u24 v0, v0, 60, v28
	v_lshl_add_u32 v0, v0, 2, 0
	v_mov_b32_e32 v1, 0
	ds_write_b32 v0, v1 offset:128
                                        ; implicit-def: $vgpr2
                                        ; implicit-def: $vgpr1
                                        ; implicit-def: $vgpr0
.LBB19_231:
	s_or_saveexec_b64 s[0:1], s[0:1]
	s_mul_hi_u32 s13, s12, s11
	s_xor_b64 exec, exec, s[0:1]
	s_cbranch_execz .LBB19_233
; %bb.232:
	v_mul_lo_u32 v4, v2, s55
	v_mad_u64_u32 v[2:3], s[2:3], s52, v1, v[28:29]
	v_add3_u32 v2, v2, v4, 32
	v_ashrrev_i32_e32 v3, 31, v2
	v_lshlrev_b64 v[2:3], 3, v[2:3]
	v_mov_b32_e32 v1, s9
	v_add_co_u32_e32 v2, vcc, s7, v2
	v_addc_co_u32_e32 v3, vcc, v1, v3, vcc
	global_load_dwordx2 v[2:3], v[2:3], off
	v_mad_u32_u24 v0, v0, 60, v28
	v_lshl_add_u32 v0, v0, 2, 0
	s_waitcnt vmcnt(0)
	v_cvt_f16_f32_e32 v1, v2
	v_cvt_f16_f32_e32 v2, v3
	v_pack_b32_f16 v1, v1, v2
	v_pk_mul_f16 v1, v47, v1
	ds_write_b32 v0, v1 offset:128
.LBB19_233:
	s_or_b64 exec, exec, s[0:1]
	v_lshrrev_b32_e32 v31, 3, v29
	v_lshl_add_u32 v61, v55, 3, v31
	s_ashr_i32 s15, s4, 31
	v_cmp_gt_u32_e32 vcc, 16, v61
	s_and_saveexec_b64 s[2:3], vcc
	s_cbranch_execz .LBB19_238
; %bb.234:
	v_lshrrev_b32_e32 v1, 1, v61
	v_and_b32_e32 v0, 1, v31
	v_or_b32_e32 v1, s8, v1
	v_or_b32_e32 v2, s10, v0
	v_cmp_le_i32_e32 vcc, s36, v1
	v_cmp_le_i32_e64 s[0:1], s33, v2
	s_or_b64 s[0:1], vcc, s[0:1]
	s_and_saveexec_b64 s[10:11], s[0:1]
	s_xor_b64 s[0:1], exec, s[10:11]
	s_cbranch_execz .LBB19_236
; %bb.235:
	v_and_b32_e32 v0, 7, v29
	v_mad_u32_u24 v0, v61, 60, v0
	v_lshl_add_u32 v0, v0, 2, 0
	v_mov_b32_e32 v1, 0
	ds_write_b32 v0, v1 offset:192
                                        ; implicit-def: $vgpr1
                                        ; implicit-def: $vgpr0
                                        ; implicit-def: $vgpr47
.LBB19_236:
	s_andn2_saveexec_b64 s[0:1], s[0:1]
	s_cbranch_execz .LBB19_238
; %bb.237:
	v_mul_lo_u32 v3, v1, s55
	v_and_b32_e32 v2, 7, v29
	v_mad_u64_u32 v[0:1], s[0:1], s52, v0, v[2:3]
	v_add3_u32 v0, v0, v3, 48
	v_ashrrev_i32_e32 v1, 31, v0
	v_lshlrev_b64 v[0:1], 3, v[0:1]
	v_mov_b32_e32 v3, s9
	v_add_co_u32_e32 v0, vcc, s7, v0
	v_addc_co_u32_e32 v1, vcc, v3, v1, vcc
	global_load_dwordx2 v[0:1], v[0:1], off
	v_mad_u32_u24 v2, v61, 60, v2
	s_waitcnt vmcnt(0)
	v_cvt_f16_f32_e32 v0, v0
	v_cvt_f16_f32_e32 v1, v1
	v_pack_b32_f16 v0, v0, v1
	v_pk_mul_f16 v0, v47, v0
	v_lshl_add_u32 v1, v2, 2, 0
	ds_write_b32 v1, v0 offset:192
.LBB19_238:
	s_or_b64 exec, exec, s[2:3]
	s_mul_i32 s0, s4, s41
	s_mul_hi_u32 s1, s4, s40
	s_add_i32 s0, s1, s0
	s_mul_i32 s1, s15, s40
	v_readlane_b32 s2, v197, 8
	s_add_i32 s0, s0, s1
	s_mul_i32 s1, s4, s40
	v_readlane_b32 s3, v197, 9
	s_add_u32 s1, s18, s1
	s_mul_i32 s2, s5, s3
	s_addc_u32 s0, s19, s0
	s_ashr_i32 s3, s2, 31
	s_add_u32 s10, s1, s2
	s_mul_i32 s13, s13, s6
	s_addc_u32 s11, s0, s3
	s_sub_i32 s0, s12, s13
	s_sub_i32 s1, s0, s6
	s_cmp_ge_u32 s0, s6
	s_cselect_b32 s0, s1, s0
	s_sub_i32 s1, s0, s6
	s_cmp_ge_u32 s0, s6
	s_cselect_b32 s0, s1, s0
	s_xor_b32 s0, s0, s15
	s_sub_i32 s0, s0, s15
	s_ashr_i32 s1, s0, 31
	s_mul_i32 s2, s0, s49
	s_mul_hi_u32 s3, s0, s48
	s_add_i32 s2, s3, s2
	s_mul_i32 s1, s1, s48
	s_add_i32 s2, s2, s1
	s_mul_i32 s0, s0, s48
	s_add_u32 s12, s22, s0
	s_mul_i32 s0, s4, s47
	s_mul_hi_u32 s1, s4, s46
	s_addc_u32 s13, s23, s2
	s_add_i32 s0, s1, s0
	s_mul_i32 s15, s15, s46
	s_add_i32 s0, s0, s15
	s_mul_i32 s4, s4, s46
	s_add_u32 s1, s20, s4
	s_mul_i32 s5, s5, s43
	s_addc_u32 s0, s21, s0
	s_ashr_i32 s2, s5, 31
	s_add_u32 s6, s1, s5
	s_addc_u32 s7, s0, s2
	v_and_b32_e32 v17, 0xff0, v73
	s_movk_i32 s0, 0xf0
	v_and_b32_e32 v56, 0x7e, v31
	v_mad_u32_u24 v0, v17, s0, 0
	v_mul_u32_u24_e32 v72, 0xf0, v28
	v_lshlrev_b32_e32 v74, 2, v56
	v_add3_u32 v14, v0, v72, v74
	s_waitcnt lgkmcnt(0)
	s_barrier
	ds_read2_b64 v[8:11], v14 offset1:4
	ds_read2_b64 v[4:7], v14 offset0:8 offset1:12
	ds_read2_b64 v[0:3], v14 offset0:16 offset1:20
	ds_read_b64 v[14:15], v14 offset:192
	v_add_u32_e32 v82, -1, v13
	v_add_u32_e32 v13, s8, v12
	v_readlane_b32 s0, v197, 6
	v_mul_hi_u32 v16, s0, v13
	v_readlane_b32 s1, v197, 7
	v_add_u32_e32 v16, v13, v16
	v_lshrrev_b32_e32 v16, s1, v16
	v_cmp_lt_i32_e32 vcc, s76, v82
	v_mul_lo_u32 v16, v16, s36
	s_mov_b32 s4, 0
	v_sub_u32_e32 v19, v13, v16
	s_waitcnt lgkmcnt(0)
	s_barrier
	s_cbranch_vccnz .LBB19_240
; %bb.239:
	v_lshlrev_b32_e32 v13, 1, v29
	v_and_b32_e32 v22, 62, v13
	v_mad_i64_i32 v[24:25], s[0:1], v19, s38, 0
	v_lshrrev_b32_e32 v13, 1, v29
	v_mov_b32_e32 v23, 0
	s_ashr_i32 s3, s34, 31
	v_lshl_add_u32 v71, v55, 5, v13
	s_mov_b64 s[0:1], 0
	s_mov_b32 s8, 0xfeffffff
	s_mov_b32 s5, 0
	s_branch .LBB19_241
.LBB19_240:
	s_mov_b64 s[0:1], -1
                                        ; implicit-def: $sgpr5
                                        ; implicit-def: $sgpr4
                                        ; implicit-def: $sgpr8
                                        ; implicit-def: $vgpr22
                                        ; implicit-def: $vgpr24_vgpr25
                                        ; implicit-def: $vgpr71
                                        ; implicit-def: $sgpr2_sgpr3
.LBB19_241:
	v_mul_u32_u24_e32 v81, 0x90, v12
	v_mul_lo_u32 v20, s34, v61
	v_mul_lo_u32 v12, s14, v61
	s_andn2_b64 vcc, exec, s[0:1]
	v_mov_b32_e32 v58, s5
	v_mov_b32_e32 v48, s4
	;; [unrolled: 1-line block ×3, first 2 shown]
	v_lshrrev_b32_e32 v27, 2, v29
	v_ashrrev_i32_e32 v21, 31, v20
	v_add_u32_e32 v60, 32, v61
	v_lshl_add_u32 v18, s34, 5, v20
	v_and_or_b32 v77, v29, 14, v17
	v_mbcnt_lo_u32_b32 v76, -1, 0
	v_ashrrev_i32_e32 v13, 31, v12
	v_lshlrev_b32_e32 v17, 1, v28
	v_mov_b32_e32 v59, s5
	v_mov_b32_e32 v78, s5
	;; [unrolled: 1-line block ×13, first 2 shown]
	s_cbranch_vccnz .LBB19_249
; %bb.242:
	s_movk_i32 s2, 0xf0
	v_and_b32_e32 v38, 48, v57
	v_and_b32_e32 v42, 0xfc, v27
	v_mad_i64_i32 v[24:25], s[0:1], v19, s38, 0
	v_mad_u32_u24 v44, v38, s2, 0
	v_add_u16_e32 v38, v38, v42
	v_lshlrev_b32_e32 v16, 1, v29
	v_lshlrev_b64 v[32:33], 1, v[24:25]
	v_lshrrev_b32_e32 v40, 1, v77
	v_lshrrev_b16_e32 v38, 1, v38
	v_and_b32_e32 v22, 62, v16
	v_mov_b32_e32 v19, s13
	v_add_co_u32_e32 v26, vcc, s12, v32
	v_mul_u32_u24_e32 v40, 0x90, v40
	v_lshlrev_b32_e32 v38, 2, v38
	v_lshlrev_b32_e32 v16, 1, v22
	v_addc_co_u32_e32 v19, vcc, v19, v33, vcc
	v_add3_u32 v45, 0, v40, v38
	v_mbcnt_hi_u32_b32 v38, -1, v76
	v_add_co_u32_e32 v84, vcc, v26, v16
	v_and_b32_e32 v40, 64, v38
	v_addc_co_u32_e32 v85, vcc, 0, v19, vcc
	v_add_u32_e32 v40, 64, v40
	v_xor_b32_e32 v41, 32, v38
	v_cmp_lt_i32_e32 vcc, v41, v40
	v_cndmask_b32_e32 v41, v38, v41, vcc
	v_add3_u32 v83, 0, v81, v16
	v_lshrrev_b32_e32 v16, 1, v29
	v_lshlrev_b32_e32 v36, 2, v29
	v_lshlrev_b32_e32 v88, 2, v41
	v_xor_b32_e32 v41, 16, v38
	v_lshl_add_u32 v71, v55, 5, v16
	v_and_b32_e32 v26, 4, v36
	v_cmp_lt_i32_e32 vcc, v41, v40
	v_mad_u32_u24 v16, v71, s2, 0
	v_lshlrev_b32_e32 v19, 2, v26
	s_movk_i32 s4, 0xc0
	v_cndmask_b32_e32 v38, v38, v41, vcc
	v_add3_u32 v86, v16, v19, s4
	v_add_u32_e32 v16, v57, v27
	v_lshlrev_b32_e32 v89, 2, v38
	v_or_b32_e32 v38, 3, v27
	v_mad_u32_u24 v37, v16, s2, 0
	v_mul_lo_u32 v34, s34, v16
	v_mul_u32_u24_e32 v38, 0xf0, v38
	v_mul_u32_u24_e32 v43, 0x78, v42
	;; [unrolled: 1-line block ×3, first 2 shown]
	v_mul_lo_u32 v42, s14, v16
	v_and_b32_e32 v16, 12, v36
	v_add3_u32 v92, v44, v38, v17
	s_movk_i32 s2, 0x80
	v_lshlrev_b32_e32 v38, 2, v16
	v_add3_u32 v99, v37, v38, s2
	v_and_b32_e32 v38, 28, v36
	v_mul_lo_u32 v32, s34, v71
	v_mul_u32_u24_e32 v39, 0xf0, v61
	v_mul_lo_u32 v40, s14, v71
	v_mul_lo_u32 v46, s14, v60
	v_lshlrev_b32_e32 v36, 2, v38
	v_mov_b32_e32 v23, 0
	v_ashrrev_i32_e32 v33, 31, v32
	v_ashrrev_i32_e32 v35, 31, v34
	;; [unrolled: 1-line block ×4, first 2 shown]
	v_or_b32_e32 v49, v43, v28
	v_ashrrev_i32_e32 v47, 31, v46
	v_ashrrev_i32_e32 v43, 31, v42
	v_add3_u32 v91, v44, v48, v17
	v_add3_u32 v100, 0, v39, v36
	s_ashr_i32 s3, s34, 31
	v_cmp_gt_u32_e64 s[0:1], 64, v71
	v_add3_u32 v87, v44, v72, v74
	v_lshl_add_u32 v90, v49, 1, v44
	v_add_u32_e32 v93, 32, v91
	v_add_u32_e32 v94, 64, v91
	;; [unrolled: 1-line block ×7, first 2 shown]
	s_lshl_b32 s4, s76, 6
	v_mov_b32_e32 v106, 0xfeffffff
	v_lshlrev_b64 v[32:33], 2, v[32:33]
	v_lshlrev_b64 v[34:35], 2, v[34:35]
	v_lshlrev_b32_e32 v102, 2, v16
	v_lshlrev_b64 v[36:37], 2, v[20:21]
	v_lshlrev_b32_e32 v103, 2, v38
	v_lshlrev_b64 v[38:39], 2, v[18:19]
	v_add_u32_e32 v19, 0x3c00, v45
	v_lshlrev_b64 v[40:41], 2, v[40:41]
	s_mov_b32 s2, 0x3fb8aa3b
	s_mov_b32 s15, 0xc2ce8ed0
	;; [unrolled: 1-line block ×4, first 2 shown]
	v_lshlrev_b64 v[42:43], 2, v[42:43]
	v_lshlrev_b64 v[44:45], 2, v[12:13]
	;; [unrolled: 1-line block ×3, first 2 shown]
	s_mov_b32 s18, 0x5040100
	v_mov_b32_e32 v104, 0x7f800000
	v_mov_b32_e32 v105, v23
	;; [unrolled: 1-line block ×16, first 2 shown]
.LBB19_243:                             ; =>This Inner Loop Header: Depth=1
	s_ashr_i32 s5, s4, 31
	s_lshl_b64 s[8:9], s[4:5], 1
	v_mov_b32_e32 v16, s9
	v_add_co_u32_e32 v48, vcc, s8, v84
	v_addc_co_u32_e32 v49, vcc, v85, v16, vcc
	global_load_dword v16, v[48:49], off
	s_mul_hi_i32 s9, s4, s34
	s_mul_i32 s8, s4, s34
	s_lshl_b64 s[8:9], s[8:9], 2
	s_add_u32 s5, s10, s8
	s_addc_u32 s19, s11, s9
	s_waitcnt vmcnt(0)
	ds_write_b32 v83, v16 offset:15360
	s_and_saveexec_b64 s[8:9], s[0:1]
	s_cbranch_execz .LBB19_245
; %bb.244:                              ;   in Loop: Header=BB19_243 Depth=1
	v_mov_b32_e32 v16, s19
	v_add_co_u32_e32 v48, vcc, s5, v32
	v_addc_co_u32_e32 v16, vcc, v16, v33, vcc
	v_lshlrev_b32_e32 v49, 2, v26
	v_add_co_u32_e32 v48, vcc, v48, v49
	v_addc_co_u32_e32 v49, vcc, 0, v16, vcc
	global_load_dwordx4 v[48:51], v[48:49], off offset:192
	s_waitcnt vmcnt(0)
	ds_write_b128 v86, v[48:51]
.LBB19_245:                             ;   in Loop: Header=BB19_243 Depth=1
	s_or_b64 exec, exec, s[8:9]
	v_mov_b32_e32 v16, s19
	v_add_co_u32_e32 v48, vcc, s5, v34
	v_addc_co_u32_e32 v16, vcc, v16, v35, vcc
	v_add_co_u32_e32 v112, vcc, v48, v102
	v_addc_co_u32_e32 v113, vcc, 0, v16, vcc
	v_mov_b32_e32 v16, s19
	v_add_co_u32_e32 v48, vcc, s5, v36
	v_addc_co_u32_e32 v16, vcc, v16, v37, vcc
	v_add_co_u32_e32 v114, vcc, v48, v103
	v_addc_co_u32_e32 v115, vcc, 0, v16, vcc
	v_mov_b32_e32 v16, s19
	v_add_co_u32_e32 v107, vcc, s5, v38
	v_addc_co_u32_e32 v16, vcc, v16, v39, vcc
	global_load_dwordx4 v[48:51], v[112:113], off offset:128
	global_load_dwordx4 v[108:111], v[114:115], off
	v_add_co_u32_e32 v112, vcc, v107, v103
	v_addc_co_u32_e32 v113, vcc, 0, v16, vcc
	global_load_dwordx4 v[112:115], v[112:113], off
	s_mul_hi_i32 s9, s4, s14
	s_mul_i32 s8, s4, s14
	s_lshl_b64 s[8:9], s[8:9], 2
	s_add_u32 s5, s6, s8
	s_addc_u32 s19, s7, s9
	s_waitcnt vmcnt(2)
	ds_write_b128 v99, v[48:51]
	s_waitcnt vmcnt(1)
	ds_write_b128 v100, v[108:111]
	;; [unrolled: 2-line block ×3, first 2 shown]
	s_waitcnt lgkmcnt(0)
	s_barrier
	ds_read2_b64 v[48:51], v87 offset1:4
	s_waitcnt lgkmcnt(0)
	v_mfma_f32_16x16x16f16 v[108:111], v[48:49], v[8:9], 0
	v_mfma_f32_16x16x16f16 v[48:51], v[50:51], v[10:11], v[108:111]
	s_nop 7
	s_nop 1
	ds_read2_b64 v[108:111], v87 offset0:8 offset1:12
	s_waitcnt lgkmcnt(0)
	v_mfma_f32_16x16x16f16 v[48:51], v[108:109], v[4:5], v[48:51]
	v_mfma_f32_16x16x16f16 v[48:51], v[110:111], v[6:7], v[48:51]
	ds_read2_b64 v[108:111], v87 offset0:16 offset1:20
	s_waitcnt lgkmcnt(0)
	v_mfma_f32_16x16x16f16 v[48:51], v[108:109], v[0:1], v[48:51]
	ds_read_b64 v[108:109], v87 offset:192
	s_waitcnt lgkmcnt(0)
	s_barrier
	v_mfma_f32_16x16x16f16 v[48:51], v[110:111], v[2:3], v[48:51]
	ds_read2_b32 v[110:111], v19 offset1:1
	s_waitcnt lgkmcnt(0)
	v_cvt_f32_f16_e32 v112, v111
	v_cvt_f32_f16_sdwa v113, v111 dst_sel:DWORD dst_unused:UNUSED_PAD src0_sel:WORD_1
	v_cvt_f32_f16_e32 v114, v110
	v_cvt_f32_f16_sdwa v115, v110 dst_sel:DWORD dst_unused:UNUSED_PAD src0_sel:WORD_1
	v_mfma_f32_16x16x16f16 v[108:111], v[108:109], v[14:15], v[48:51]
	s_nop 7
	s_nop 2
	v_pk_add_f32 v[50:51], v[108:109], v[114:115]
	v_pk_add_f32 v[48:49], v[110:111], v[112:113]
	v_add_f32_e32 v108, 0x40051340, v50
	v_add_f32_e32 v109, 0x40051340, v51
	;; [unrolled: 1-line block ×4, first 2 shown]
	v_max3_f32 v108, v106, v108, v109
	v_max3_f32 v16, v108, v16, v107
	ds_bpermute_b32 v107, v88, v16
	s_waitcnt lgkmcnt(0)
	v_max_f32_e32 v107, v107, v107
	v_max_f32_e32 v16, v16, v107
	ds_bpermute_b32 v107, v89, v16
	s_and_saveexec_b64 s[8:9], s[0:1]
	s_cbranch_execz .LBB19_247
; %bb.246:                              ;   in Loop: Header=BB19_243 Depth=1
	v_mov_b32_e32 v108, s19
	v_add_co_u32_e32 v109, vcc, s5, v40
	v_addc_co_u32_e32 v110, vcc, v108, v41, vcc
	v_lshlrev_b32_e32 v108, 2, v26
	v_add_co_u32_e32 v108, vcc, v109, v108
	v_addc_co_u32_e32 v109, vcc, 0, v110, vcc
	global_load_dwordx4 v[108:111], v[108:109], off offset:192
	s_waitcnt vmcnt(0)
	ds_write_b128 v86, v[108:111]
.LBB19_247:                             ;   in Loop: Header=BB19_243 Depth=1
	s_or_b64 exec, exec, s[8:9]
	s_waitcnt lgkmcnt(0)
	v_max_f32_e32 v107, v107, v107
	v_max_f32_e32 v16, v16, v16
	v_max_f32_e32 v16, v16, v107
	v_pk_add_f32 v[50:51], v[50:51], v[16:17] op_sel_hi:[1,0] neg_lo:[0,1] neg_hi:[0,1]
	v_mul_f32_e32 v107, 0x3fb8aa3b, v51
	v_fma_f32 v108, v51, s2, -v107
	v_rndne_f32_e32 v109, v107
	v_fmac_f32_e32 v108, 0x32a5705f, v51
	v_sub_f32_e32 v107, v107, v109
	v_add_f32_e32 v107, v107, v108
	v_exp_f32_e32 v107, v107
	v_cvt_i32_f32_e32 v108, v109
	v_add_co_u32_e32 v109, vcc, s5, v42
	v_mul_f32_e32 v120, 0x3fb8aa3b, v50
	v_ldexp_f32 v107, v107, v108
	v_mov_b32_e32 v108, s19
	v_addc_co_u32_e32 v108, vcc, v108, v43, vcc
	v_add_co_u32_e32 v116, vcc, v109, v102
	v_addc_co_u32_e32 v117, vcc, 0, v108, vcc
	v_mov_b32_e32 v108, s19
	v_add_co_u32_e32 v109, vcc, s5, v44
	v_addc_co_u32_e32 v108, vcc, v108, v45, vcc
	v_add_co_u32_e32 v118, vcc, v109, v103
	v_addc_co_u32_e32 v119, vcc, 0, v108, vcc
	global_load_dwordx4 v[108:111], v[116:117], off offset:128
	global_load_dwordx4 v[112:115], v[118:119], off
	v_mov_b32_e32 v116, s19
	v_add_co_u32_e32 v117, vcc, s5, v46
	v_addc_co_u32_e32 v118, vcc, v116, v47, vcc
	v_add_co_u32_e32 v116, vcc, v117, v103
	v_addc_co_u32_e32 v117, vcc, 0, v118, vcc
	global_load_dwordx4 v[116:119], v[116:117], off
	v_fma_f32 v121, v50, s2, -v120
	v_rndne_f32_e32 v122, v120
	v_fmac_f32_e32 v121, 0x32a5705f, v50
	v_sub_f32_e32 v120, v120, v122
	v_add_f32_e32 v120, v120, v121
	v_exp_f32_e32 v120, v120
	v_cvt_i32_f32_e32 v121, v122
	v_cmp_ngt_f32_e32 vcc, s15, v51
	v_cndmask_b32_e32 v107, 0, v107, vcc
	v_cmp_nlt_f32_e32 vcc, s16, v51
	v_pk_add_f32 v[48:49], v[48:49], v[16:17] op_sel_hi:[1,0] neg_lo:[0,1] neg_hi:[0,1]
	v_cndmask_b32_e32 v51, v104, v107, vcc
	v_ldexp_f32 v107, v120, v121
	v_mul_f32_e32 v120, 0x3fb8aa3b, v49
	v_fma_f32 v121, v49, s2, -v120
	v_rndne_f32_e32 v122, v120
	v_fmac_f32_e32 v121, 0x32a5705f, v49
	v_sub_f32_e32 v120, v120, v122
	v_add_f32_e32 v120, v120, v121
	v_exp_f32_e32 v120, v120
	v_cvt_i32_f32_e32 v121, v122
	v_cmp_ngt_f32_e32 vcc, s15, v50
	v_cndmask_b32_e32 v107, 0, v107, vcc
	v_cmp_nlt_f32_e32 vcc, s16, v50
	v_cndmask_b32_e32 v50, v104, v107, vcc
	v_ldexp_f32 v107, v120, v121
	v_mul_f32_e32 v120, 0x3fb8aa3b, v48
	v_fma_f32 v121, v48, s2, -v120
	v_rndne_f32_e32 v122, v120
	v_fmac_f32_e32 v121, 0x32a5705f, v48
	v_sub_f32_e32 v120, v120, v122
	v_add_f32_e32 v120, v120, v121
	v_exp_f32_e32 v120, v120
	v_cvt_i32_f32_e32 v121, v122
	v_cmp_ngt_f32_e32 vcc, s15, v49
	v_cndmask_b32_e32 v107, 0, v107, vcc
	v_cmp_nlt_f32_e32 vcc, s16, v49
	v_sub_f32_e32 v106, v106, v16
	v_cndmask_b32_e32 v49, v104, v107, vcc
	v_ldexp_f32 v107, v120, v121
	v_mul_f32_e32 v120, 0x3fb8aa3b, v106
	v_fma_f32 v121, v106, s2, -v120
	v_rndne_f32_e32 v122, v120
	v_fmac_f32_e32 v121, 0x32a5705f, v106
	v_sub_f32_e32 v120, v120, v122
	v_add_f32_e32 v120, v120, v121
	v_exp_f32_e32 v120, v120
	v_cvt_i32_f32_e32 v121, v122
	v_cmp_ngt_f32_e32 vcc, s15, v48
	v_cndmask_b32_e32 v107, 0, v107, vcc
	v_cmp_nlt_f32_e32 vcc, s16, v48
	v_cndmask_b32_e32 v107, v104, v107, vcc
	v_ldexp_f32 v120, v120, v121
	v_cmp_ngt_f32_e32 vcc, s15, v106
	v_cndmask_b32_e32 v120, 0, v120, vcc
	v_cmp_nlt_f32_e32 vcc, s16, v106
	v_cndmask_b32_e32 v120, v104, v120, vcc
	v_cmp_le_f32_e32 vcc, s17, v106
	v_cndmask_b32_e32 v106, 0, v120, vcc
	v_cvt_f16_f32_e32 v120, v106
	v_add_f32_e32 v48, v50, v51
	s_waitcnt vmcnt(2)
	ds_write_b128 v99, v[108:111]
	s_waitcnt vmcnt(1)
	ds_write_b128 v100, v[112:115]
	;; [unrolled: 2-line block ×3, first 2 shown]
	v_pk_mul_f16 v125, v120, v68 op_sel_hi:[0,1]
	v_cvt_f16_f32_e32 v68, v50
	s_waitcnt lgkmcnt(0)
	s_barrier
	ds_read_u16 v50, v91 offset:240
	v_add_f32_e32 v48, v107, v48
	v_add_f32_e32 v48, v49, v48
	v_pk_mul_f16 v79, v120, v79 op_sel_hi:[0,1]
	v_fmac_f32_e32 v48, v105, v106
	v_pk_mul_f16 v105, v120, v63 op_sel_hi:[0,1]
	v_pk_mul_f16 v106, v120, v62 op_sel_hi:[0,1]
	;; [unrolled: 1-line block ×5, first 2 shown]
	v_cvt_f16_f32_e32 v66, v51
	v_cvt_f16_f32_e32 v69, v107
	v_cvt_f32_f16_e32 v62, v79
	v_cvt_f32_f16_sdwa v63, v79 dst_sel:DWORD dst_unused:UNUSED_PAD src0_sel:WORD_1
	ds_read_u16 v51, v91 offset:480
	ds_read_u16 v65, v92
	ds_read_u16 v79, v92 offset:32
	ds_read_u16 v107, v92 offset:64
	;; [unrolled: 1-line block ×6, first 2 shown]
	v_pk_mul_f16 v78, v120, v78 op_sel_hi:[0,1]
	v_cvt_f16_f32_e32 v49, v49
	s_waitcnt lgkmcnt(6)
	v_perm_b32 v51, v65, v51, s18
	ds_read_u16 v65, v90
	ds_read_u16 v108, v90 offset:32
	ds_read_u16 v110, v90 offset:64
	;; [unrolled: 1-line block ×6, first 2 shown]
	s_waitcnt lgkmcnt(6)
	v_perm_b32 v50, v50, v65, s18
	v_pk_mul_f16 v121, v120, v64 op_sel_hi:[0,1]
	v_cvt_f32_f16_e32 v64, v78
	v_cvt_f32_f16_sdwa v65, v78 dst_sel:DWORD dst_unused:UNUSED_PAD src0_sel:WORD_1
	v_pack_b32_f16 v114, v68, v66
	v_pack_b32_f16 v115, v69, v49
	v_pk_mul_f16 v80, v120, v80 op_sel_hi:[0,1]
	v_pk_mul_f16 v67, v120, v67 op_sel_hi:[0,1]
	v_mfma_f32_16x16x16f16 v[62:65], v[50:51], v[114:115], v[62:65]
	v_pk_mul_f16 v70, v120, v70 op_sel_hi:[0,1]
	v_pk_mul_f16 v59, v120, v59 op_sel_hi:[0,1]
	;; [unrolled: 1-line block ×3, first 2 shown]
	s_add_i32 s76, s76, 1
	v_cmp_lt_i32_e32 vcc, s76, v82
	s_and_b64 vcc, exec, vcc
	s_add_i32 s4, s4, 64
	s_nop 3
	v_cvt_f16_f32_e32 v49, v62
	v_cvt_f16_f32_e32 v66, v63
	v_cvt_f32_f16_e32 v62, v80
	v_cvt_f32_f16_sdwa v63, v80 dst_sel:DWORD dst_unused:UNUSED_PAD src0_sel:WORD_1
	ds_read_u16 v50, v93 offset:240
	ds_read_u16 v51, v93 offset:480
	;; [unrolled: 1-line block ×8, first 2 shown]
	s_waitcnt lgkmcnt(6)
	v_perm_b32 v51, v79, v51, s18
	v_perm_b32 v50, v50, v108, s18
	v_cvt_f16_f32_e32 v68, v64
	v_cvt_f16_f32_e32 v69, v65
	v_cvt_f32_f16_e32 v64, v67
	v_cvt_f32_f16_sdwa v65, v67 dst_sel:DWORD dst_unused:UNUSED_PAD src0_sel:WORD_1
	v_pack_b32_f16 v79, v49, v66
	v_pack_b32_f16 v78, v68, v69
	v_mfma_f32_16x16x16f16 v[62:65], v[50:51], v[114:115], v[62:65]
	s_waitcnt lgkmcnt(4)
	v_perm_b32 v51, v107, v112, s18
	v_perm_b32 v50, v80, v110, s18
	v_cvt_f32_f16_e32 v66, v105
	v_cvt_f32_f16_sdwa v67, v105 dst_sel:DWORD dst_unused:UNUSED_PAD src0_sel:WORD_1
	v_cvt_f32_f16_e32 v68, v106
	v_cvt_f32_f16_sdwa v69, v106 dst_sel:DWORD dst_unused:UNUSED_PAD src0_sel:WORD_1
	v_cvt_f32_f16_e32 v106, v121
	s_nop 2
	v_cvt_f16_f32_e32 v49, v62
	v_cvt_f16_f32_e32 v62, v63
	;; [unrolled: 1-line block ×4, first 2 shown]
	v_cvt_f32_f16_sdwa v107, v121 dst_sel:DWORD dst_unused:UNUSED_PAD src0_sel:WORD_1
	v_pack_b32_f16 v80, v49, v62
	v_mfma_f32_16x16x16f16 v[62:65], v[50:51], v[114:115], v[66:69]
	s_waitcnt lgkmcnt(2)
	v_perm_b32 v51, v109, v128, s18
	v_perm_b32 v50, v127, v111, s18
	v_cvt_f32_f16_e32 v108, v122
	v_cvt_f32_f16_sdwa v109, v122 dst_sel:DWORD dst_unused:UNUSED_PAD src0_sel:WORD_1
	v_cvt_f32_f16_sdwa v111, v123 dst_sel:DWORD dst_unused:UNUSED_PAD src0_sel:WORD_1
	s_nop 0
	v_pack_b32_f16 v67, v105, v110
	v_cvt_f32_f16_e32 v110, v123
	v_mfma_f32_16x16x16f16 v[106:109], v[50:51], v[114:115], v[106:109]
	s_waitcnt lgkmcnt(0)
	v_perm_b32 v51, v113, v130, s18
	v_perm_b32 v50, v129, v118, s18
	v_cvt_f16_f32_e32 v49, v62
	v_cvt_f16_f32_e32 v62, v63
	;; [unrolled: 1-line block ×4, first 2 shown]
	v_cvt_f32_f16_e32 v112, v124
	v_cvt_f32_f16_sdwa v113, v124 dst_sel:DWORD dst_unused:UNUSED_PAD src0_sel:WORD_1
	v_pack_b32_f16 v63, v49, v62
	v_pack_b32_f16 v62, v64, v65
	v_cvt_f16_f32_e32 v49, v106
	v_cvt_f16_f32_e32 v64, v107
	;; [unrolled: 1-line block ×4, first 2 shown]
	v_mfma_f32_16x16x16f16 v[106:109], v[50:51], v[114:115], v[110:113]
	ds_read_u16 v50, v97 offset:240
	ds_read_u16 v51, v97 offset:480
	v_pack_b32_f16 v64, v49, v64
	v_pack_b32_f16 v69, v65, v66
	s_waitcnt lgkmcnt(1)
	v_perm_b32 v50, v50, v119, s18
	s_waitcnt lgkmcnt(0)
	v_perm_b32 v51, v116, v51, s18
	v_cvt_f32_f16_sdwa v111, v59 dst_sel:DWORD dst_unused:UNUSED_PAD src0_sel:WORD_1
	s_nop 1
	v_cvt_f16_f32_e32 v49, v106
	v_cvt_f16_f32_e32 v68, v107
	;; [unrolled: 1-line block ×4, first 2 shown]
	v_cvt_f32_f16_e32 v106, v70
	v_cvt_f32_f16_sdwa v107, v70 dst_sel:DWORD dst_unused:UNUSED_PAD src0_sel:WORD_1
	v_cvt_f32_f16_e32 v108, v125
	v_cvt_f32_f16_sdwa v109, v125 dst_sel:DWORD dst_unused:UNUSED_PAD src0_sel:WORD_1
	ds_read_u16 v70, v98 offset:240
	ds_read_u16 v113, v98 offset:480
	v_mfma_f32_16x16x16f16 v[106:109], v[50:51], v[114:115], v[106:109]
	s_waitcnt lgkmcnt(1)
	v_perm_b32 v50, v70, v126, s18
	s_waitcnt lgkmcnt(0)
	v_perm_b32 v51, v117, v113, s18
	v_pack_b32_f16 v65, v105, v110
	v_cvt_f32_f16_e32 v110, v59
	v_cvt_f32_f16_e32 v112, v58
	v_cvt_f32_f16_sdwa v113, v58 dst_sel:DWORD dst_unused:UNUSED_PAD src0_sel:WORD_1
	v_pack_b32_f16 v66, v49, v68
	s_nop 1
	v_cvt_f16_f32_e32 v49, v106
	v_cvt_f16_f32_e32 v58, v107
	;; [unrolled: 1-line block ×4, first 2 shown]
	v_mfma_f32_16x16x16f16 v[106:109], v[50:51], v[114:115], v[110:113]
	v_pack_b32_f16 v70, v49, v58
	v_pack_b32_f16 v68, v59, v68
	s_barrier
	s_nop 7
	v_cvt_f16_f32_e32 v50, v106
	v_cvt_f16_f32_e32 v51, v107
	;; [unrolled: 1-line block ×4, first 2 shown]
	v_pack_b32_f16 v59, v50, v51
	v_pack_b32_f16 v58, v105, v106
	s_cbranch_vccz .LBB19_249
; %bb.248:                              ;   in Loop: Header=BB19_243 Depth=1
	v_mov_b32_e32 v105, v48
	v_mov_b32_e32 v106, v16
	s_branch .LBB19_243
.LBB19_249:
	s_lshl_b32 s4, s76, 6
	s_ashr_i32 s5, s4, 31
	s_lshl_b64 s[0:1], s[4:5], 1
	s_add_u32 s0, s12, s0
	s_addc_u32 s1, s13, s1
	v_lshlrev_b64 v[24:25], 1, v[24:25]
	v_mov_b32_e32 v19, s1
	v_add_co_u32_e32 v26, vcc, s0, v24
	v_addc_co_u32_e32 v19, vcc, v19, v25, vcc
	v_lshlrev_b64 v[24:25], 1, v[22:23]
	v_add_co_u32_e32 v24, vcc, v26, v24
	v_addc_co_u32_e32 v25, vcc, v19, v25, vcc
	global_load_dword v19, v[24:25], off
	s_mul_hi_u32 s1, s34, s4
	s_mul_i32 s2, s3, s4
	s_mul_i32 s3, s34, s5
	s_add_i32 s1, s1, s3
	s_mul_i32 s0, s34, s4
	s_add_i32 s1, s1, s2
	s_lshl_b64 s[0:1], s[0:1], 2
	v_lshlrev_b32_e32 v22, 1, v22
	s_add_u32 s5, s10, s0
	v_add3_u32 v22, 0, v81, v22
	s_addc_u32 s8, s11, s1
	v_cmp_gt_u32_e32 vcc, 64, v71
                                        ; implicit-def: $vgpr32
	s_waitcnt vmcnt(0)
	ds_write_b32 v22, v19 offset:15360
                                        ; implicit-def: $vgpr19
                                        ; implicit-def: $vgpr22
	s_and_saveexec_b64 s[0:1], vcc
	s_xor_b64 s[2:3], exec, s[0:1]
	s_cbranch_execz .LBB19_251
; %bb.250:
	v_mul_lo_u32 v22, v71, s34
	v_ashrrev_i32_e32 v23, 31, v22
	v_lshlrev_b64 v[22:23], 2, v[22:23]
	v_mov_b32_e32 v19, s8
	v_add_co_u32_e64 v22, s[0:1], s5, v22
	v_addc_co_u32_e64 v23, s[0:1], v19, v23, s[0:1]
	v_lshlrev_b32_e32 v19, 2, v29
	v_and_b32_e32 v24, 4, v19
	v_lshlrev_b32_e32 v25, 2, v24
	v_add_co_u32_e64 v22, s[0:1], v22, v25
	v_addc_co_u32_e64 v23, s[0:1], 0, v23, s[0:1]
	global_load_dwordx4 v[34:37], v[22:23], off offset:192
	v_mul_i32_i24_e32 v32, 0xf0, v71
	v_or_b32_e32 v22, 48, v24
	v_add3_u32 v24, 0, v32, v25
	v_mov_b32_e32 v23, 0
	s_waitcnt vmcnt(0)
	ds_write_b128 v24, v[34:37] offset:192
.LBB19_251:
	s_andn2_saveexec_b64 s[0:1], s[2:3]
; %bb.252:
	v_lshlrev_b32_e32 v19, 2, v29
	v_mul_i32_i24_e32 v32, 0xf0, v71
	v_and_or_b32 v22, v19, 4, 48
	v_mov_b32_e32 v23, 0
; %bb.253:
	s_or_b64 exec, exec, s[0:1]
	v_add_u32_e32 v26, v57, v27
	v_mul_lo_u32 v24, s34, v26
	v_ashrrev_i32_e32 v25, 31, v24
	v_lshlrev_b64 v[24:25], 2, v[24:25]
	v_mov_b32_e32 v33, s8
	v_add_co_u32_e64 v24, s[0:1], s5, v24
	v_addc_co_u32_e64 v33, s[0:1], v33, v25, s[0:1]
	v_and_b32_e32 v25, 12, v19
	v_lshlrev_b32_e32 v25, 2, v25
	v_add_co_u32_e64 v42, s[0:1], v24, v25
	v_addc_co_u32_e64 v43, s[0:1], 0, v33, s[0:1]
	v_and_b32_e32 v19, 28, v19
	v_lshlrev_b64 v[20:21], 2, v[20:21]
	v_lshlrev_b32_e32 v24, 2, v19
	v_mov_b32_e32 v19, s8
	v_add_co_u32_e64 v20, s[0:1], s5, v20
	v_addc_co_u32_e64 v19, s[0:1], v19, v21, s[0:1]
	v_add_co_u32_e64 v20, s[0:1], v20, v24
	v_addc_co_u32_e64 v21, s[0:1], 0, v19, s[0:1]
	v_ashrrev_i32_e32 v19, 31, v18
	v_lshlrev_b64 v[18:19], 2, v[18:19]
	global_load_dwordx4 v[34:37], v[42:43], off offset:128
	global_load_dwordx4 v[38:41], v[20:21], off
	v_mov_b32_e32 v20, s8
	v_add_co_u32_e64 v18, s[0:1], s5, v18
	v_addc_co_u32_e64 v19, s[0:1], v20, v19, s[0:1]
	v_add_co_u32_e64 v18, s[0:1], v18, v24
	v_addc_co_u32_e64 v19, s[0:1], 0, v19, s[0:1]
	global_load_dwordx4 v[42:45], v[18:19], off
	s_movk_i32 s0, 0xf0
	v_and_b32_e32 v20, 48, v57
	v_mul_u32_u24_e32 v21, 0xf0, v26
	v_mad_u32_u24 v18, v20, s0, 0
	v_mul_u32_u24_e32 v19, 0xf0, v61
	v_add3_u32 v33, 0, v21, v25
	v_add3_u32 v21, v18, v72, v74
	;; [unrolled: 1-line block ×3, first 2 shown]
	s_movk_i32 s0, 0x90
	s_movk_i32 s1, 0x3c00
	s_waitcnt vmcnt(2)
	ds_write_b128 v33, v[34:37] offset:128
	s_waitcnt vmcnt(1)
	ds_write_b128 v19, v[38:41]
	s_waitcnt vmcnt(0)
	ds_write_b128 v19, v[42:45] offset:7680
	s_waitcnt lgkmcnt(0)
	s_barrier
	ds_read2_b64 v[34:37], v21 offset1:4
	s_waitcnt lgkmcnt(0)
	v_mfma_f32_16x16x16f16 v[38:41], v[34:35], v[8:9], 0
	v_mbcnt_hi_u32_b32 v42, -1, v76
	v_xor_b32_e32 v43, 32, v42
	v_mfma_f32_16x16x16f16 v[8:11], v[36:37], v[10:11], v[38:41]
	ds_read2_b64 v[34:37], v21 offset0:8 offset1:12
	s_waitcnt lgkmcnt(0)
	v_mfma_f32_16x16x16f16 v[8:11], v[34:35], v[4:5], v[8:11]
	s_nop 4
	ds_read2_b64 v[38:41], v21 offset0:16 offset1:20
	v_and_b32_e32 v4, 0xfc, v27
	v_lshrrev_b32_e32 v5, 1, v77
	v_mad_u32_u24 v5, v5, s0, 0
	v_and_b32_e32 v34, 64, v42
	v_mfma_f32_16x16x16f16 v[6:9], v[36:37], v[6:7], v[8:11]
	s_waitcnt lgkmcnt(0)
	v_mfma_f32_16x16x16f16 v[6:9], v[38:39], v[0:1], v[6:9]
	s_nop 4
	v_add_u16_e32 v10, v20, v4
	v_lshrrev_b16_e32 v10, 1, v10
	v_lshlrev_b32_e32 v0, 2, v10
	v_add3_u32 v0, v5, v0, s1
	ds_read_b64 v[10:11], v21 offset:192
	s_waitcnt lgkmcnt(0)
	s_barrier
	ds_read2_b32 v[20:21], v0 offset1:1
	v_mfma_f32_16x16x16f16 v[0:3], v[40:41], v[2:3], v[6:9]
	v_add_u32_e32 v39, 64, v34
	v_cmp_lt_i32_e64 s[0:1], v43, v39
	v_add_u32_e32 v5, 0x80, v33
	s_waitcnt lgkmcnt(0)
	v_cvt_f32_f16_e32 v36, v20
	v_cvt_f32_f16_sdwa v37, v20 dst_sel:DWORD dst_unused:UNUSED_PAD src0_sel:WORD_1
	v_cvt_f32_f16_e32 v34, v21
	v_cvt_f32_f16_sdwa v35, v21 dst_sel:DWORD dst_unused:UNUSED_PAD src0_sel:WORD_1
	v_mfma_f32_16x16x16f16 v[6:9], v[10:11], v[14:15], v[0:3]
	v_xor_b32_e32 v38, 16, v42
	s_nop 5
	v_cndmask_b32_e64 v0, v42, v43, s[0:1]
	s_nop 2
	v_pk_add_f32 v[2:3], v[6:7], v[36:37]
	v_lshlrev_b32_e32 v33, 2, v0
	v_pk_add_f32 v[0:1], v[8:9], v[34:35]
	v_add_f32_e32 v8, 0x40051340, v2
	v_add_f32_e32 v9, 0x40051340, v3
	;; [unrolled: 1-line block ×4, first 2 shown]
	v_max3_f32 v8, v16, v8, v9
	v_max3_f32 v7, v8, v6, v7
	ds_bpermute_b32 v8, v33, v7
	v_cmp_lt_i32_e64 s[0:1], v38, v39
	v_cndmask_b32_e64 v9, v42, v38, s[0:1]
	v_lshlrev_b32_e32 v35, 2, v9
	s_mul_hi_i32 s1, s4, s14
	s_waitcnt lgkmcnt(0)
	v_max_f32_e32 v8, v8, v8
	v_max_f32_e32 v7, v7, v8
	ds_bpermute_b32 v8, v35, v7
	s_mul_i32 s0, s4, s14
	s_lshl_b64 s[0:1], s[0:1], 2
	s_add_u32 s2, s6, s0
	v_add_u32_e32 v6, 0x1e00, v19
	s_addc_u32 s3, s7, s1
	s_and_saveexec_b64 s[0:1], vcc
	s_cbranch_execz .LBB19_255
; %bb.254:
	v_mul_lo_u32 v10, v71, s14
	v_ashrrev_i32_e32 v11, 31, v10
	v_lshlrev_b64 v[10:11], 2, v[10:11]
	v_mov_b32_e32 v9, s3
	v_add_co_u32_e32 v14, vcc, s2, v10
	v_addc_co_u32_e32 v9, vcc, v9, v11, vcc
	v_lshlrev_b64 v[10:11], 2, v[22:23]
	v_add_co_u32_e32 v10, vcc, v14, v10
	v_addc_co_u32_e32 v11, vcc, v9, v11, vcc
	global_load_dwordx4 v[36:39], v[10:11], off
	v_lshlrev_b32_e32 v9, 2, v22
	v_add3_u32 v9, 0, v32, v9
	s_waitcnt vmcnt(0)
	ds_write_b128 v9, v[36:39]
.LBB19_255:
	s_or_b64 exec, exec, s[0:1]
	s_waitcnt lgkmcnt(0)
	v_max_f32_e32 v8, v8, v8
	v_max_f32_e32 v7, v7, v7
	;; [unrolled: 1-line block ×3, first 2 shown]
	v_pk_add_f32 v[2:3], v[2:3], v[32:33] op_sel_hi:[1,0] neg_lo:[0,1] neg_hi:[0,1]
	s_mov_b32 s0, 0x3fb8aa3b
	v_mul_f32_e32 v7, 0x3fb8aa3b, v3
	v_fma_f32 v8, v3, s0, -v7
	v_rndne_f32_e32 v9, v7
	v_fmac_f32_e32 v8, 0x32a5705f, v3
	v_sub_f32_e32 v7, v7, v9
	v_add_f32_e32 v7, v7, v8
	v_exp_f32_e32 v7, v7
	v_cvt_i32_f32_e32 v8, v9
	v_mov_b32_e32 v10, s3
	v_mul_lo_u32 v20, s14, v60
	v_ashrrev_i32_e32 v21, 31, v20
	v_ldexp_f32 v7, v7, v8
	v_mul_lo_u32 v8, s14, v26
	v_ashrrev_i32_e32 v9, 31, v8
	v_lshlrev_b64 v[8:9], 2, v[8:9]
	v_add_co_u32_e32 v8, vcc, s2, v8
	v_addc_co_u32_e32 v9, vcc, v10, v9, vcc
	v_add_co_u32_e32 v22, vcc, v8, v25
	v_addc_co_u32_e32 v23, vcc, 0, v9, vcc
	v_lshlrev_b64 v[8:9], 2, v[12:13]
	v_add_co_u32_e32 v8, vcc, s2, v8
	v_addc_co_u32_e32 v9, vcc, v10, v9, vcc
	v_add_co_u32_e32 v36, vcc, v8, v24
	v_addc_co_u32_e32 v37, vcc, 0, v9, vcc
	v_lshlrev_b64 v[20:21], 2, v[20:21]
	global_load_dwordx4 v[8:11], v[22:23], off offset:128
	global_load_dwordx4 v[12:15], v[36:37], off
	v_mov_b32_e32 v22, s3
	v_add_co_u32_e32 v20, vcc, s2, v20
	v_addc_co_u32_e32 v21, vcc, v22, v21, vcc
	v_add_co_u32_e32 v20, vcc, v20, v24
	v_addc_co_u32_e32 v21, vcc, 0, v21, vcc
	global_load_dwordx4 v[20:23], v[20:21], off
	v_mul_f32_e32 v24, 0x3fb8aa3b, v2
	v_fma_f32 v25, v2, s0, -v24
	v_rndne_f32_e32 v26, v24
	v_fmac_f32_e32 v25, 0x32a5705f, v2
	v_sub_f32_e32 v24, v24, v26
	v_add_f32_e32 v24, v24, v25
	s_mov_b32 s1, 0xc2ce8ed0
	v_exp_f32_e32 v24, v24
	v_cvt_i32_f32_e32 v25, v26
	v_cmp_ngt_f32_e32 vcc, s1, v3
	s_mov_b32 s2, 0x42b17218
	v_cndmask_b32_e32 v7, 0, v7, vcc
	v_mov_b32_e32 v26, 0x7f800000
	v_cmp_nlt_f32_e32 vcc, s2, v3
	v_pk_add_f32 v[0:1], v[0:1], v[32:33] op_sel_hi:[1,0] neg_lo:[0,1] neg_hi:[0,1]
	v_cndmask_b32_e32 v34, v26, v7, vcc
	v_mul_f32_e32 v7, 0x3fb8aa3b, v1
	v_ldexp_f32 v3, v24, v25
	v_fma_f32 v24, v1, s0, -v7
	v_rndne_f32_e32 v25, v7
	v_fmac_f32_e32 v24, 0x32a5705f, v1
	v_sub_f32_e32 v7, v7, v25
	v_add_f32_e32 v7, v7, v24
	v_exp_f32_e32 v7, v7
	v_cvt_i32_f32_e32 v24, v25
	v_cmp_ngt_f32_e32 vcc, s1, v2
	v_cndmask_b32_e32 v3, 0, v3, vcc
	v_cmp_nlt_f32_e32 vcc, s2, v2
	v_cndmask_b32_e32 v25, v26, v3, vcc
	v_mul_f32_e32 v3, 0x3fb8aa3b, v0
	v_ldexp_f32 v2, v7, v24
	v_fma_f32 v7, v0, s0, -v3
	v_rndne_f32_e32 v24, v3
	v_fmac_f32_e32 v7, 0x32a5705f, v0
	v_sub_f32_e32 v3, v3, v24
	v_sub_f32_e32 v16, v16, v32
	v_add_f32_e32 v3, v3, v7
	v_cvt_i32_f32_e32 v7, v24
	v_mul_f32_e32 v24, 0x3fb8aa3b, v16
	v_fma_f32 v36, v16, s0, -v24
	v_rndne_f32_e32 v37, v24
	v_fmac_f32_e32 v36, 0x32a5705f, v16
	v_sub_f32_e32 v24, v24, v37
	v_add_f32_e32 v24, v24, v36
	v_exp_f32_e32 v24, v24
	v_cvt_i32_f32_e32 v36, v37
	v_cmp_ngt_f32_e32 vcc, s1, v1
	v_cndmask_b32_e32 v2, 0, v2, vcc
	v_exp_f32_e32 v3, v3
	v_cmp_nlt_f32_e32 vcc, s2, v1
	v_cndmask_b32_e32 v38, v26, v2, vcc
	v_ldexp_f32 v2, v24, v36
	v_cmp_ngt_f32_e32 vcc, s1, v16
	v_cndmask_b32_e32 v2, 0, v2, vcc
	v_cmp_nlt_f32_e32 vcc, s2, v16
	s_mov_b32 s0, 0xc1a00000
	v_cndmask_b32_e32 v2, v26, v2, vcc
	v_cmp_le_f32_e32 vcc, s0, v16
	v_ldexp_f32 v1, v3, v7
	v_cndmask_b32_e32 v39, 0, v2, vcc
	v_cmp_ngt_f32_e32 vcc, s1, v0
	v_cvt_f16_f32_e32 v40, v39
	v_cndmask_b32_e32 v1, 0, v1, vcc
	v_cmp_nlt_f32_e32 vcc, s2, v0
	v_or_b32_e32 v0, 3, v27
	v_mul_u32_u24_e32 v2, 0x78, v4
	v_mul_u32_u24_e32 v4, 0xf0, v4
	v_mul_u32_u24_e32 v0, 0xf0, v0
	v_or_b32_e32 v2, v2, v28
	s_waitcnt vmcnt(2)
	ds_write_b128 v5, v[8:11]
	s_waitcnt vmcnt(1)
	ds_write_b128 v19, v[12:15]
	s_waitcnt vmcnt(0)
	ds_write_b128 v6, v[20:23]
	v_add3_u32 v10, v18, v4, v17
	s_waitcnt lgkmcnt(0)
	s_barrier
	v_lshl_add_u32 v6, v2, 1, v18
	v_add3_u32 v15, v18, v0, v17
	s_mov_b32 s0, 0x5040100
	ds_read_u16 v4, v10 offset:480
	ds_read_u16 v8, v10 offset:512
	ds_read_u16 v5, v15
	ds_read_u16 v9, v15 offset:32
	ds_read_u16 v11, v15 offset:64
	ds_read_u16 v12, v10 offset:272
	ds_read_u16 v14, v10 offset:304
	ds_read_u16 v18, v10 offset:336
	ds_read_u16 v19, v10 offset:368
	ds_read_u16 v23, v10 offset:400
	ds_read_u16 v41, v10 offset:432
	ds_read_u16 v42, v10 offset:672
	v_cndmask_b32_e32 v24, v26, v1, vcc
	s_waitcnt lgkmcnt(9)
	v_perm_b32 v5, v5, v4, s0
	ds_read_u16 v4, v10 offset:240
	ds_read_u16 v13, v6
	ds_read_u16 v17, v6 offset:32
	ds_read_u16 v20, v6 offset:64
	;; [unrolled: 1-line block ×6, first 2 shown]
	v_pk_mul_f16 v1, v40, v79 op_sel_hi:[0,1]
	v_pk_mul_f16 v3, v40, v78 op_sel_hi:[0,1]
	v_cvt_f16_f32_e32 v16, v34
	v_cvt_f16_f32_e32 v26, v25
	;; [unrolled: 1-line block ×4, first 2 shown]
	s_waitcnt lgkmcnt(6)
	v_perm_b32 v4, v4, v13, s0
	v_cvt_f32_f16_e32 v0, v1
	v_cvt_f32_f16_sdwa v1, v1 dst_sel:DWORD dst_unused:UNUSED_PAD src0_sel:WORD_1
	v_cvt_f32_f16_e32 v2, v3
	v_cvt_f32_f16_sdwa v3, v3 dst_sel:DWORD dst_unused:UNUSED_PAD src0_sel:WORD_1
	v_pk_mul_f16 v7, v40, v80 op_sel_hi:[0,1]
	v_pk_mul_f16 v13, v40, v67 op_sel_hi:[0,1]
	v_pack_b32_f16 v36, v26, v16
	v_pack_b32_f16 v37, v37, v27
	v_perm_b32 v9, v9, v8, s0
	s_waitcnt lgkmcnt(5)
	v_perm_b32 v8, v12, v17, s0
	v_mfma_f32_16x16x16f16 v[0:3], v[4:5], v[36:37], v[0:3]
	v_cvt_f32_f16_e32 v4, v7
	v_cvt_f32_f16_sdwa v5, v7 dst_sel:DWORD dst_unused:UNUSED_PAD src0_sel:WORD_1
	v_cvt_f32_f16_e32 v6, v13
	v_cvt_f32_f16_sdwa v7, v13 dst_sel:DWORD dst_unused:UNUSED_PAD src0_sel:WORD_1
	ds_read_u16 v12, v10 offset:544
	ds_read_u16 v16, v10 offset:576
	;; [unrolled: 1-line block ×4, first 2 shown]
	v_pk_mul_f16 v10, v40, v63 op_sel_hi:[0,1]
	v_pk_mul_f16 v17, v40, v62 op_sel_hi:[0,1]
	v_mfma_f32_16x16x16f16 v[4:7], v[8:9], v[36:37], v[4:7]
	v_cvt_f32_f16_e32 v8, v10
	v_cvt_f32_f16_sdwa v9, v10 dst_sel:DWORD dst_unused:UNUSED_PAD src0_sel:WORD_1
	v_cvt_f32_f16_e32 v10, v17
	s_waitcnt lgkmcnt(3)
	v_perm_b32 v13, v11, v12, s0
	v_cvt_f32_f16_sdwa v11, v17 dst_sel:DWORD dst_unused:UNUSED_PAD src0_sel:WORD_1
	ds_read_u16 v17, v15 offset:96
	v_perm_b32 v12, v14, v20, s0
	v_add_f32_e32 v20, v25, v34
	v_pk_mul_f16 v14, v40, v64 op_sel_hi:[0,1]
	v_pk_mul_f16 v25, v40, v69 op_sel_hi:[0,1]
	s_waitcnt lgkmcnt(0)
	v_perm_b32 v17, v17, v16, s0
	v_perm_b32 v16, v18, v21, s0
	v_mfma_f32_16x16x16f16 v[8:11], v[12:13], v[36:37], v[8:11]
	v_cvt_f32_f16_e32 v12, v14
	v_cvt_f32_f16_sdwa v13, v14 dst_sel:DWORD dst_unused:UNUSED_PAD src0_sel:WORD_1
	v_cvt_f32_f16_e32 v14, v25
	ds_read_u16 v34, v15 offset:128
	ds_read_u16 v45, v15 offset:160
	;; [unrolled: 1-line block ×3, first 2 shown]
	v_cvt_f32_f16_sdwa v15, v25 dst_sel:DWORD dst_unused:UNUSED_PAD src0_sel:WORD_1
	v_add_f32_e32 v24, v24, v20
	v_pk_mul_f16 v18, v40, v66 op_sel_hi:[0,1]
	v_pk_mul_f16 v25, v40, v65 op_sel_hi:[0,1]
	s_waitcnt lgkmcnt(2)
	v_perm_b32 v21, v34, v26, s0
	v_perm_b32 v20, v19, v22, s0
	v_mfma_f32_16x16x16f16 v[12:15], v[16:17], v[36:37], v[12:15]
	v_cvt_f32_f16_e32 v16, v18
	v_cvt_f32_f16_sdwa v17, v18 dst_sel:DWORD dst_unused:UNUSED_PAD src0_sel:WORD_1
	v_cvt_f32_f16_e32 v18, v25
	v_cvt_f32_f16_sdwa v19, v25 dst_sel:DWORD dst_unused:UNUSED_PAD src0_sel:WORD_1
	v_add_f32_e32 v34, v38, v24
	v_pk_mul_f16 v22, v40, v70 op_sel_hi:[0,1]
	v_pk_mul_f16 v26, v40, v68 op_sel_hi:[0,1]
	s_waitcnt lgkmcnt(1)
	v_perm_b32 v25, v45, v27, s0
	v_perm_b32 v24, v23, v43, s0
	v_mfma_f32_16x16x16f16 v[16:19], v[20:21], v[36:37], v[16:19]
	v_cvt_f32_f16_e32 v20, v22
	v_cvt_f32_f16_sdwa v21, v22 dst_sel:DWORD dst_unused:UNUSED_PAD src0_sel:WORD_1
	v_cvt_f32_f16_e32 v22, v26
	v_cvt_f32_f16_sdwa v23, v26 dst_sel:DWORD dst_unused:UNUSED_PAD src0_sel:WORD_1
	v_fmac_f32_e32 v34, v48, v39
	v_pk_mul_f16 v26, v40, v59 op_sel_hi:[0,1]
	v_pk_mul_f16 v27, v40, v58 op_sel_hi:[0,1]
	s_waitcnt lgkmcnt(0)
	v_perm_b32 v39, v46, v42, s0
	v_perm_b32 v38, v41, v44, s0
	v_mfma_f32_16x16x16f16 v[20:23], v[24:25], v[36:37], v[20:23]
	v_cvt_f32_f16_e32 v24, v26
	v_cvt_f32_f16_sdwa v25, v26 dst_sel:DWORD dst_unused:UNUSED_PAD src0_sel:WORD_1
	v_cvt_f32_f16_e32 v26, v27
	v_cvt_f32_f16_sdwa v27, v27 dst_sel:DWORD dst_unused:UNUSED_PAD src0_sel:WORD_1
	ds_bpermute_b32 v40, v33, v34
	v_cmp_gt_u32_e64 s[0:1], 16, v29
	s_waitcnt lgkmcnt(0)
	v_mfma_f32_16x16x16f16 v[24:27], v[38:39], v[36:37], v[24:27]
	s_barrier
	v_add_f32_e32 v34, v34, v40
	ds_bpermute_b32 v36, v35, v34
	s_waitcnt lgkmcnt(0)
	s_and_saveexec_b64 s[2:3], s[0:1]
	s_cbranch_execz .LBB19_257
; %bb.256:
	v_add_f32_e32 v34, v34, v36
	v_or_b32_e32 v36, v57, v29
	s_movk_i32 s4, 0xf0
	v_mad_u32_u24 v36, v36, s4, 0
	ds_write2_b32 v36, v32, v34 offset0:56 offset1:57
.LBB19_257:
	s_or_b64 exec, exec, s[2:3]
	v_cmp_eq_u32_e32 vcc, 0, v75
	v_cmp_ne_u32_e64 s[2:3], 0, v75
	s_waitcnt lgkmcnt(0)
	s_barrier
	s_and_saveexec_b64 s[4:5], s[2:3]
	s_xor_b64 s[2:3], exec, s[4:5]
	s_cbranch_execz .LBB19_259
; %bb.258:
	s_barrier
	s_waitcnt lgkmcnt(0)
                                        ; implicit-def: $vgpr33
                                        ; implicit-def: $vgpr35
                                        ; implicit-def: $vgpr73
.LBB19_259:
	s_andn2_saveexec_b64 s[4:5], s[2:3]
	s_cbranch_execz .LBB19_263
; %bb.260:
	v_add_u32_e32 v32, v57, v29
	s_movk_i32 s2, 0xf0
	v_mad_u32_u24 v38, v32, s2, 0
	ds_read_b64 v[36:37], v38 offset:224
	s_mov_b32 s2, 0x3fb8aa3b
	s_mov_b32 s6, 0x42b17218
	s_mov_b32 s9, 0
	s_waitcnt lgkmcnt(0)
	ds_bpermute_b32 v32, v33, v36
	v_max_f32_e32 v34, v36, v36
	s_barrier
	s_waitcnt lgkmcnt(0)
	v_max_f32_e32 v32, v32, v32
	v_max_f32_e32 v32, v34, v32
	ds_bpermute_b32 v34, v35, v32
	s_waitcnt lgkmcnt(0)
	v_max_f32_e32 v34, v34, v34
	v_max_f32_e32 v32, v32, v34
	v_sub_f32_e32 v34, v36, v32
	v_mul_f32_e32 v36, 0x3fb8aa3b, v34
	v_fma_f32 v39, v34, s2, -v36
	v_rndne_f32_e32 v40, v36
	v_fmac_f32_e32 v39, 0x32a5705f, v34
	v_sub_f32_e32 v36, v36, v40
	v_add_f32_e32 v36, v36, v39
	v_cvt_i32_f32_e32 v40, v40
	v_exp_f32_e32 v36, v36
	s_mov_b32 s2, 0xc2ce8ed0
	v_cmp_ngt_f32_e64 s[2:3], s2, v34
	v_mov_b32_e32 v39, 0x7f800000
	v_ldexp_f32 v36, v36, v40
	v_cndmask_b32_e64 v36, 0, v36, s[2:3]
	v_cmp_nlt_f32_e64 s[2:3], s6, v34
	v_cndmask_b32_e64 v34, v39, v36, s[2:3]
	v_mul_f32_e32 v36, v37, v34
	ds_bpermute_b32 v33, v33, v36
	s_waitcnt lgkmcnt(0)
	v_fmac_f32_e32 v33, v37, v34
	ds_bpermute_b32 v35, v35, v33
	s_waitcnt lgkmcnt(0)
	v_add_f32_e32 v35, v33, v35
	ds_write_b64 v38, v[34:35] offset:224
	s_and_saveexec_b64 s[2:3], s[0:1]
	s_cbranch_execz .LBB19_262
; %bb.261:
	s_add_i32 s0, s35, s44
	s_lshl_b32 s8, s0, 4
	s_lshl_b64 s[0:1], s[8:9], 3
	s_add_u32 s0, s30, s0
	v_or_b32_e32 v33, v73, v29
	s_addc_u32 s1, s31, s1
	v_lshlrev_b32_e32 v34, 3, v33
	v_mov_b32_e32 v33, v35
	global_store_dwordx2 v34, v[32:33], s[0:1]
.LBB19_262:
	s_or_b64 exec, exec, s[2:3]
.LBB19_263:
	s_or_b64 exec, exec, s[4:5]
	v_cvt_f16_f32_e32 v0, v0
	v_cvt_f16_f32_e32 v2, v2
	;; [unrolled: 1-line block ×5, first 2 shown]
	s_mov_b32 s3, 0
	v_pack_b32_f16 v2, v2, v3
	v_pack_b32_f16 v0, v0, v1
	v_cvt_f16_f32_e32 v1, v4
	v_cvt_f16_f32_e32 v3, v5
	;; [unrolled: 1-line block ×7, first 2 shown]
	v_pack_b32_f16 v4, v4, v5
	v_pack_b32_f16 v1, v1, v3
	;; [unrolled: 1-line block ×4, first 2 shown]
	v_cvt_f16_f32_e32 v6, v12
	v_cvt_f16_f32_e32 v7, v13
	;; [unrolled: 1-line block ×8, first 2 shown]
	v_pack_b32_f16 v8, v8, v9
	v_pack_b32_f16 v6, v6, v7
	;; [unrolled: 1-line block ×4, first 2 shown]
	v_cvt_f16_f32_e32 v12, v22
	v_cvt_f16_f32_e32 v13, v23
	;; [unrolled: 1-line block ×8, first 2 shown]
	v_pack_b32_f16 v12, v12, v13
	v_pack_b32_f16 v13, v14, v17
	v_or_b32_e32 v14, v57, v28
	v_mad_u32_u24 v14, v14, 60, v56
	v_lshl_add_u32 v14, v14, 2, 0
	v_pack_b32_f16 v10, v10, v11
	v_pack_b32_f16 v11, v15, v16
	ds_write2_b32 v14, v0, v2 offset1:1
	ds_write2_b32 v14, v1, v4 offset0:8 offset1:9
	ds_write2_b32 v14, v5, v3 offset0:16 offset1:17
	;; [unrolled: 1-line block ×6, first 2 shown]
	s_waitcnt lgkmcnt(0)
	s_barrier
	s_and_saveexec_b64 s[0:1], vcc
	s_cbranch_execz .LBB19_265
; %bb.264:
	s_mul_i32 s2, s44, 0x380
	s_lshl_b64 s[4:5], s[2:3], 3
	s_add_u32 s4, s30, s4
	s_addc_u32 s5, s31, s5
	s_lshl_b32 s2, s35, 5
	v_lshrrev_b32_e32 v0, 1, v55
	s_lshl_b64 s[2:3], s[2:3], 3
	v_add_u32_e32 v12, v54, v0
	s_add_u32 s2, s4, s2
	v_lshlrev_b32_e32 v0, 2, v12
	v_and_b32_e32 v1, 15, v12
	s_movk_i32 s4, 0xfc0
	v_and_or_b32 v0, v0, s4, v1
	s_movk_i32 s4, 0xf0
	v_mad_u32_u24 v2, v0, s4, 0
	v_lshlrev_b32_e32 v14, 2, v30
	v_add_u32_e32 v6, v2, v14
	ds_read2st64_b32 v[0:1], v6 offset1:15
	v_add_u32_e32 v4, 0xe0, v2
	ds_read2st64_b32 v[2:3], v4 offset1:15
	ds_read2st64_b32 v[4:5], v4 offset0:30 offset1:45
	ds_read2st64_b32 v[6:7], v6 offset0:30 offset1:45
	s_addc_u32 s3, s5, s3
	s_movk_i32 s5, 0x1fc0
	s_waitcnt lgkmcnt(3)
	v_cvt_f32_f16_e32 v8, v0
	v_cvt_f32_f16_sdwa v9, v0 dst_sel:DWORD dst_unused:UNUSED_PAD src0_sel:WORD_1
	v_cvt_f32_f16_e32 v0, v1
	v_cvt_f32_f16_sdwa v1, v1 dst_sel:DWORD dst_unused:UNUSED_PAD src0_sel:WORD_1
	s_waitcnt lgkmcnt(0)
	v_cvt_f32_f16_e32 v10, v6
	v_cvt_f32_f16_sdwa v11, v6 dst_sel:DWORD dst_unused:UNUSED_PAD src0_sel:WORD_1
	v_pk_fma_f32 v[8:9], v[2:3], v[8:9], 0 op_sel_hi:[0,1,0]
	v_mov_b32_e32 v2, v3
	v_pk_fma_f32 v[0:1], v[2:3], v[0:1], v[8:9] op_sel_hi:[0,1,1]
	v_pk_fma_f32 v[0:1], v[4:5], v[10:11], v[0:1] op_sel_hi:[0,1,1]
	v_mov_b32_e32 v4, v5
	v_add_u32_e32 v5, 2, v12
	v_cvt_f32_f16_e32 v2, v7
	v_cvt_f32_f16_sdwa v3, v7 dst_sel:DWORD dst_unused:UNUSED_PAD src0_sel:WORD_1
	v_lshlrev_b32_e32 v6, 2, v5
	v_and_b32_e32 v5, 15, v5
	v_and_or_b32 v5, v6, s5, v5
	v_mad_u32_u24 v5, v5, s4, 0
	v_mul_u32_u24_e32 v13, 56, v12
	v_add_u32_e32 v8, v5, v14
	ds_read2st64_b32 v[6:7], v8 offset1:15
	v_pk_fma_f32 v[0:1], v[4:5], v[2:3], v[0:1] op_sel_hi:[0,1,1]
	v_add_lshl_u32 v13, v13, v30, 3
	v_add_u32_e32 v9, 0xe0, v5
	global_store_dwordx2 v13, v[0:1], s[2:3]
	ds_read2st64_b32 v[2:3], v9 offset1:15
	ds_read2st64_b32 v[0:1], v9 offset0:30 offset1:45
	ds_read2st64_b32 v[8:9], v8 offset0:30 offset1:45
	s_waitcnt lgkmcnt(3)
	v_cvt_f32_f16_e32 v4, v6
	v_cvt_f32_f16_sdwa v5, v6 dst_sel:DWORD dst_unused:UNUSED_PAD src0_sel:WORD_1
	v_cvt_f32_f16_e32 v6, v7
	v_cvt_f32_f16_sdwa v7, v7 dst_sel:DWORD dst_unused:UNUSED_PAD src0_sel:WORD_1
	s_waitcnt lgkmcnt(0)
	v_cvt_f32_f16_e32 v10, v8
	v_cvt_f32_f16_sdwa v11, v8 dst_sel:DWORD dst_unused:UNUSED_PAD src0_sel:WORD_1
	v_cvt_f32_f16_e32 v8, v9
	v_cvt_f32_f16_sdwa v9, v9 dst_sel:DWORD dst_unused:UNUSED_PAD src0_sel:WORD_1
	v_pk_fma_f32 v[4:5], v[2:3], v[4:5], 0 op_sel_hi:[0,1,0]
	v_mov_b32_e32 v2, v3
	v_pk_fma_f32 v[2:3], v[2:3], v[6:7], v[4:5] op_sel_hi:[0,1,1]
	v_pk_fma_f32 v[2:3], v[0:1], v[10:11], v[2:3] op_sel_hi:[0,1,1]
	v_mov_b32_e32 v0, v1
	v_pk_fma_f32 v[0:1], v[0:1], v[8:9], v[2:3] op_sel_hi:[0,1,1]
	global_store_dwordx2 v13, v[0:1], s[2:3] offset:896
	v_add_u32_e32 v0, 4, v12
	v_lshlrev_b32_e32 v1, 2, v0
	v_and_b32_e32 v0, 15, v0
	v_and_or_b32 v0, v1, s5, v0
	v_mad_u32_u24 v0, v0, s4, 0
	v_add_u32_e32 v4, 0xe0, v0
	v_add_u32_e32 v6, v0, v14
	ds_read2st64_b32 v[0:1], v6 offset1:15
	ds_read2st64_b32 v[2:3], v4 offset1:15
	ds_read2st64_b32 v[4:5], v4 offset0:30 offset1:45
	ds_read2st64_b32 v[6:7], v6 offset0:30 offset1:45
	v_add_u32_e32 v15, 0x700, v13
	s_waitcnt lgkmcnt(3)
	v_cvt_f32_f16_e32 v8, v0
	v_cvt_f32_f16_sdwa v9, v0 dst_sel:DWORD dst_unused:UNUSED_PAD src0_sel:WORD_1
	v_cvt_f32_f16_e32 v0, v1
	v_cvt_f32_f16_sdwa v1, v1 dst_sel:DWORD dst_unused:UNUSED_PAD src0_sel:WORD_1
	s_waitcnt lgkmcnt(0)
	v_cvt_f32_f16_e32 v10, v6
	v_cvt_f32_f16_sdwa v11, v6 dst_sel:DWORD dst_unused:UNUSED_PAD src0_sel:WORD_1
	v_pk_fma_f32 v[8:9], v[2:3], v[8:9], 0 op_sel_hi:[0,1,0]
	v_mov_b32_e32 v2, v3
	v_pk_fma_f32 v[0:1], v[2:3], v[0:1], v[8:9] op_sel_hi:[0,1,1]
	v_pk_fma_f32 v[0:1], v[4:5], v[10:11], v[0:1] op_sel_hi:[0,1,1]
	v_mov_b32_e32 v4, v5
	v_add_u32_e32 v5, 6, v12
	v_cvt_f32_f16_e32 v2, v7
	v_cvt_f32_f16_sdwa v3, v7 dst_sel:DWORD dst_unused:UNUSED_PAD src0_sel:WORD_1
	v_lshlrev_b32_e32 v6, 2, v5
	v_and_b32_e32 v5, 15, v5
	v_and_or_b32 v5, v6, s5, v5
	v_mad_u32_u24 v5, v5, s4, 0
	v_add_u32_e32 v8, v5, v14
	ds_read2st64_b32 v[6:7], v8 offset1:15
	v_pk_fma_f32 v[0:1], v[4:5], v[2:3], v[0:1] op_sel_hi:[0,1,1]
	global_store_dwordx2 v15, v[0:1], s[2:3]
	v_add_u32_e32 v4, 0xe0, v5
	ds_read2st64_b32 v[0:1], v4 offset1:15
	ds_read2st64_b32 v[4:5], v4 offset0:30 offset1:45
	ds_read2st64_b32 v[8:9], v8 offset0:30 offset1:45
	s_waitcnt lgkmcnt(3)
	v_cvt_f32_f16_e32 v2, v6
	v_cvt_f32_f16_sdwa v3, v6 dst_sel:DWORD dst_unused:UNUSED_PAD src0_sel:WORD_1
	v_cvt_f32_f16_e32 v6, v7
	v_cvt_f32_f16_sdwa v7, v7 dst_sel:DWORD dst_unused:UNUSED_PAD src0_sel:WORD_1
	s_waitcnt lgkmcnt(0)
	v_cvt_f32_f16_e32 v10, v8
	v_cvt_f32_f16_sdwa v11, v8 dst_sel:DWORD dst_unused:UNUSED_PAD src0_sel:WORD_1
	v_cvt_f32_f16_e32 v8, v9
	v_cvt_f32_f16_sdwa v9, v9 dst_sel:DWORD dst_unused:UNUSED_PAD src0_sel:WORD_1
	v_pk_fma_f32 v[2:3], v[0:1], v[2:3], 0 op_sel_hi:[0,1,0]
	v_mov_b32_e32 v0, v1
	v_pk_fma_f32 v[0:1], v[0:1], v[6:7], v[2:3] op_sel_hi:[0,1,1]
	v_pk_fma_f32 v[0:1], v[4:5], v[10:11], v[0:1] op_sel_hi:[0,1,1]
	v_mov_b32_e32 v2, v5
	v_add_u32_e32 v15, 0xa80, v13
	v_pk_fma_f32 v[0:1], v[2:3], v[8:9], v[0:1] op_sel_hi:[0,1,1]
	global_store_dwordx2 v15, v[0:1], s[2:3]
	v_add_u32_e32 v0, 8, v12
	v_lshlrev_b32_e32 v1, 2, v0
	v_and_b32_e32 v0, 15, v0
	v_and_or_b32 v0, v1, s5, v0
	v_mad_u32_u24 v0, v0, s4, 0
	v_add_u32_e32 v4, 0xe0, v0
	v_add_u32_e32 v6, v0, v14
	ds_read2st64_b32 v[0:1], v6 offset1:15
	ds_read2st64_b32 v[2:3], v4 offset1:15
	ds_read2st64_b32 v[4:5], v4 offset0:30 offset1:45
	ds_read2st64_b32 v[6:7], v6 offset0:30 offset1:45
	v_add_u32_e32 v15, 0xe00, v13
	s_waitcnt lgkmcnt(3)
	v_cvt_f32_f16_e32 v8, v0
	v_cvt_f32_f16_sdwa v9, v0 dst_sel:DWORD dst_unused:UNUSED_PAD src0_sel:WORD_1
	v_cvt_f32_f16_e32 v0, v1
	v_cvt_f32_f16_sdwa v1, v1 dst_sel:DWORD dst_unused:UNUSED_PAD src0_sel:WORD_1
	s_waitcnt lgkmcnt(0)
	v_cvt_f32_f16_e32 v10, v6
	v_cvt_f32_f16_sdwa v11, v6 dst_sel:DWORD dst_unused:UNUSED_PAD src0_sel:WORD_1
	v_pk_fma_f32 v[8:9], v[2:3], v[8:9], 0 op_sel_hi:[0,1,0]
	v_mov_b32_e32 v2, v3
	v_pk_fma_f32 v[0:1], v[2:3], v[0:1], v[8:9] op_sel_hi:[0,1,1]
	v_pk_fma_f32 v[0:1], v[4:5], v[10:11], v[0:1] op_sel_hi:[0,1,1]
	v_mov_b32_e32 v4, v5
	v_add_u32_e32 v5, 10, v12
	v_cvt_f32_f16_e32 v2, v7
	v_cvt_f32_f16_sdwa v3, v7 dst_sel:DWORD dst_unused:UNUSED_PAD src0_sel:WORD_1
	v_lshlrev_b32_e32 v6, 2, v5
	v_and_b32_e32 v5, 15, v5
	v_and_or_b32 v5, v6, s5, v5
	v_mad_u32_u24 v5, v5, s4, 0
	v_add_u32_e32 v8, v5, v14
	ds_read2st64_b32 v[6:7], v8 offset1:15
	v_pk_fma_f32 v[0:1], v[4:5], v[2:3], v[0:1] op_sel_hi:[0,1,1]
	global_store_dwordx2 v15, v[0:1], s[2:3]
	v_add_u32_e32 v4, 0xe0, v5
	ds_read2st64_b32 v[0:1], v4 offset1:15
	ds_read2st64_b32 v[4:5], v4 offset0:30 offset1:45
	ds_read2st64_b32 v[8:9], v8 offset0:30 offset1:45
	s_waitcnt lgkmcnt(3)
	v_cvt_f32_f16_e32 v2, v6
	v_cvt_f32_f16_sdwa v3, v6 dst_sel:DWORD dst_unused:UNUSED_PAD src0_sel:WORD_1
	v_cvt_f32_f16_e32 v6, v7
	v_cvt_f32_f16_sdwa v7, v7 dst_sel:DWORD dst_unused:UNUSED_PAD src0_sel:WORD_1
	s_waitcnt lgkmcnt(0)
	v_cvt_f32_f16_e32 v10, v8
	v_cvt_f32_f16_sdwa v11, v8 dst_sel:DWORD dst_unused:UNUSED_PAD src0_sel:WORD_1
	v_cvt_f32_f16_e32 v8, v9
	v_cvt_f32_f16_sdwa v9, v9 dst_sel:DWORD dst_unused:UNUSED_PAD src0_sel:WORD_1
	v_pk_fma_f32 v[2:3], v[0:1], v[2:3], 0 op_sel_hi:[0,1,0]
	v_mov_b32_e32 v0, v1
	v_pk_fma_f32 v[0:1], v[0:1], v[6:7], v[2:3] op_sel_hi:[0,1,1]
	v_pk_fma_f32 v[0:1], v[4:5], v[10:11], v[0:1] op_sel_hi:[0,1,1]
	v_mov_b32_e32 v2, v5
	v_add_u32_e32 v15, 0x1180, v13
	v_pk_fma_f32 v[0:1], v[2:3], v[8:9], v[0:1] op_sel_hi:[0,1,1]
	global_store_dwordx2 v15, v[0:1], s[2:3]
	v_add_u32_e32 v0, 12, v12
	v_lshlrev_b32_e32 v1, 2, v0
	v_and_b32_e32 v0, 15, v0
	v_and_or_b32 v0, v1, s5, v0
	v_mad_u32_u24 v0, v0, s4, 0
	v_add_u32_e32 v4, 0xe0, v0
	v_add_u32_e32 v6, v0, v14
	ds_read2st64_b32 v[0:1], v6 offset1:15
	ds_read2st64_b32 v[2:3], v4 offset1:15
	ds_read2st64_b32 v[4:5], v4 offset0:30 offset1:45
	ds_read2st64_b32 v[6:7], v6 offset0:30 offset1:45
	v_add_u32_e32 v15, 0x1500, v13
	s_waitcnt lgkmcnt(3)
	v_cvt_f32_f16_e32 v8, v0
	v_cvt_f32_f16_sdwa v9, v0 dst_sel:DWORD dst_unused:UNUSED_PAD src0_sel:WORD_1
	v_cvt_f32_f16_e32 v0, v1
	v_cvt_f32_f16_sdwa v1, v1 dst_sel:DWORD dst_unused:UNUSED_PAD src0_sel:WORD_1
	s_waitcnt lgkmcnt(0)
	v_cvt_f32_f16_e32 v10, v6
	v_cvt_f32_f16_sdwa v11, v6 dst_sel:DWORD dst_unused:UNUSED_PAD src0_sel:WORD_1
	v_pk_fma_f32 v[8:9], v[2:3], v[8:9], 0 op_sel_hi:[0,1,0]
	v_mov_b32_e32 v2, v3
	v_pk_fma_f32 v[0:1], v[2:3], v[0:1], v[8:9] op_sel_hi:[0,1,1]
	v_pk_fma_f32 v[0:1], v[4:5], v[10:11], v[0:1] op_sel_hi:[0,1,1]
	v_mov_b32_e32 v4, v5
	v_add_u32_e32 v5, 14, v12
	v_cvt_f32_f16_e32 v2, v7
	v_cvt_f32_f16_sdwa v3, v7 dst_sel:DWORD dst_unused:UNUSED_PAD src0_sel:WORD_1
	v_lshlrev_b32_e32 v6, 2, v5
	v_and_b32_e32 v5, 15, v5
	v_and_or_b32 v5, v6, s5, v5
	v_mad_u32_u24 v5, v5, s4, 0
	v_add_u32_e32 v8, v5, v14
	ds_read2st64_b32 v[6:7], v8 offset1:15
	v_pk_fma_f32 v[0:1], v[4:5], v[2:3], v[0:1] op_sel_hi:[0,1,1]
	global_store_dwordx2 v15, v[0:1], s[2:3]
	v_add_u32_e32 v4, 0xe0, v5
	ds_read2st64_b32 v[0:1], v4 offset1:15
	ds_read2st64_b32 v[4:5], v4 offset0:30 offset1:45
	ds_read2st64_b32 v[8:9], v8 offset0:30 offset1:45
	s_waitcnt lgkmcnt(3)
	v_cvt_f32_f16_e32 v2, v6
	v_cvt_f32_f16_sdwa v3, v6 dst_sel:DWORD dst_unused:UNUSED_PAD src0_sel:WORD_1
	v_cvt_f32_f16_e32 v6, v7
	v_cvt_f32_f16_sdwa v7, v7 dst_sel:DWORD dst_unused:UNUSED_PAD src0_sel:WORD_1
	s_waitcnt lgkmcnt(0)
	v_cvt_f32_f16_e32 v10, v8
	v_cvt_f32_f16_sdwa v11, v8 dst_sel:DWORD dst_unused:UNUSED_PAD src0_sel:WORD_1
	v_cvt_f32_f16_e32 v8, v9
	v_cvt_f32_f16_sdwa v9, v9 dst_sel:DWORD dst_unused:UNUSED_PAD src0_sel:WORD_1
	v_pk_fma_f32 v[2:3], v[0:1], v[2:3], 0 op_sel_hi:[0,1,0]
	v_mov_b32_e32 v0, v1
	v_pk_fma_f32 v[0:1], v[0:1], v[6:7], v[2:3] op_sel_hi:[0,1,1]
	v_pk_fma_f32 v[0:1], v[4:5], v[10:11], v[0:1] op_sel_hi:[0,1,1]
	v_mov_b32_e32 v2, v5
	v_add_u32_e32 v12, 0x1880, v13
	v_pk_fma_f32 v[0:1], v[2:3], v[8:9], v[0:1] op_sel_hi:[0,1,1]
	v_add_u32_e32 v14, v52, v55
	global_store_dwordx2 v12, v[0:1], s[2:3]
	v_lshlrev_b32_e32 v0, 2, v14
	v_and_b32_e32 v1, 15, v14
	v_and_or_b32 v0, v0, s5, v1
	v_mad_u32_u24 v2, v0, s4, 0
	v_lshlrev_b32_e32 v15, 2, v28
	v_add_u32_e32 v4, 0xe0, v2
	v_add_u32_e32 v2, v2, v15
	;; [unrolled: 1-line block ×3, first 2 shown]
	v_mul_u32_u24_e32 v8, 56, v14
	ds_read2st64_b32 v[0:1], v4 offset1:15
	ds_read2st64_b32 v[2:3], v6 offset1:15
	ds_read2st64_b32 v[4:5], v4 offset0:30 offset1:45
	ds_read2st64_b32 v[6:7], v6 offset0:30 offset1:45
	v_add_co_u32_e32 v8, vcc, v8, v28
	v_addc_co_u32_e64 v9, s[6:7], 0, 0, vcc
	v_lshlrev_b64 v[8:9], 3, v[8:9]
	s_waitcnt lgkmcnt(2)
	v_cvt_f32_f16_e32 v10, v2
	v_cvt_f32_f16_sdwa v11, v2 dst_sel:DWORD dst_unused:UNUSED_PAD src0_sel:WORD_1
	v_mov_b32_e32 v12, s3
	v_add_co_u32_e32 v8, vcc, s2, v8
	v_cvt_f32_f16_e32 v2, v3
	v_cvt_f32_f16_sdwa v3, v3 dst_sel:DWORD dst_unused:UNUSED_PAD src0_sel:WORD_1
	v_addc_co_u32_e32 v9, vcc, v12, v9, vcc
	s_waitcnt lgkmcnt(0)
	v_cvt_f32_f16_e32 v12, v6
	v_cvt_f32_f16_sdwa v13, v6 dst_sel:DWORD dst_unused:UNUSED_PAD src0_sel:WORD_1
	v_cvt_f32_f16_e32 v6, v7
	v_cvt_f32_f16_sdwa v7, v7 dst_sel:DWORD dst_unused:UNUSED_PAD src0_sel:WORD_1
	v_pk_fma_f32 v[10:11], v[0:1], v[10:11], 0 op_sel_hi:[0,1,0]
	v_mov_b32_e32 v0, v1
	v_pk_fma_f32 v[0:1], v[0:1], v[2:3], v[10:11] op_sel_hi:[0,1,1]
	v_pk_fma_f32 v[0:1], v[4:5], v[12:13], v[0:1] op_sel_hi:[0,1,1]
	v_mov_b32_e32 v2, v5
	v_pk_fma_f32 v[0:1], v[2:3], v[6:7], v[0:1] op_sel_hi:[0,1,1]
	global_store_dwordx2 v[8:9], v[0:1], off offset:256
	v_add_u32_e32 v0, 4, v14
	v_lshlrev_b32_e32 v1, 2, v0
	v_and_b32_e32 v0, 15, v0
	s_movk_i32 s5, 0x3fc0
	v_and_or_b32 v0, v1, s5, v0
	v_mad_u32_u24 v2, v0, s4, 0
	v_add_u32_e32 v4, 0xe0, v2
	v_add_u32_e32 v2, v2, v15
	v_mov_b32_e32 v0, 0xe0
	v_add_u32_e32 v6, 0x80, v2
	v_mad_u32_u24 v8, v14, 56, v0
	ds_read2st64_b32 v[0:1], v4 offset1:15
	ds_read2st64_b32 v[2:3], v6 offset1:15
	ds_read2st64_b32 v[4:5], v4 offset0:30 offset1:45
	ds_read2st64_b32 v[6:7], v6 offset0:30 offset1:45
	v_add_co_u32_e32 v8, vcc, v8, v28
	v_addc_co_u32_e64 v9, s[6:7], 0, 0, vcc
	v_lshlrev_b64 v[8:9], 3, v[8:9]
	s_waitcnt lgkmcnt(2)
	v_cvt_f32_f16_e32 v10, v2
	v_cvt_f32_f16_sdwa v11, v2 dst_sel:DWORD dst_unused:UNUSED_PAD src0_sel:WORD_1
	v_mov_b32_e32 v12, s3
	v_add_co_u32_e32 v8, vcc, s2, v8
	v_cvt_f32_f16_e32 v2, v3
	v_cvt_f32_f16_sdwa v3, v3 dst_sel:DWORD dst_unused:UNUSED_PAD src0_sel:WORD_1
	v_addc_co_u32_e32 v9, vcc, v12, v9, vcc
	s_waitcnt lgkmcnt(0)
	v_cvt_f32_f16_e32 v12, v6
	v_cvt_f32_f16_sdwa v13, v6 dst_sel:DWORD dst_unused:UNUSED_PAD src0_sel:WORD_1
	v_cvt_f32_f16_e32 v6, v7
	v_cvt_f32_f16_sdwa v7, v7 dst_sel:DWORD dst_unused:UNUSED_PAD src0_sel:WORD_1
	v_pk_fma_f32 v[10:11], v[0:1], v[10:11], 0 op_sel_hi:[0,1,0]
	v_mov_b32_e32 v0, v1
	v_pk_fma_f32 v[0:1], v[0:1], v[2:3], v[10:11] op_sel_hi:[0,1,1]
	v_pk_fma_f32 v[0:1], v[4:5], v[12:13], v[0:1] op_sel_hi:[0,1,1]
	v_mov_b32_e32 v2, v5
	v_pk_fma_f32 v[0:1], v[2:3], v[6:7], v[0:1] op_sel_hi:[0,1,1]
	global_store_dwordx2 v[8:9], v[0:1], off offset:256
	v_add_u32_e32 v0, 8, v14
	v_lshlrev_b32_e32 v1, 2, v0
	v_and_b32_e32 v0, 15, v0
	v_and_or_b32 v0, v1, s5, v0
	v_mad_u32_u24 v2, v0, s4, 0
	v_add_u32_e32 v4, 0xe0, v2
	v_add_u32_e32 v2, v2, v15
	v_mov_b32_e32 v0, 0x1c0
	v_add_u32_e32 v6, 0x80, v2
	v_mad_u32_u24 v8, v14, 56, v0
	ds_read2st64_b32 v[0:1], v4 offset1:15
	ds_read2st64_b32 v[2:3], v6 offset1:15
	ds_read2st64_b32 v[4:5], v4 offset0:30 offset1:45
	ds_read2st64_b32 v[6:7], v6 offset0:30 offset1:45
	v_add_co_u32_e32 v8, vcc, v8, v28
	v_addc_co_u32_e64 v9, s[6:7], 0, 0, vcc
	v_lshlrev_b64 v[8:9], 3, v[8:9]
	s_waitcnt lgkmcnt(2)
	v_cvt_f32_f16_e32 v10, v2
	v_cvt_f32_f16_sdwa v11, v2 dst_sel:DWORD dst_unused:UNUSED_PAD src0_sel:WORD_1
	v_mov_b32_e32 v12, s3
	v_add_co_u32_e32 v8, vcc, s2, v8
	v_cvt_f32_f16_e32 v2, v3
	v_cvt_f32_f16_sdwa v3, v3 dst_sel:DWORD dst_unused:UNUSED_PAD src0_sel:WORD_1
	v_addc_co_u32_e32 v9, vcc, v12, v9, vcc
	s_waitcnt lgkmcnt(0)
	v_cvt_f32_f16_e32 v12, v6
	v_cvt_f32_f16_sdwa v13, v6 dst_sel:DWORD dst_unused:UNUSED_PAD src0_sel:WORD_1
	v_cvt_f32_f16_e32 v6, v7
	v_cvt_f32_f16_sdwa v7, v7 dst_sel:DWORD dst_unused:UNUSED_PAD src0_sel:WORD_1
	v_pk_fma_f32 v[10:11], v[0:1], v[10:11], 0 op_sel_hi:[0,1,0]
	v_mov_b32_e32 v0, v1
	v_pk_fma_f32 v[0:1], v[0:1], v[2:3], v[10:11] op_sel_hi:[0,1,1]
	v_pk_fma_f32 v[0:1], v[4:5], v[12:13], v[0:1] op_sel_hi:[0,1,1]
	v_mov_b32_e32 v2, v5
	v_pk_fma_f32 v[0:1], v[2:3], v[6:7], v[0:1] op_sel_hi:[0,1,1]
	global_store_dwordx2 v[8:9], v[0:1], off offset:256
	v_add_u32_e32 v0, 12, v14
	v_lshlrev_b32_e32 v1, 2, v0
	v_and_b32_e32 v0, 15, v0
	v_and_or_b32 v0, v1, s5, v0
	v_mad_u32_u24 v2, v0, s4, 0
	v_add_u32_e32 v4, 0xe0, v2
	v_add_u32_e32 v2, v2, v15
	v_mov_b32_e32 v0, 0x2a0
	v_add_u32_e32 v6, 0x80, v2
	v_mad_u32_u24 v8, v14, 56, v0
	ds_read2st64_b32 v[0:1], v4 offset1:15
	ds_read2st64_b32 v[2:3], v6 offset1:15
	ds_read2st64_b32 v[4:5], v4 offset0:30 offset1:45
	ds_read2st64_b32 v[6:7], v6 offset0:30 offset1:45
	v_add_co_u32_e32 v8, vcc, v8, v28
	v_addc_co_u32_e64 v9, s[6:7], 0, 0, vcc
	v_lshlrev_b64 v[8:9], 3, v[8:9]
	s_waitcnt lgkmcnt(2)
	v_cvt_f32_f16_e32 v10, v2
	v_cvt_f32_f16_sdwa v11, v2 dst_sel:DWORD dst_unused:UNUSED_PAD src0_sel:WORD_1
	v_mov_b32_e32 v12, s3
	v_add_co_u32_e32 v8, vcc, s2, v8
	v_cvt_f32_f16_e32 v2, v3
	v_cvt_f32_f16_sdwa v3, v3 dst_sel:DWORD dst_unused:UNUSED_PAD src0_sel:WORD_1
	v_addc_co_u32_e32 v9, vcc, v12, v9, vcc
	s_waitcnt lgkmcnt(0)
	v_cvt_f32_f16_e32 v12, v6
	v_cvt_f32_f16_sdwa v13, v6 dst_sel:DWORD dst_unused:UNUSED_PAD src0_sel:WORD_1
	v_cvt_f32_f16_e32 v6, v7
	v_cvt_f32_f16_sdwa v7, v7 dst_sel:DWORD dst_unused:UNUSED_PAD src0_sel:WORD_1
	v_pk_fma_f32 v[10:11], v[0:1], v[10:11], 0 op_sel_hi:[0,1,0]
	v_mov_b32_e32 v0, v1
	v_pk_fma_f32 v[0:1], v[0:1], v[2:3], v[10:11] op_sel_hi:[0,1,1]
	v_pk_fma_f32 v[0:1], v[4:5], v[12:13], v[0:1] op_sel_hi:[0,1,1]
	v_mov_b32_e32 v2, v5
	v_pk_fma_f32 v[0:1], v[2:3], v[6:7], v[0:1] op_sel_hi:[0,1,1]
	v_add_u32_e32 v12, v31, v53
	global_store_dwordx2 v[8:9], v[0:1], off offset:256
	v_lshlrev_b32_e32 v0, 2, v12
	v_and_b32_e32 v1, 15, v12
	v_and_b32_e32 v8, 7, v29
	v_and_or_b32 v0, v0, s5, v1
	v_mad_u32_u24 v2, v0, s4, 0
	v_lshlrev_b32_e32 v13, 2, v8
	v_add_u32_e32 v4, 0xe0, v2
	v_add_u32_e32 v2, v2, v13
	;; [unrolled: 1-line block ×3, first 2 shown]
	ds_read2st64_b32 v[0:1], v4 offset1:15
	ds_read2st64_b32 v[2:3], v6 offset1:15
	ds_read2st64_b32 v[4:5], v4 offset0:30 offset1:45
	ds_read2st64_b32 v[6:7], v6 offset0:30 offset1:45
	v_mul_u32_u24_e32 v9, 56, v12
	v_or_b32_e32 v8, v9, v8
	v_lshlrev_b32_e32 v14, 3, v8
	s_waitcnt lgkmcnt(2)
	v_cvt_f32_f16_e32 v8, v2
	v_cvt_f32_f16_sdwa v9, v2 dst_sel:DWORD dst_unused:UNUSED_PAD src0_sel:WORD_1
	v_cvt_f32_f16_e32 v2, v3
	v_cvt_f32_f16_sdwa v3, v3 dst_sel:DWORD dst_unused:UNUSED_PAD src0_sel:WORD_1
	s_waitcnt lgkmcnt(0)
	v_cvt_f32_f16_e32 v10, v6
	v_cvt_f32_f16_sdwa v11, v6 dst_sel:DWORD dst_unused:UNUSED_PAD src0_sel:WORD_1
	v_pk_fma_f32 v[8:9], v[0:1], v[8:9], 0 op_sel_hi:[0,1,0]
	v_mov_b32_e32 v0, v1
	v_pk_fma_f32 v[0:1], v[0:1], v[2:3], v[8:9] op_sel_hi:[0,1,1]
	v_pk_fma_f32 v[0:1], v[4:5], v[10:11], v[0:1] op_sel_hi:[0,1,1]
	v_mov_b32_e32 v4, v5
	v_add_u32_e32 v5, 8, v12
	v_lshlrev_b32_e32 v6, 2, v5
	v_and_b32_e32 v5, 15, v5
	s_movk_i32 s5, 0x7fc0
	v_cvt_f32_f16_e32 v2, v7
	v_cvt_f32_f16_sdwa v3, v7 dst_sel:DWORD dst_unused:UNUSED_PAD src0_sel:WORD_1
	v_and_or_b32 v5, v6, s5, v5
	v_mad_u32_u24 v5, v5, s4, 0
	v_add_u32_e32 v6, v5, v13
	v_add_u32_e32 v8, 0xc0, v6
	ds_read2st64_b32 v[6:7], v8 offset1:15
	v_pk_fma_f32 v[0:1], v[4:5], v[2:3], v[0:1] op_sel_hi:[0,1,1]
	global_store_dwordx2 v14, v[0:1], s[2:3] offset:384
	v_add_u32_e32 v4, 0xe0, v5
	ds_read2st64_b32 v[0:1], v4 offset1:15
	ds_read2st64_b32 v[4:5], v4 offset0:30 offset1:45
	ds_read2st64_b32 v[8:9], v8 offset0:30 offset1:45
	s_waitcnt lgkmcnt(3)
	v_cvt_f32_f16_e32 v2, v6
	v_cvt_f32_f16_sdwa v3, v6 dst_sel:DWORD dst_unused:UNUSED_PAD src0_sel:WORD_1
	v_cvt_f32_f16_e32 v6, v7
	v_cvt_f32_f16_sdwa v7, v7 dst_sel:DWORD dst_unused:UNUSED_PAD src0_sel:WORD_1
	s_waitcnt lgkmcnt(0)
	v_cvt_f32_f16_e32 v10, v8
	v_cvt_f32_f16_sdwa v11, v8 dst_sel:DWORD dst_unused:UNUSED_PAD src0_sel:WORD_1
	v_cvt_f32_f16_e32 v8, v9
	v_cvt_f32_f16_sdwa v9, v9 dst_sel:DWORD dst_unused:UNUSED_PAD src0_sel:WORD_1
	v_pk_fma_f32 v[2:3], v[0:1], v[2:3], 0 op_sel_hi:[0,1,0]
	v_mov_b32_e32 v0, v1
	v_pk_fma_f32 v[0:1], v[0:1], v[6:7], v[2:3] op_sel_hi:[0,1,1]
	v_pk_fma_f32 v[0:1], v[4:5], v[10:11], v[0:1] op_sel_hi:[0,1,1]
	v_mov_b32_e32 v2, v5
	v_add_u32_e32 v12, 0xe00, v14
	v_pk_fma_f32 v[0:1], v[2:3], v[8:9], v[0:1] op_sel_hi:[0,1,1]
	global_store_dwordx2 v12, v[0:1], s[2:3] offset:384
.LBB19_265:
	s_or_b64 exec, exec, s[0:1]
	s_barrier
	s_endpgm
	.section	.rodata,"a",@progbits
	.p2align	6, 0x0
	.amdhsa_kernel _ZL18flash_attn_ext_f16ILi112ELi112ELi8ELi2ELb0ELb0EEvPKcS1_S1_S1_S1_PKiPfP15HIP_vector_typeIfLj2EEffffjfiS5_IjLj3EEiiiiiiiiiiiliiliiiiil
		.amdhsa_group_segment_fixed_size 0
		.amdhsa_private_segment_fixed_size 0
		.amdhsa_kernarg_size 464
		.amdhsa_user_sgpr_count 6
		.amdhsa_user_sgpr_private_segment_buffer 1
		.amdhsa_user_sgpr_dispatch_ptr 0
		.amdhsa_user_sgpr_queue_ptr 0
		.amdhsa_user_sgpr_kernarg_segment_ptr 1
		.amdhsa_user_sgpr_dispatch_id 0
		.amdhsa_user_sgpr_flat_scratch_init 0
		.amdhsa_user_sgpr_kernarg_preload_length 0
		.amdhsa_user_sgpr_kernarg_preload_offset 0
		.amdhsa_user_sgpr_private_segment_size 0
		.amdhsa_uses_dynamic_stack 0
		.amdhsa_system_sgpr_private_segment_wavefront_offset 0
		.amdhsa_system_sgpr_workgroup_id_x 1
		.amdhsa_system_sgpr_workgroup_id_y 0
		.amdhsa_system_sgpr_workgroup_id_z 0
		.amdhsa_system_sgpr_workgroup_info 0
		.amdhsa_system_vgpr_workitem_id 1
		.amdhsa_next_free_vgpr 198
		.amdhsa_next_free_sgpr 96
		.amdhsa_accum_offset 200
		.amdhsa_reserve_vcc 1
		.amdhsa_reserve_flat_scratch 0
		.amdhsa_float_round_mode_32 0
		.amdhsa_float_round_mode_16_64 0
		.amdhsa_float_denorm_mode_32 3
		.amdhsa_float_denorm_mode_16_64 3
		.amdhsa_dx10_clamp 1
		.amdhsa_ieee_mode 1
		.amdhsa_fp16_overflow 0
		.amdhsa_tg_split 0
		.amdhsa_exception_fp_ieee_invalid_op 0
		.amdhsa_exception_fp_denorm_src 0
		.amdhsa_exception_fp_ieee_div_zero 0
		.amdhsa_exception_fp_ieee_overflow 0
		.amdhsa_exception_fp_ieee_underflow 0
		.amdhsa_exception_fp_ieee_inexact 0
		.amdhsa_exception_int_div_zero 0
	.end_amdhsa_kernel
	.section	.text._ZL18flash_attn_ext_f16ILi112ELi112ELi8ELi2ELb0ELb0EEvPKcS1_S1_S1_S1_PKiPfP15HIP_vector_typeIfLj2EEffffjfiS5_IjLj3EEiiiiiiiiiiiliiliiiiil,"axG",@progbits,_ZL18flash_attn_ext_f16ILi112ELi112ELi8ELi2ELb0ELb0EEvPKcS1_S1_S1_S1_PKiPfP15HIP_vector_typeIfLj2EEffffjfiS5_IjLj3EEiiiiiiiiiiiliiliiiiil,comdat
.Lfunc_end19:
	.size	_ZL18flash_attn_ext_f16ILi112ELi112ELi8ELi2ELb0ELb0EEvPKcS1_S1_S1_S1_PKiPfP15HIP_vector_typeIfLj2EEffffjfiS5_IjLj3EEiiiiiiiiiiiliiliiiiil, .Lfunc_end19-_ZL18flash_attn_ext_f16ILi112ELi112ELi8ELi2ELb0ELb0EEvPKcS1_S1_S1_S1_PKiPfP15HIP_vector_typeIfLj2EEffffjfiS5_IjLj3EEiiiiiiiiiiiliiliiiiil
                                        ; -- End function
	.section	.AMDGPU.csdata,"",@progbits
; Kernel info:
; codeLenInByte = 37540
; NumSgprs: 100
; NumVgprs: 198
; NumAgprs: 0
; TotalNumVgprs: 198
; ScratchSize: 0
; MemoryBound: 0
; FloatMode: 240
; IeeeMode: 1
; LDSByteSize: 0 bytes/workgroup (compile time only)
; SGPRBlocks: 12
; VGPRBlocks: 24
; NumSGPRsForWavesPerEU: 100
; NumVGPRsForWavesPerEU: 198
; AccumOffset: 200
; Occupancy: 2
; WaveLimiterHint : 1
; COMPUTE_PGM_RSRC2:SCRATCH_EN: 0
; COMPUTE_PGM_RSRC2:USER_SGPR: 6
; COMPUTE_PGM_RSRC2:TRAP_HANDLER: 0
; COMPUTE_PGM_RSRC2:TGID_X_EN: 1
; COMPUTE_PGM_RSRC2:TGID_Y_EN: 0
; COMPUTE_PGM_RSRC2:TGID_Z_EN: 0
; COMPUTE_PGM_RSRC2:TIDIG_COMP_CNT: 1
; COMPUTE_PGM_RSRC3_GFX90A:ACCUM_OFFSET: 49
; COMPUTE_PGM_RSRC3_GFX90A:TG_SPLIT: 0
	.section	.text._ZL18flash_attn_ext_f16ILi112ELi112ELi8ELi2ELb1ELb0EEvPKcS1_S1_S1_S1_PKiPfP15HIP_vector_typeIfLj2EEffffjfiS5_IjLj3EEiiiiiiiiiiiliiliiiiil,"axG",@progbits,_ZL18flash_attn_ext_f16ILi112ELi112ELi8ELi2ELb1ELb0EEvPKcS1_S1_S1_S1_PKiPfP15HIP_vector_typeIfLj2EEffffjfiS5_IjLj3EEiiiiiiiiiiiliiliiiiil,comdat
	.globl	_ZL18flash_attn_ext_f16ILi112ELi112ELi8ELi2ELb1ELb0EEvPKcS1_S1_S1_S1_PKiPfP15HIP_vector_typeIfLj2EEffffjfiS5_IjLj3EEiiiiiiiiiiiliiliiiiil ; -- Begin function _ZL18flash_attn_ext_f16ILi112ELi112ELi8ELi2ELb1ELb0EEvPKcS1_S1_S1_S1_PKiPfP15HIP_vector_typeIfLj2EEffffjfiS5_IjLj3EEiiiiiiiiiiiliiliiiiil
	.p2align	8
	.type	_ZL18flash_attn_ext_f16ILi112ELi112ELi8ELi2ELb1ELb0EEvPKcS1_S1_S1_S1_PKiPfP15HIP_vector_typeIfLj2EEffffjfiS5_IjLj3EEiiiiiiiiiiiliiliiiiil,@function
_ZL18flash_attn_ext_f16ILi112ELi112ELi8ELi2ELb1ELb0EEvPKcS1_S1_S1_S1_PKiPfP15HIP_vector_typeIfLj2EEffffjfiS5_IjLj3EEiiiiiiiiiiiliiliiiiil: ; @_ZL18flash_attn_ext_f16ILi112ELi112ELi8ELi2ELb1ELb0EEvPKcS1_S1_S1_S1_PKiPfP15HIP_vector_typeIfLj2EEffffjfiS5_IjLj3EEiiiiiiiiiiiliiliiiiil
; %bb.0:
	s_add_u32 flat_scratch_lo, s6, s9
	s_addc_u32 flat_scratch_hi, s7, 0
	s_add_u32 s0, s0, s9
	s_addc_u32 s1, s1, 0
	s_add_u32 s8, s4, 0xd0
	s_addc_u32 s9, s5, 0
	s_mov_b32 s32, 0
	s_getpc_b64 s[4:5]
	s_add_u32 s4, s4, _ZL14no_device_codePKciS0_iS0_@rel32@lo+4
	s_addc_u32 s5, s5, _ZL14no_device_codePKciS0_iS0_@rel32@hi+12
	s_swappc_b64 s[30:31], s[4:5]
	.section	.rodata,"a",@progbits
	.p2align	6, 0x0
	.amdhsa_kernel _ZL18flash_attn_ext_f16ILi112ELi112ELi8ELi2ELb1ELb0EEvPKcS1_S1_S1_S1_PKiPfP15HIP_vector_typeIfLj2EEffffjfiS5_IjLj3EEiiiiiiiiiiiliiliiiiil
		.amdhsa_group_segment_fixed_size 0
		.amdhsa_private_segment_fixed_size 16
		.amdhsa_kernarg_size 464
		.amdhsa_user_sgpr_count 8
		.amdhsa_user_sgpr_private_segment_buffer 1
		.amdhsa_user_sgpr_dispatch_ptr 0
		.amdhsa_user_sgpr_queue_ptr 0
		.amdhsa_user_sgpr_kernarg_segment_ptr 1
		.amdhsa_user_sgpr_dispatch_id 0
		.amdhsa_user_sgpr_flat_scratch_init 1
		.amdhsa_user_sgpr_kernarg_preload_length 0
		.amdhsa_user_sgpr_kernarg_preload_offset 0
		.amdhsa_user_sgpr_private_segment_size 0
		.amdhsa_uses_dynamic_stack 0
		.amdhsa_system_sgpr_private_segment_wavefront_offset 1
		.amdhsa_system_sgpr_workgroup_id_x 1
		.amdhsa_system_sgpr_workgroup_id_y 0
		.amdhsa_system_sgpr_workgroup_id_z 0
		.amdhsa_system_sgpr_workgroup_info 0
		.amdhsa_system_vgpr_workitem_id 0
		.amdhsa_next_free_vgpr 39
		.amdhsa_next_free_sgpr 34
		.amdhsa_accum_offset 40
		.amdhsa_reserve_vcc 1
		.amdhsa_reserve_flat_scratch 1
		.amdhsa_float_round_mode_32 0
		.amdhsa_float_round_mode_16_64 0
		.amdhsa_float_denorm_mode_32 3
		.amdhsa_float_denorm_mode_16_64 3
		.amdhsa_dx10_clamp 1
		.amdhsa_ieee_mode 1
		.amdhsa_fp16_overflow 0
		.amdhsa_tg_split 0
		.amdhsa_exception_fp_ieee_invalid_op 0
		.amdhsa_exception_fp_denorm_src 0
		.amdhsa_exception_fp_ieee_div_zero 0
		.amdhsa_exception_fp_ieee_overflow 0
		.amdhsa_exception_fp_ieee_underflow 0
		.amdhsa_exception_fp_ieee_inexact 0
		.amdhsa_exception_int_div_zero 0
	.end_amdhsa_kernel
	.section	.text._ZL18flash_attn_ext_f16ILi112ELi112ELi8ELi2ELb1ELb0EEvPKcS1_S1_S1_S1_PKiPfP15HIP_vector_typeIfLj2EEffffjfiS5_IjLj3EEiiiiiiiiiiiliiliiiiil,"axG",@progbits,_ZL18flash_attn_ext_f16ILi112ELi112ELi8ELi2ELb1ELb0EEvPKcS1_S1_S1_S1_PKiPfP15HIP_vector_typeIfLj2EEffffjfiS5_IjLj3EEiiiiiiiiiiiliiliiiiil,comdat
.Lfunc_end20:
	.size	_ZL18flash_attn_ext_f16ILi112ELi112ELi8ELi2ELb1ELb0EEvPKcS1_S1_S1_S1_PKiPfP15HIP_vector_typeIfLj2EEffffjfiS5_IjLj3EEiiiiiiiiiiiliiliiiiil, .Lfunc_end20-_ZL18flash_attn_ext_f16ILi112ELi112ELi8ELi2ELb1ELb0EEvPKcS1_S1_S1_S1_PKiPfP15HIP_vector_typeIfLj2EEffffjfiS5_IjLj3EEiiiiiiiiiiiliiliiiiil
                                        ; -- End function
	.section	.AMDGPU.csdata,"",@progbits
; Kernel info:
; codeLenInByte = 56
; NumSgprs: 40
; NumVgprs: 39
; NumAgprs: 0
; TotalNumVgprs: 39
; ScratchSize: 16
; MemoryBound: 0
; FloatMode: 240
; IeeeMode: 1
; LDSByteSize: 0 bytes/workgroup (compile time only)
; SGPRBlocks: 4
; VGPRBlocks: 4
; NumSGPRsForWavesPerEU: 40
; NumVGPRsForWavesPerEU: 39
; AccumOffset: 40
; Occupancy: 8
; WaveLimiterHint : 1
; COMPUTE_PGM_RSRC2:SCRATCH_EN: 1
; COMPUTE_PGM_RSRC2:USER_SGPR: 8
; COMPUTE_PGM_RSRC2:TRAP_HANDLER: 0
; COMPUTE_PGM_RSRC2:TGID_X_EN: 1
; COMPUTE_PGM_RSRC2:TGID_Y_EN: 0
; COMPUTE_PGM_RSRC2:TGID_Z_EN: 0
; COMPUTE_PGM_RSRC2:TIDIG_COMP_CNT: 0
; COMPUTE_PGM_RSRC3_GFX90A:ACCUM_OFFSET: 9
; COMPUTE_PGM_RSRC3_GFX90A:TG_SPLIT: 0
	.section	.text._ZL33flash_attn_stream_k_fixup_uniformILi112ELi8ELi2EEvPfPK15HIP_vector_typeIfLj2EEiiiiiiS1_IjLj3EES5_S5_,"axG",@progbits,_ZL33flash_attn_stream_k_fixup_uniformILi112ELi8ELi2EEvPfPK15HIP_vector_typeIfLj2EEiiiiiiS1_IjLj3EES5_S5_,comdat
	.globl	_ZL33flash_attn_stream_k_fixup_uniformILi112ELi8ELi2EEvPfPK15HIP_vector_typeIfLj2EEiiiiiiS1_IjLj3EES5_S5_ ; -- Begin function _ZL33flash_attn_stream_k_fixup_uniformILi112ELi8ELi2EEvPfPK15HIP_vector_typeIfLj2EEiiiiiiS1_IjLj3EES5_S5_
	.p2align	8
	.type	_ZL33flash_attn_stream_k_fixup_uniformILi112ELi8ELi2EEvPfPK15HIP_vector_typeIfLj2EEiiiiiiS1_IjLj3EES5_S5_,@function
_ZL33flash_attn_stream_k_fixup_uniformILi112ELi8ELi2EEvPfPK15HIP_vector_typeIfLj2EEiiiiiiS1_IjLj3EES5_S5_: ; @_ZL33flash_attn_stream_k_fixup_uniformILi112ELi8ELi2EEvPfPK15HIP_vector_typeIfLj2EEiiiiiiS1_IjLj3EES5_S5_
; %bb.0:
	s_load_dwordx8 s[12:19], s[4:5], 0x1c
	s_load_dwordx2 s[10:11], s[4:5], 0x10
	s_load_dwordx4 s[0:3], s[4:5], 0x3c
	s_waitcnt lgkmcnt(0)
	s_mul_hi_u32 s9, s15, s6
	s_add_i32 s9, s6, s9
	s_lshr_b32 s9, s9, s16
	s_mul_i32 s15, s9, s17
	s_sub_i32 s16, s6, s15
	s_mul_hi_u32 s15, s16, s18
	s_add_i32 s15, s16, s15
	s_lshr_b32 s15, s15, s19
	s_mul_i32 s0, s15, s0
	s_sub_i32 s0, s16, s0
	;; [unrolled: 5-line block ×3, first 2 shown]
	s_lshl_b32 s0, s16, 3
	s_lshl_b32 s17, s1, 1
	s_add_i32 s0, s0, s7
	s_cmp_lt_i32 s0, s10
	s_cselect_b64 s[0:1], -1, 0
	s_add_i32 s17, s17, s8
	s_cmp_lt_i32 s17, s13
	s_cselect_b64 s[2:3], -1, 0
	s_and_b64 s[0:1], s[0:1], s[2:3]
	s_andn2_b64 vcc, exec, s[0:1]
	s_cbranch_vccnz .LBB21_6
; %bb.1:
	s_load_dwordx4 s[0:3], s[4:5], 0x0
	s_mul_i32 s4, s9, s10
	s_mul_i32 s15, s15, s13
	s_add_i32 s4, s4, s7
	s_mul_i32 s4, s4, s11
	s_add_i32 s9, s17, s15
	;; [unrolled: 2-line block ×3, first 2 shown]
	s_mulk_i32 s5, 0x380
	s_mulk_i32 s4, 0x70
	s_add_i32 s4, s4, s5
	v_add_u32_e32 v2, s4, v0
	v_ashrrev_i32_e32 v3, 31, v2
	v_lshlrev_b64 v[2:3], 2, v[2:3]
	s_waitcnt lgkmcnt(0)
	v_mov_b32_e32 v1, s1
	v_add_co_u32_e32 v2, vcc, s0, v2
	v_addc_co_u32_e32 v3, vcc, v1, v3, vcc
	global_load_dword v8, v[2:3], off
	s_mul_i32 s9, s6, s14
	s_lshl_b32 s4, s7, 1
	s_add_i32 s11, s9, s14
	s_add_i32 s0, s4, s8
	s_lshl_b32 s1, s11, 4
	s_add_i32 s0, s0, s1
	s_add_i32 s0, s0, -16
	s_ashr_i32 s1, s0, 31
	s_lshl_b64 s[0:1], s[0:1], 3
	s_add_u32 s0, s2, s0
	s_addc_u32 s1, s3, s1
	s_load_dword s5, s[0:1], 0x4
	s_add_i32 s10, s11, -2
	s_cmp_lt_i32 s10, s9
	s_cbranch_scc1 .LBB21_4
; %bb.2:
	s_lshl_b32 s16, s12, 6
	s_ashr_i32 s17, s16, 31
	s_lshl_b64 s[16:17], s[16:17], 2
	s_add_u32 s10, s2, s16
	s_addc_u32 s13, s3, s17
	s_add_i32 s6, s6, 1
	s_load_dword s0, s[0:1], 0x0
	s_mul_i32 s1, s14, s6
	s_lshl_b32 s6, s1, 4
	s_add_i32 s6, s8, s6
	s_lshl_b32 s12, s12, 4
	s_add_i32 s6, s6, s12
	s_add_i32 s6, s6, s4
	s_sub_i32 s4, s6, 32
	s_mulk_i32 s7, 0xe0
	s_mul_i32 s6, s8, 0x70
	s_mulk_i32 s1, 0x700
	s_add_i32 s6, s6, s7
	s_add_i32 s6, s6, s1
	v_add_u32_e32 v0, s6, v0
	s_add_i32 s11, s11, -1
	v_add_u32_e32 v0, 0xfffff200, v0
	s_waitcnt lgkmcnt(0)
	v_mov_b32_e32 v7, s5
	v_mov_b32_e32 v6, s0
	;; [unrolled: 1-line block ×3, first 2 shown]
	s_mov_b32 s6, 0x3fb8aa3b
	s_mov_b32 s7, 0xc2ce8ed0
	;; [unrolled: 1-line block ×3, first 2 shown]
	v_mov_b32_e32 v5, 0x7f800000
	s_mov_b32 s12, 0xc1a00000
.LBB21_3:                               ; =>This Inner Loop Header: Depth=1
	v_ashrrev_i32_e32 v1, 31, v0
	v_lshlrev_b64 v[10:11], 2, v[0:1]
	v_add_co_u32_e32 v10, vcc, s10, v10
	v_addc_co_u32_e32 v11, vcc, v4, v11, vcc
	global_load_dword v1, v[10:11], off
	s_ashr_i32 s5, s4, 31
	s_lshl_b64 s[0:1], s[4:5], 3
	s_add_u32 s0, s2, s0
	s_addc_u32 s1, s3, s1
	s_load_dwordx2 s[14:15], s[0:1], 0x0
	s_waitcnt vmcnt(1)
	v_mov_b32_e32 v9, v8
	v_max_f32_e32 v8, v6, v6
	v_mov_b32_e32 v10, v7
	s_add_i32 s11, s11, -1
	s_waitcnt lgkmcnt(0)
	v_max_f32_e64 v7, s14, s14
	v_max_f32_e32 v7, v8, v7
	v_sub_f32_e32 v11, s14, v7
	v_sub_f32_e32 v8, v6, v7
	v_mul_f32_e32 v12, 0x3fb8aa3b, v11
	v_mov_b32_e32 v6, v7
	v_mul_f32_e32 v7, 0x3fb8aa3b, v8
	v_fma_f32 v15, v11, s6, -v12
	v_rndne_f32_e32 v16, v12
	v_fma_f32 v13, v8, s6, -v7
	v_rndne_f32_e32 v14, v7
	v_fmac_f32_e32 v15, 0x32a5705f, v11
	v_sub_f32_e32 v12, v12, v16
	v_fmac_f32_e32 v13, 0x32a5705f, v8
	v_sub_f32_e32 v7, v7, v14
	v_add_f32_e32 v12, v12, v15
	v_cvt_i32_f32_e32 v16, v16
	v_add_f32_e32 v7, v7, v13
	v_exp_f32_e32 v12, v12
	v_cvt_i32_f32_e32 v14, v14
	v_exp_f32_e32 v7, v7
	v_cmp_ngt_f32_e32 vcc, s7, v11
	v_ldexp_f32 v12, v12, v16
	v_cmp_ngt_f32_e64 s[0:1], s7, v8
	v_ldexp_f32 v7, v7, v14
	v_cndmask_b32_e32 v12, 0, v12, vcc
	v_cmp_nlt_f32_e32 vcc, s8, v11
	v_cndmask_b32_e64 v7, 0, v7, s[0:1]
	v_cmp_nlt_f32_e64 s[0:1], s8, v8
	v_cndmask_b32_e32 v12, v5, v12, vcc
	v_cmp_le_f32_e32 vcc, s12, v11
	v_cndmask_b32_e64 v7, v5, v7, s[0:1]
	v_cmp_le_f32_e64 s[0:1], s12, v8
	v_cndmask_b32_e32 v8, 0, v12, vcc
	s_add_i32 s4, s4, -16
	v_cndmask_b32_e64 v11, 0, v7, s[0:1]
	v_mul_f32_e32 v7, s15, v8
	v_add_u32_e32 v0, 0xfffff900, v0
	s_cmp_le_i32 s11, s9
	v_fmac_f32_e32 v7, v10, v11
	s_waitcnt vmcnt(0)
	v_mul_f32_e32 v8, v1, v8
	v_fmac_f32_e32 v8, v9, v11
	s_cbranch_scc0 .LBB21_3
	s_branch .LBB21_5
.LBB21_4:
	s_waitcnt lgkmcnt(0)
	v_mov_b32_e32 v7, s5
.LBB21_5:
	s_waitcnt vmcnt(0)
	v_div_scale_f32 v0, s[0:1], v7, v7, v8
	v_rcp_f32_e32 v1, v0
	v_div_scale_f32 v4, vcc, v8, v7, v8
	v_fma_f32 v5, -v0, v1, 1.0
	v_fmac_f32_e32 v1, v5, v1
	v_mul_f32_e32 v5, v4, v1
	v_fma_f32 v6, -v0, v5, v4
	v_fmac_f32_e32 v5, v6, v1
	v_fma_f32 v0, -v0, v5, v4
	v_div_fmas_f32 v0, v0, v1, v5
	v_div_fixup_f32 v0, v0, v7, v8
	global_store_dword v[2:3], v0, off
.LBB21_6:
	s_endpgm
	.section	.rodata,"a",@progbits
	.p2align	6, 0x0
	.amdhsa_kernel _ZL33flash_attn_stream_k_fixup_uniformILi112ELi8ELi2EEvPfPK15HIP_vector_typeIfLj2EEiiiiiiS1_IjLj3EES5_S5_
		.amdhsa_group_segment_fixed_size 0
		.amdhsa_private_segment_fixed_size 0
		.amdhsa_kernarg_size 76
		.amdhsa_user_sgpr_count 6
		.amdhsa_user_sgpr_private_segment_buffer 1
		.amdhsa_user_sgpr_dispatch_ptr 0
		.amdhsa_user_sgpr_queue_ptr 0
		.amdhsa_user_sgpr_kernarg_segment_ptr 1
		.amdhsa_user_sgpr_dispatch_id 0
		.amdhsa_user_sgpr_flat_scratch_init 0
		.amdhsa_user_sgpr_kernarg_preload_length 0
		.amdhsa_user_sgpr_kernarg_preload_offset 0
		.amdhsa_user_sgpr_private_segment_size 0
		.amdhsa_uses_dynamic_stack 0
		.amdhsa_system_sgpr_private_segment_wavefront_offset 0
		.amdhsa_system_sgpr_workgroup_id_x 1
		.amdhsa_system_sgpr_workgroup_id_y 1
		.amdhsa_system_sgpr_workgroup_id_z 1
		.amdhsa_system_sgpr_workgroup_info 0
		.amdhsa_system_vgpr_workitem_id 0
		.amdhsa_next_free_vgpr 17
		.amdhsa_next_free_sgpr 20
		.amdhsa_accum_offset 20
		.amdhsa_reserve_vcc 1
		.amdhsa_reserve_flat_scratch 0
		.amdhsa_float_round_mode_32 0
		.amdhsa_float_round_mode_16_64 0
		.amdhsa_float_denorm_mode_32 3
		.amdhsa_float_denorm_mode_16_64 3
		.amdhsa_dx10_clamp 1
		.amdhsa_ieee_mode 1
		.amdhsa_fp16_overflow 0
		.amdhsa_tg_split 0
		.amdhsa_exception_fp_ieee_invalid_op 0
		.amdhsa_exception_fp_denorm_src 0
		.amdhsa_exception_fp_ieee_div_zero 0
		.amdhsa_exception_fp_ieee_overflow 0
		.amdhsa_exception_fp_ieee_underflow 0
		.amdhsa_exception_fp_ieee_inexact 0
		.amdhsa_exception_int_div_zero 0
	.end_amdhsa_kernel
	.section	.text._ZL33flash_attn_stream_k_fixup_uniformILi112ELi8ELi2EEvPfPK15HIP_vector_typeIfLj2EEiiiiiiS1_IjLj3EES5_S5_,"axG",@progbits,_ZL33flash_attn_stream_k_fixup_uniformILi112ELi8ELi2EEvPfPK15HIP_vector_typeIfLj2EEiiiiiiS1_IjLj3EES5_S5_,comdat
.Lfunc_end21:
	.size	_ZL33flash_attn_stream_k_fixup_uniformILi112ELi8ELi2EEvPfPK15HIP_vector_typeIfLj2EEiiiiiiS1_IjLj3EES5_S5_, .Lfunc_end21-_ZL33flash_attn_stream_k_fixup_uniformILi112ELi8ELi2EEvPfPK15HIP_vector_typeIfLj2EEiiiiiiS1_IjLj3EES5_S5_
                                        ; -- End function
	.section	.AMDGPU.csdata,"",@progbits
; Kernel info:
; codeLenInByte = 856
; NumSgprs: 24
; NumVgprs: 17
; NumAgprs: 0
; TotalNumVgprs: 17
; ScratchSize: 0
; MemoryBound: 0
; FloatMode: 240
; IeeeMode: 1
; LDSByteSize: 0 bytes/workgroup (compile time only)
; SGPRBlocks: 2
; VGPRBlocks: 2
; NumSGPRsForWavesPerEU: 24
; NumVGPRsForWavesPerEU: 17
; AccumOffset: 20
; Occupancy: 8
; WaveLimiterHint : 0
; COMPUTE_PGM_RSRC2:SCRATCH_EN: 0
; COMPUTE_PGM_RSRC2:USER_SGPR: 6
; COMPUTE_PGM_RSRC2:TRAP_HANDLER: 0
; COMPUTE_PGM_RSRC2:TGID_X_EN: 1
; COMPUTE_PGM_RSRC2:TGID_Y_EN: 1
; COMPUTE_PGM_RSRC2:TGID_Z_EN: 1
; COMPUTE_PGM_RSRC2:TIDIG_COMP_CNT: 0
; COMPUTE_PGM_RSRC3_GFX90A:ACCUM_OFFSET: 4
; COMPUTE_PGM_RSRC3_GFX90A:TG_SPLIT: 0
	.section	.text._ZL33flash_attn_stream_k_fixup_generalILi112ELi8ELi2EEvPfPK15HIP_vector_typeIfLj2EEiiiiS1_IjLj3EES5_S5_S5_,"axG",@progbits,_ZL33flash_attn_stream_k_fixup_generalILi112ELi8ELi2EEvPfPK15HIP_vector_typeIfLj2EEiiiiS1_IjLj3EES5_S5_S5_,comdat
	.globl	_ZL33flash_attn_stream_k_fixup_generalILi112ELi8ELi2EEvPfPK15HIP_vector_typeIfLj2EEiiiiS1_IjLj3EES5_S5_S5_ ; -- Begin function _ZL33flash_attn_stream_k_fixup_generalILi112ELi8ELi2EEvPfPK15HIP_vector_typeIfLj2EEiiiiS1_IjLj3EES5_S5_S5_
	.p2align	8
	.type	_ZL33flash_attn_stream_k_fixup_generalILi112ELi8ELi2EEvPfPK15HIP_vector_typeIfLj2EEiiiiS1_IjLj3EES5_S5_S5_,@function
_ZL33flash_attn_stream_k_fixup_generalILi112ELi8ELi2EEvPfPK15HIP_vector_typeIfLj2EEiiiiS1_IjLj3EES5_S5_S5_: ; @_ZL33flash_attn_stream_k_fixup_generalILi112ELi8ELi2EEvPfPK15HIP_vector_typeIfLj2EEiiiiS1_IjLj3EES5_S5_S5_
; %bb.0:
	s_load_dwordx4 s[12:15], s[4:5], 0x10
	s_load_dword s9, s[4:5], 0x50
	s_mov_b32 s2, 0
	s_waitcnt lgkmcnt(0)
	s_mul_hi_i32 s3, s15, s6
	s_cmp_lg_u64 s[2:3], 0
	s_mul_i32 s2, s15, s6
	s_cbranch_scc0 .LBB22_21
; %bb.1:
	v_cvt_f32_u32_e32 v1, s9
	v_cvt_f32_ubyte0_e32 v2, 0
	s_sub_u32 s10, 0, s9
	s_subb_u32 s11, 0, 0
	v_madmk_f32 v1, v2, 0x4f800000, v1
	v_rcp_f32_e32 v1, v1
	v_mul_f32_e32 v1, 0x5f7ffffc, v1
	v_mul_f32_e32 v2, 0x2f800000, v1
	v_trunc_f32_e32 v2, v2
	v_madmk_f32 v1, v2, 0xcf800000, v1
	v_cvt_u32_f32_e32 v2, v2
	v_cvt_u32_f32_e32 v1, v1
	v_readfirstlane_b32 s16, v2
	v_readfirstlane_b32 s17, v1
	s_mul_i32 s18, s10, s16
	s_mul_hi_u32 s20, s10, s17
	s_mul_i32 s19, s11, s17
	s_add_i32 s18, s20, s18
	s_add_i32 s18, s18, s19
	s_mul_i32 s21, s10, s17
	s_mul_hi_u32 s19, s17, s18
	s_mul_i32 s20, s17, s18
	s_mul_hi_u32 s17, s17, s21
	s_add_u32 s17, s17, s20
	s_addc_u32 s19, 0, s19
	s_mul_hi_u32 s22, s16, s21
	s_mul_i32 s21, s16, s21
	s_add_u32 s17, s17, s21
	s_mul_hi_u32 s20, s16, s18
	s_addc_u32 s17, s19, s22
	s_addc_u32 s19, s20, 0
	s_mul_i32 s18, s16, s18
	s_add_u32 s17, s17, s18
	s_addc_u32 s18, 0, s19
	v_add_co_u32_e32 v1, vcc, s17, v1
	s_cmp_lg_u64 vcc, 0
	s_addc_u32 s16, s16, s18
	v_readfirstlane_b32 s18, v1
	s_mul_i32 s17, s10, s16
	s_mul_hi_u32 s19, s10, s18
	s_add_i32 s17, s19, s17
	s_mul_i32 s11, s11, s18
	s_add_i32 s17, s17, s11
	s_mul_i32 s10, s10, s18
	s_mul_hi_u32 s19, s16, s10
	s_mul_i32 s20, s16, s10
	s_mul_i32 s22, s18, s17
	s_mul_hi_u32 s10, s18, s10
	s_mul_hi_u32 s21, s18, s17
	s_add_u32 s10, s10, s22
	s_addc_u32 s18, 0, s21
	s_add_u32 s10, s10, s20
	s_mul_hi_u32 s11, s16, s17
	s_addc_u32 s10, s18, s19
	s_addc_u32 s11, s11, 0
	s_mul_i32 s17, s16, s17
	s_add_u32 s10, s10, s17
	s_addc_u32 s11, 0, s11
	v_add_co_u32_e32 v1, vcc, s10, v1
	s_cmp_lg_u64 vcc, 0
	s_addc_u32 s18, s16, s11
	s_ashr_i32 s10, s3, 31
	s_add_u32 s16, s2, s10
	s_mov_b32 s11, s10
	s_addc_u32 s17, s3, s10
	s_xor_b64 s[16:17], s[16:17], s[10:11]
	v_readfirstlane_b32 s20, v1
	s_mul_i32 s19, s16, s18
	s_mul_hi_u32 s21, s16, s20
	s_mul_hi_u32 s3, s16, s18
	s_add_u32 s19, s21, s19
	s_addc_u32 s3, 0, s3
	s_mul_hi_u32 s22, s17, s20
	s_mul_i32 s20, s17, s20
	s_add_u32 s19, s19, s20
	s_mul_hi_u32 s21, s17, s18
	s_addc_u32 s3, s3, s22
	s_addc_u32 s19, s21, 0
	s_mul_i32 s18, s17, s18
	s_add_u32 s3, s3, s18
	s_addc_u32 s18, 0, s19
	s_add_u32 s19, s3, 1
	s_addc_u32 s20, s18, 0
	s_add_u32 s21, s3, 2
	s_mul_i32 s23, s9, s18
	s_mul_hi_u32 s24, s9, s3
	s_addc_u32 s22, s18, 0
	s_add_i32 s24, s24, s23
	s_mul_i32 s23, s9, s3
	v_mov_b32_e32 v1, s23
	v_sub_co_u32_e32 v1, vcc, s16, v1
	s_cmp_lg_u64 vcc, 0
	s_subb_u32 s16, s17, s24
	v_subrev_co_u32_e32 v2, vcc, s9, v1
	s_cmp_lg_u64 vcc, 0
	s_subb_u32 s17, s16, 0
	v_readfirstlane_b32 s23, v2
	s_cmp_ge_u32 s23, s9
	s_cselect_b32 s23, -1, 0
	s_cmp_eq_u32 s17, 0
	s_cselect_b32 s17, s23, -1
	s_cmp_lg_u32 s17, 0
	s_cselect_b32 s17, s22, s20
	v_readfirstlane_b32 s20, v1
	s_cselect_b32 s19, s21, s19
	s_cmp_ge_u32 s20, s9
	s_cselect_b32 s20, -1, 0
	s_cmp_eq_u32 s16, 0
	s_cselect_b32 s16, s20, -1
	s_cmp_lg_u32 s16, 0
	s_cselect_b32 s17, s17, s18
	s_cselect_b32 s16, s19, s3
	s_xor_b64 s[16:17], s[16:17], s[10:11]
	s_sub_u32 s20, s16, s10
	s_load_dwordx4 s[16:19], s[4:5], 0x44
	s_cbranch_execnz .LBB22_3
.LBB22_2:
	v_cvt_f32_u32_e32 v1, s9
	s_sub_i32 s0, 0, s9
	v_rcp_iflag_f32_e32 v1, v1
	v_mul_f32_e32 v1, 0x4f7ffffe, v1
	v_cvt_u32_f32_e32 v1, v1
	v_readfirstlane_b32 s1, v1
	s_mul_i32 s0, s0, s1
	s_mul_hi_u32 s0, s1, s0
	s_add_i32 s1, s1, s0
	s_mul_hi_u32 s0, s2, s1
	s_mul_i32 s3, s0, s9
	s_sub_i32 s2, s2, s3
	s_add_i32 s1, s0, 1
	s_sub_i32 s3, s2, s9
	s_cmp_ge_u32 s2, s9
	s_cselect_b32 s0, s1, s0
	s_cselect_b32 s2, s3, s2
	s_add_i32 s1, s0, 1
	s_cmp_ge_u32 s2, s9
	s_cselect_b32 s20, s1, s0
.LBB22_3:
	s_add_i32 s0, s6, 1
	s_mul_hi_i32 s3, s15, s0
	s_mov_b32 s2, 0
	s_cmp_lg_u64 s[2:3], 0
	s_mul_i32 s2, s15, s0
	s_cbranch_scc0 .LBB22_22
; %bb.4:
	v_cvt_f32_u32_e32 v1, s9
	v_cvt_f32_ubyte0_e32 v2, 0
	s_sub_u32 s10, 0, s9
	s_subb_u32 s11, 0, 0
	v_madmk_f32 v1, v2, 0x4f800000, v1
	v_rcp_f32_e32 v1, v1
	v_mul_f32_e32 v1, 0x5f7ffffc, v1
	v_mul_f32_e32 v2, 0x2f800000, v1
	v_trunc_f32_e32 v2, v2
	v_madmk_f32 v1, v2, 0xcf800000, v1
	v_cvt_u32_f32_e32 v2, v2
	v_cvt_u32_f32_e32 v1, v1
	s_waitcnt lgkmcnt(0)
	v_readfirstlane_b32 s19, v2
	v_readfirstlane_b32 s21, v1
	s_mul_i32 s22, s10, s19
	s_mul_hi_u32 s24, s10, s21
	s_mul_i32 s23, s11, s21
	s_add_i32 s22, s24, s22
	s_add_i32 s22, s22, s23
	s_mul_i32 s25, s10, s21
	s_mul_hi_u32 s23, s21, s22
	s_mul_i32 s24, s21, s22
	s_mul_hi_u32 s21, s21, s25
	s_add_u32 s21, s21, s24
	s_addc_u32 s23, 0, s23
	s_mul_hi_u32 s26, s19, s25
	s_mul_i32 s25, s19, s25
	s_add_u32 s21, s21, s25
	s_mul_hi_u32 s24, s19, s22
	s_addc_u32 s21, s23, s26
	s_addc_u32 s23, s24, 0
	s_mul_i32 s22, s19, s22
	s_add_u32 s21, s21, s22
	s_addc_u32 s22, 0, s23
	v_add_co_u32_e32 v1, vcc, s21, v1
	s_cmp_lg_u64 vcc, 0
	s_addc_u32 s19, s19, s22
	v_readfirstlane_b32 s22, v1
	s_mul_i32 s21, s10, s19
	s_mul_hi_u32 s23, s10, s22
	s_add_i32 s21, s23, s21
	s_mul_i32 s11, s11, s22
	s_add_i32 s21, s21, s11
	s_mul_i32 s10, s10, s22
	s_mul_hi_u32 s23, s19, s10
	s_mul_i32 s24, s19, s10
	s_mul_i32 s26, s22, s21
	s_mul_hi_u32 s10, s22, s10
	s_mul_hi_u32 s25, s22, s21
	s_add_u32 s10, s10, s26
	s_addc_u32 s22, 0, s25
	s_add_u32 s10, s10, s24
	s_mul_hi_u32 s11, s19, s21
	s_addc_u32 s10, s22, s23
	s_addc_u32 s11, s11, 0
	s_mul_i32 s21, s19, s21
	s_add_u32 s10, s10, s21
	s_addc_u32 s11, 0, s11
	v_add_co_u32_e32 v1, vcc, s10, v1
	s_cmp_lg_u64 vcc, 0
	s_addc_u32 s19, s19, s11
	s_ashr_i32 s10, s3, 31
	s_add_u32 s22, s2, s10
	s_mov_b32 s11, s10
	s_addc_u32 s23, s3, s10
	s_xor_b64 s[22:23], s[22:23], s[10:11]
	v_readfirstlane_b32 s21, v1
	s_mul_i32 s11, s22, s19
	s_mul_hi_u32 s24, s22, s21
	s_mul_hi_u32 s3, s22, s19
	s_add_u32 s11, s24, s11
	s_addc_u32 s3, 0, s3
	s_mul_hi_u32 s25, s23, s21
	s_mul_i32 s21, s23, s21
	s_add_u32 s11, s11, s21
	s_mul_hi_u32 s24, s23, s19
	s_addc_u32 s3, s3, s25
	s_addc_u32 s11, s24, 0
	s_mul_i32 s19, s23, s19
	s_add_u32 s3, s3, s19
	s_addc_u32 s11, 0, s11
	s_mul_i32 s11, s9, s11
	s_mul_hi_u32 s24, s9, s3
	s_add_i32 s24, s24, s11
	s_mul_i32 s11, s9, s3
	v_mov_b32_e32 v1, s11
	s_add_u32 s19, s3, 1
	s_add_u32 s21, s3, 2
	v_sub_co_u32_e32 v1, vcc, s22, v1
	s_cmp_lg_u64 vcc, 0
	s_subb_u32 s11, s23, s24
	v_subrev_co_u32_e32 v2, vcc, s9, v1
	s_cmp_lg_u64 vcc, 0
	s_subb_u32 s22, s11, 0
	v_cmp_le_u32_e32 vcc, s9, v2
	s_cmp_eq_u32 s22, 0
	v_cndmask_b32_e64 v2, 0, -1, vcc
	s_cselect_b64 vcc, -1, 0
	v_cndmask_b32_e32 v2, -1, v2, vcc
	v_mov_b32_e32 v3, s19
	v_mov_b32_e32 v4, s21
	v_cmp_ne_u32_e32 vcc, 0, v2
	v_cndmask_b32_e32 v2, v3, v4, vcc
	v_cmp_le_u32_e32 vcc, s9, v1
	s_cmp_eq_u32 s11, 0
	v_cndmask_b32_e64 v1, 0, -1, vcc
	s_cselect_b64 vcc, -1, 0
	v_cndmask_b32_e32 v1, -1, v1, vcc
	v_mov_b32_e32 v3, s3
	v_cmp_ne_u32_e32 vcc, 0, v1
	v_cndmask_b32_e32 v1, v3, v2, vcc
	v_xor_b32_e32 v1, s10, v1
	v_subrev_co_u32_e32 v2, vcc, s10, v1
	s_cbranch_execnz .LBB22_6
.LBB22_5:
	v_cvt_f32_u32_e32 v1, s9
	s_sub_i32 s0, 0, s9
	s_mov_b32 s1, 0
	v_rcp_iflag_f32_e32 v1, v1
	v_mul_f32_e32 v1, 0x4f7ffffe, v1
	v_cvt_u32_f32_e32 v1, v1
	v_readfirstlane_b32 s3, v1
	s_mul_i32 s0, s0, s3
	s_mul_hi_u32 s0, s3, s0
	s_add_i32 s3, s3, s0
	s_mul_hi_u32 s0, s2, s3
	s_mul_i32 s10, s0, s9
	s_sub_i32 s2, s2, s10
	s_add_i32 s3, s0, 1
	s_sub_i32 s10, s2, s9
	s_cmp_ge_u32 s2, s9
	s_cselect_b32 s0, s3, s0
	s_cselect_b32 s2, s10, s2
	s_add_i32 s3, s0, 1
	s_cmp_ge_u32 s2, s9
	s_cselect_b32 s0, s3, s0
	v_pk_mov_b32 v[2:3], s[0:1], s[0:1] op_sel:[0,1]
.LBB22_6:
	s_waitcnt lgkmcnt(0)
	s_mul_hi_u32 s0, s20, s16
	s_add_i32 s0, s0, s20
	v_mul_hi_u32 v1, v2, s16
	s_lshr_b32 s19, s0, s17
	v_add_u32_e32 v1, v1, v2
	s_mul_i32 s0, s19, s18
	v_lshrrev_b32_e32 v1, s17, v1
	s_cmp_eq_u32 s0, s20
	v_cmp_eq_u32_e64 s[0:1], s19, v1
	v_mul_lo_u32 v1, v1, s18
	v_cmp_eq_u32_e32 vcc, s20, v2
	s_cselect_b64 s[10:11], -1, 0
	v_cmp_ne_u32_e64 s[2:3], v1, v2
	s_and_b64 s[0:1], s[0:1], s[2:3]
	s_or_b64 s[2:3], vcc, s[10:11]
	s_or_b64 s[0:1], s[2:3], s[0:1]
	s_and_b64 vcc, exec, s[0:1]
	s_cbranch_vccnz .LBB22_24
; %bb.7:
	s_load_dwordx8 s[24:31], s[4:5], 0x20
	s_load_dword s0, s[4:5], 0x40
	s_mov_b32 s10, 0
	s_waitcnt lgkmcnt(0)
	s_mul_hi_u32 s1, s20, s24
	s_add_i32 s1, s1, s20
	s_lshr_b32 s11, s1, s25
	s_mul_i32 s1, s11, s26
	s_sub_i32 s1, s20, s1
	s_mul_hi_u32 s2, s1, s27
	s_add_i32 s2, s1, s2
	s_lshr_b32 s23, s2, s28
	s_mul_i32 s2, s23, s29
	s_sub_i32 s1, s1, s2
	;; [unrolled: 5-line block ×3, first 2 shown]
	s_mul_hi_u32 s1, s0, s16
	s_add_i32 s0, s0, s1
	s_lshr_b32 s24, s0, s17
	s_lshl_b32 s0, s24, 3
	s_lshl_b32 s25, s2, 1
	s_add_i32 s0, s0, s7
	s_cmp_lt_i32 s0, s12
	s_cselect_b64 s[0:1], -1, 0
	s_add_i32 s25, s25, s8
	s_cmp_lt_i32 s25, s14
	s_cselect_b64 s[2:3], -1, 0
	s_and_b64 s[0:1], s[0:1], s[2:3]
	s_andn2_b64 vcc, exec, s[0:1]
	s_cbranch_vccnz .LBB22_24
; %bb.8:
	s_load_dwordx4 s[0:3], s[4:5], 0x0
	s_lshl_b32 s4, s7, 1
	s_add_i32 s8, s4, s8
	s_lshl_b32 s4, s9, 6
	s_mov_b32 s5, s10
	s_lshl_b64 s[4:5], s[4:5], 2
	s_waitcnt lgkmcnt(0)
	s_add_u32 s21, s2, s4
	s_mul_i32 s4, s11, s12
	s_addc_u32 s22, s3, s5
	s_mul_i32 s23, s23, s14
	s_add_i32 s4, s4, s7
	s_mul_i32 s4, s4, s13
	s_add_i32 s7, s25, s23
	;; [unrolled: 2-line block ×3, first 2 shown]
	s_mulk_i32 s5, 0x380
	s_mulk_i32 s4, 0x70
	s_add_i32 s5, s5, s4
	v_add_u32_e32 v2, s5, v0
	v_ashrrev_i32_e32 v3, 31, v2
	v_lshlrev_b64 v[2:3], 2, v[2:3]
	v_mov_b32_e32 v1, s1
	v_add_co_u32_e32 v2, vcc, s0, v2
	v_addc_co_u32_e32 v3, vcc, v1, v3, vcc
	global_load_dword v5, v[2:3], off
	s_mul_i32 s4, s8, 0x70
	v_add_u32_e32 v4, s4, v0
	v_cvt_f32_u32_e32 v0, s9
	v_cvt_f32_ubyte0_e32 v1, 0
	s_lshl_b32 s0, s6, 4
	s_add_i32 s0, s8, s0
	v_mac_f32_e32 v0, 0x4f800000, v1
	v_rcp_f32_e32 v0, v0
	v_cvt_f32_u32_e32 v1, s9
	s_ashr_i32 s1, s0, 31
	s_lshl_b64 s[0:1], s[0:1], 3
	v_mul_f32_e32 v0, 0x5f7ffffc, v0
	v_rcp_iflag_f32_e32 v1, v1
	s_add_u32 s0, s2, s0
	v_mul_f32_e32 v9, 0x2f800000, v0
	s_addc_u32 s1, s3, s1
	v_trunc_f32_e32 v10, v9
	s_load_dwordx2 s[0:1], s[0:1], 0x0
	v_mac_f32_e32 v0, 0xcf800000, v10
	v_cvt_u32_f32_e32 v9, v0
	v_mul_f32_e32 v0, 0x4f7ffffe, v1
	v_cvt_u32_f32_e32 v10, v10
	v_cvt_u32_f32_e32 v11, v0
	s_add_i32 s12, s6, -1
	s_waitcnt lgkmcnt(0)
	v_mov_b32_e32 v6, s1
	v_mov_b32_e32 v7, s0
	;; [unrolled: 1-line block ×3, first 2 shown]
	s_mov_b32 s6, 0x3fb8aa3b
	s_mov_b32 s7, 0xc2ce8ed0
	;; [unrolled: 1-line block ×4, first 2 shown]
	v_mov_b32_e32 v12, 0x7f800000
	s_mul_hi_i32 s11, s12, s15
	s_cmp_lg_u64 s[10:11], 0
	s_mul_i32 s4, s12, s15
	s_cbranch_scc0 .LBB22_15
.LBB22_9:
	s_sub_u32 s0, 0, s9
	v_readfirstlane_b32 s5, v9
	v_readfirstlane_b32 s24, v10
	s_subb_u32 s1, 0, 0
	s_mul_hi_u32 s23, s0, s5
	s_mul_i32 s25, s0, s24
	s_mul_i32 s20, s1, s5
	s_add_i32 s23, s23, s25
	s_add_i32 s23, s23, s20
	s_mul_i32 s26, s0, s5
	s_mul_hi_u32 s20, s5, s23
	s_mul_i32 s25, s5, s23
	s_mul_hi_u32 s5, s5, s26
	s_add_u32 s5, s5, s25
	s_addc_u32 s20, 0, s20
	s_mul_hi_u32 s27, s24, s26
	s_mul_i32 s26, s24, s26
	s_add_u32 s5, s5, s26
	s_mul_hi_u32 s25, s24, s23
	s_addc_u32 s5, s20, s27
	s_addc_u32 s20, s25, 0
	s_mul_i32 s23, s24, s23
	s_add_u32 s5, s5, s23
	s_addc_u32 s20, 0, s20
	v_add_co_u32_e32 v0, vcc, s5, v9
	s_cmp_lg_u64 vcc, 0
	s_addc_u32 s5, s24, s20
	v_readfirstlane_b32 s23, v0
	s_mul_i32 s20, s0, s5
	s_mul_hi_u32 s24, s0, s23
	s_add_i32 s20, s24, s20
	s_mul_i32 s1, s1, s23
	s_add_i32 s20, s20, s1
	s_mul_i32 s0, s0, s23
	s_mul_hi_u32 s24, s5, s0
	s_mul_i32 s25, s5, s0
	s_mul_i32 s27, s23, s20
	s_mul_hi_u32 s0, s23, s0
	s_mul_hi_u32 s26, s23, s20
	s_add_u32 s0, s0, s27
	s_addc_u32 s23, 0, s26
	s_add_u32 s0, s0, s25
	s_mul_hi_u32 s1, s5, s20
	s_addc_u32 s0, s23, s24
	s_addc_u32 s1, s1, 0
	s_mul_i32 s20, s5, s20
	s_add_u32 s0, s0, s20
	s_addc_u32 s1, 0, s1
	v_add_co_u32_e32 v0, vcc, s0, v0
	s_cmp_lg_u64 vcc, 0
	s_addc_u32 s5, s5, s1
	s_ashr_i32 s0, s11, 31
	s_add_u32 s24, s4, s0
	s_mov_b32 s1, s0
	s_addc_u32 s25, s11, s0
	s_xor_b64 s[24:25], s[24:25], s[0:1]
	v_readfirstlane_b32 s20, v0
	s_mul_i32 s11, s24, s5
	s_mul_hi_u32 s23, s24, s20
	s_mul_hi_u32 s1, s24, s5
	s_add_u32 s11, s23, s11
	s_addc_u32 s1, 0, s1
	s_mul_hi_u32 s26, s25, s20
	s_mul_i32 s20, s25, s20
	s_add_u32 s11, s11, s20
	s_mul_hi_u32 s23, s25, s5
	s_addc_u32 s1, s1, s26
	s_addc_u32 s11, s23, 0
	s_mul_i32 s5, s25, s5
	s_add_u32 s1, s1, s5
	s_addc_u32 s5, 0, s11
	s_mul_i32 s5, s9, s5
	s_mul_hi_u32 s23, s9, s1
	s_add_i32 s23, s23, s5
	s_mul_i32 s5, s9, s1
	v_mov_b32_e32 v0, s5
	s_add_u32 s11, s1, 1
	s_add_u32 s20, s1, 2
	v_sub_co_u32_e32 v0, vcc, s24, v0
	s_cmp_lg_u64 vcc, 0
	s_subb_u32 s5, s25, s23
	v_subrev_co_u32_e32 v1, vcc, s9, v0
	s_cmp_lg_u64 vcc, 0
	s_subb_u32 s23, s5, 0
	v_cmp_le_u32_e32 vcc, s9, v1
	s_cmp_eq_u32 s23, 0
	v_cndmask_b32_e64 v1, 0, -1, vcc
	s_cselect_b64 vcc, -1, 0
	v_cndmask_b32_e32 v1, -1, v1, vcc
	v_mov_b32_e32 v13, s11
	v_mov_b32_e32 v14, s20
	v_cmp_ne_u32_e32 vcc, 0, v1
	v_cndmask_b32_e32 v1, v13, v14, vcc
	v_cmp_le_u32_e32 vcc, s9, v0
	s_cmp_eq_u32 s5, 0
	v_cndmask_b32_e64 v0, 0, -1, vcc
	s_cselect_b64 vcc, -1, 0
	v_cndmask_b32_e32 v0, -1, v0, vcc
	v_mov_b32_e32 v13, s1
	v_cmp_ne_u32_e32 vcc, 0, v0
	v_cndmask_b32_e32 v0, v13, v1, vcc
	v_xor_b32_e32 v0, s0, v0
	v_subrev_co_u32_e32 v0, vcc, s0, v0
	s_cbranch_execnz .LBB22_11
.LBB22_10:
	s_sub_i32 s0, 0, s9
	v_mul_lo_u32 v0, s0, v11
	v_mul_hi_u32 v0, v11, v0
	v_add_u32_e32 v0, v11, v0
	v_mul_hi_u32 v0, s4, v0
	v_mul_lo_u32 v13, v0, s9
	v_sub_u32_e32 v13, s4, v13
	v_add_u32_e32 v1, 1, v0
	v_subrev_u32_e32 v14, s9, v13
	v_cmp_le_u32_e32 vcc, s9, v13
	v_cndmask_b32_e32 v13, v13, v14, vcc
	v_cndmask_b32_e32 v0, v0, v1, vcc
	v_add_u32_e32 v1, 1, v0
	v_cmp_le_u32_e32 vcc, s9, v13
	v_cndmask_b32_e32 v0, v0, v1, vcc
.LBB22_11:
	v_cmp_ne_u32_e32 vcc, v8, v0
	s_cbranch_vccz .LBB22_14
; %bb.12:
	s_add_i32 s0, s12, s9
	s_lshl_b32 s0, s0, 4
	v_mul_hi_u32 v1, v0, s16
	s_add_i32 s0, s0, s8
	s_mov_b32 s1, s10
	v_add_u32_e32 v1, v1, v0
	s_lshl_b64 s[0:1], s[0:1], 3
	v_lshrrev_b32_e32 v1, s17, v1
	s_add_u32 s4, s2, s0
	v_mul_lo_u32 v13, v1, s18
	s_addc_u32 s5, s3, s1
	v_cmp_eq_u32_e32 vcc, v13, v0
	v_cmp_gt_u32_e64 s[0:1], s19, v1
	s_or_b64 s[0:1], s[0:1], vcc
	s_and_b64 vcc, exec, s[0:1]
	s_cbranch_vccnz .LBB22_16
; %bb.13:
	s_add_i32 s11, s12, -1
	s_mov_b64 s[0:1], 0
	s_branch .LBB22_17
.LBB22_14:
                                        ; implicit-def: $sgpr0_sgpr1
                                        ; implicit-def: $vgpr14
                                        ; implicit-def: $vgpr1
                                        ; implicit-def: $vgpr13
                                        ; implicit-def: $sgpr11
                                        ; implicit-def: $vgpr0
	s_branch .LBB22_18
.LBB22_15:
                                        ; implicit-def: $vgpr0_vgpr1
	s_branch .LBB22_10
.LBB22_16:
	s_mov_b64 s[0:1], -1
	s_mov_b32 s11, s12
	v_mov_b32_e32 v0, v8
.LBB22_17:
	s_mul_i32 s20, s12, 0x700
	v_add_u32_e32 v14, s20, v4
	v_ashrrev_i32_e32 v15, 31, v14
	v_lshlrev_b64 v[14:15], 2, v[14:15]
	v_mov_b32_e32 v1, s22
	v_add_co_u32_e32 v14, vcc, s21, v14
	v_addc_co_u32_e32 v15, vcc, v1, v15, vcc
	global_load_dword v14, v[14:15], off
	s_load_dwordx2 s[4:5], s[4:5], 0x0
	v_max_f32_e32 v1, v7, v7
	s_waitcnt lgkmcnt(0)
	v_max_f32_e64 v13, s4, s4
	v_max_f32_e32 v1, v1, v13
	v_sub_f32_e32 v13, v7, v1
	v_sub_f32_e32 v15, s4, v1
	v_mul_f32_e32 v16, 0x3fb8aa3b, v13
	v_mul_f32_e32 v17, 0x3fb8aa3b, v15
	v_fma_f32 v18, v13, s6, -v16
	v_rndne_f32_e32 v19, v16
	v_fma_f32 v20, v15, s6, -v17
	v_rndne_f32_e32 v21, v17
	v_fmac_f32_e32 v18, 0x32a5705f, v13
	v_sub_f32_e32 v16, v16, v19
	v_fmac_f32_e32 v20, 0x32a5705f, v15
	v_sub_f32_e32 v17, v17, v21
	v_add_f32_e32 v16, v16, v18
	v_cvt_i32_f32_e32 v19, v19
	v_add_f32_e32 v17, v17, v20
	v_exp_f32_e32 v16, v16
	v_cvt_i32_f32_e32 v21, v21
	v_exp_f32_e32 v17, v17
	v_cmp_ngt_f32_e32 vcc, s7, v13
	v_ldexp_f32 v16, v16, v19
	v_cndmask_b32_e32 v16, 0, v16, vcc
	v_ldexp_f32 v17, v17, v21
	v_cmp_ngt_f32_e32 vcc, s7, v15
	v_cndmask_b32_e32 v17, 0, v17, vcc
	v_cmp_nlt_f32_e32 vcc, s13, v13
	v_cndmask_b32_e32 v16, v12, v16, vcc
	v_cmp_nlt_f32_e32 vcc, s13, v15
	v_cndmask_b32_e32 v17, v12, v17, vcc
	v_cmp_le_f32_e32 vcc, s14, v13
	v_cndmask_b32_e32 v16, 0, v16, vcc
	v_cmp_le_f32_e32 vcc, s14, v15
	v_cndmask_b32_e32 v15, 0, v17, vcc
	v_mul_f32_e32 v13, s5, v15
	v_fmac_f32_e32 v13, v6, v16
	s_waitcnt vmcnt(0)
	v_mul_f32_e32 v14, v14, v15
	v_fmac_f32_e32 v14, v5, v16
	s_cbranch_execnz .LBB22_19
.LBB22_18:
	s_add_i32 s11, s12, -1
	s_mov_b64 s[0:1], 0
	v_mov_b32_e32 v0, v8
	v_mov_b32_e32 v13, v6
	;; [unrolled: 1-line block ×3, first 2 shown]
	s_waitcnt vmcnt(0)
	v_mov_b32_e32 v14, v5
.LBB22_19:
	s_andn2_b64 vcc, exec, s[0:1]
	s_cbranch_vccz .LBB22_23
; %bb.20:
	v_mov_b32_e32 v8, v0
	s_mov_b32 s12, s11
	v_mov_b32_e32 v6, v13
	v_mov_b32_e32 v7, v1
	s_waitcnt vmcnt(0)
	v_mov_b32_e32 v5, v14
	s_mul_hi_i32 s11, s12, s15
	s_cmp_lg_u64 s[10:11], 0
	s_mul_i32 s4, s12, s15
	s_cbranch_scc1 .LBB22_9
	s_branch .LBB22_15
.LBB22_21:
                                        ; implicit-def: $sgpr20_sgpr21
	s_load_dwordx4 s[16:19], s[4:5], 0x44
	s_branch .LBB22_2
.LBB22_22:
                                        ; implicit-def: $vgpr2_vgpr3
	s_branch .LBB22_5
.LBB22_23:
	v_div_scale_f32 v0, s[0:1], v13, v13, v14
	v_rcp_f32_e32 v1, v0
	v_div_scale_f32 v4, vcc, v14, v13, v14
	s_waitcnt vmcnt(0)
	v_fma_f32 v5, -v0, v1, 1.0
	v_fmac_f32_e32 v1, v5, v1
	v_mul_f32_e32 v5, v4, v1
	v_fma_f32 v6, -v0, v5, v4
	v_fmac_f32_e32 v5, v6, v1
	v_fma_f32 v0, -v0, v5, v4
	v_div_fmas_f32 v0, v0, v1, v5
	v_div_fixup_f32 v0, v0, v13, v14
	global_store_dword v[2:3], v0, off
.LBB22_24:
	s_endpgm
	.section	.rodata,"a",@progbits
	.p2align	6, 0x0
	.amdhsa_kernel _ZL33flash_attn_stream_k_fixup_generalILi112ELi8ELi2EEvPfPK15HIP_vector_typeIfLj2EEiiiiS1_IjLj3EES5_S5_S5_
		.amdhsa_group_segment_fixed_size 0
		.amdhsa_private_segment_fixed_size 0
		.amdhsa_kernarg_size 336
		.amdhsa_user_sgpr_count 6
		.amdhsa_user_sgpr_private_segment_buffer 1
		.amdhsa_user_sgpr_dispatch_ptr 0
		.amdhsa_user_sgpr_queue_ptr 0
		.amdhsa_user_sgpr_kernarg_segment_ptr 1
		.amdhsa_user_sgpr_dispatch_id 0
		.amdhsa_user_sgpr_flat_scratch_init 0
		.amdhsa_user_sgpr_kernarg_preload_length 0
		.amdhsa_user_sgpr_kernarg_preload_offset 0
		.amdhsa_user_sgpr_private_segment_size 0
		.amdhsa_uses_dynamic_stack 0
		.amdhsa_system_sgpr_private_segment_wavefront_offset 0
		.amdhsa_system_sgpr_workgroup_id_x 1
		.amdhsa_system_sgpr_workgroup_id_y 1
		.amdhsa_system_sgpr_workgroup_id_z 1
		.amdhsa_system_sgpr_workgroup_info 0
		.amdhsa_system_vgpr_workitem_id 0
		.amdhsa_next_free_vgpr 22
		.amdhsa_next_free_sgpr 32
		.amdhsa_accum_offset 24
		.amdhsa_reserve_vcc 1
		.amdhsa_reserve_flat_scratch 0
		.amdhsa_float_round_mode_32 0
		.amdhsa_float_round_mode_16_64 0
		.amdhsa_float_denorm_mode_32 3
		.amdhsa_float_denorm_mode_16_64 3
		.amdhsa_dx10_clamp 1
		.amdhsa_ieee_mode 1
		.amdhsa_fp16_overflow 0
		.amdhsa_tg_split 0
		.amdhsa_exception_fp_ieee_invalid_op 0
		.amdhsa_exception_fp_denorm_src 0
		.amdhsa_exception_fp_ieee_div_zero 0
		.amdhsa_exception_fp_ieee_overflow 0
		.amdhsa_exception_fp_ieee_underflow 0
		.amdhsa_exception_fp_ieee_inexact 0
		.amdhsa_exception_int_div_zero 0
	.end_amdhsa_kernel
	.section	.text._ZL33flash_attn_stream_k_fixup_generalILi112ELi8ELi2EEvPfPK15HIP_vector_typeIfLj2EEiiiiS1_IjLj3EES5_S5_S5_,"axG",@progbits,_ZL33flash_attn_stream_k_fixup_generalILi112ELi8ELi2EEvPfPK15HIP_vector_typeIfLj2EEiiiiS1_IjLj3EES5_S5_S5_,comdat
.Lfunc_end22:
	.size	_ZL33flash_attn_stream_k_fixup_generalILi112ELi8ELi2EEvPfPK15HIP_vector_typeIfLj2EEiiiiS1_IjLj3EES5_S5_S5_, .Lfunc_end22-_ZL33flash_attn_stream_k_fixup_generalILi112ELi8ELi2EEvPfPK15HIP_vector_typeIfLj2EEiiiiS1_IjLj3EES5_S5_S5_
                                        ; -- End function
	.section	.AMDGPU.csdata,"",@progbits
; Kernel info:
; codeLenInByte = 2828
; NumSgprs: 36
; NumVgprs: 22
; NumAgprs: 0
; TotalNumVgprs: 22
; ScratchSize: 0
; MemoryBound: 0
; FloatMode: 240
; IeeeMode: 1
; LDSByteSize: 0 bytes/workgroup (compile time only)
; SGPRBlocks: 4
; VGPRBlocks: 2
; NumSGPRsForWavesPerEU: 36
; NumVGPRsForWavesPerEU: 22
; AccumOffset: 24
; Occupancy: 8
; WaveLimiterHint : 0
; COMPUTE_PGM_RSRC2:SCRATCH_EN: 0
; COMPUTE_PGM_RSRC2:USER_SGPR: 6
; COMPUTE_PGM_RSRC2:TRAP_HANDLER: 0
; COMPUTE_PGM_RSRC2:TGID_X_EN: 1
; COMPUTE_PGM_RSRC2:TGID_Y_EN: 1
; COMPUTE_PGM_RSRC2:TGID_Z_EN: 1
; COMPUTE_PGM_RSRC2:TIDIG_COMP_CNT: 0
; COMPUTE_PGM_RSRC3_GFX90A:ACCUM_OFFSET: 5
; COMPUTE_PGM_RSRC3_GFX90A:TG_SPLIT: 0
	.section	.text._ZL26flash_attn_combine_resultsILi112EEvPKfPK15HIP_vector_typeIfLj2EEPfi,"axG",@progbits,_ZL26flash_attn_combine_resultsILi112EEvPKfPK15HIP_vector_typeIfLj2EEPfi,comdat
	.globl	_ZL26flash_attn_combine_resultsILi112EEvPKfPK15HIP_vector_typeIfLj2EEPfi ; -- Begin function _ZL26flash_attn_combine_resultsILi112EEvPKfPK15HIP_vector_typeIfLj2EEPfi
	.p2align	8
	.type	_ZL26flash_attn_combine_resultsILi112EEvPKfPK15HIP_vector_typeIfLj2EEPfi,@function
_ZL26flash_attn_combine_resultsILi112EEvPKfPK15HIP_vector_typeIfLj2EEPfi: ; @_ZL26flash_attn_combine_resultsILi112EEvPKfPK15HIP_vector_typeIfLj2EEPfi
; %bb.0:
	s_load_dwordx2 s[0:1], s[4:5], 0x20
	s_load_dword s21, s[4:5], 0x18
	s_load_dwordx4 s[16:19], s[4:5], 0x0
	s_load_dwordx2 s[14:15], s[4:5], 0x10
	s_waitcnt lgkmcnt(0)
	s_mul_i32 s0, s0, s8
	s_add_i32 s0, s0, s6
	s_mul_i32 s20, s0, s1
	s_add_i32 s20, s20, s7
	s_lshl_b32 s10, s21, 1
	s_mul_i32 s0, s20, s21
	v_cmp_gt_i32_e32 vcc, s10, v0
	s_and_saveexec_b64 s[2:3], vcc
	s_cbranch_execz .LBB23_13
; %bb.1:
	v_xad_u32 v1, v0, -1, s10
	s_movk_i32 s4, 0x6f
	s_ashr_i32 s1, s0, 31
	v_cmp_lt_u32_e32 vcc, s4, v1
	s_mov_b64 s[6:7], -1
	v_mov_b32_e32 v2, v0
	s_and_saveexec_b64 s[4:5], vcc
	s_cbranch_execz .LBB23_10
; %bb.2:
	v_lshrrev_b32_e32 v1, 4, v1
	s_mov_b32 s6, 0x24924925
	v_mul_hi_u32 v6, v1, s6
	s_lshl_b64 s[6:7], s[0:1], 3
	v_add_u32_e32 v2, -1, v6
	s_add_u32 s11, s18, s6
	v_add_u32_e32 v1, 0x70, v0
	v_lshrrev_b32_e32 v3, 1, v2
	s_addc_u32 s12, s19, s7
	v_add_u32_e32 v7, 1, v3
	v_cmp_lt_u32_e32 vcc, 13, v2
	v_mov_b32_e32 v4, 0
	v_pk_mov_b32 v[2:3], v[0:1], v[0:1] op_sel:[0,1]
	s_and_saveexec_b64 s[6:7], vcc
	s_cbranch_execz .LBB23_6
; %bb.3:
	v_and_b32_e32 v8, -8, v7
	s_mov_b32 s13, 0
	v_lshl_add_u32 v9, v0, 2, 0
	s_mov_b64 s[8:9], 0
	v_mov_b32_e32 v10, s12
	v_mov_b32_e32 v5, 0
	v_pk_mov_b32 v[2:3], v[0:1], v[0:1] op_sel:[0,1]
.LBB23_4:                               ; =>This Inner Loop Header: Depth=1
	v_mov_b32_e32 v4, v2
	v_lshlrev_b64 v[26:27], 2, v[4:5]
	v_add_u32_e32 v12, 0xe0, v3
	v_mov_b32_e32 v13, v5
	v_add_co_u32_e32 v26, vcc, s11, v26
	v_lshlrev_b64 v[12:13], 2, v[12:13]
	v_addc_co_u32_e32 v27, vcc, v10, v27, vcc
	v_add_u32_e32 v14, 0x1c0, v3
	v_mov_b32_e32 v15, v5
	v_add_co_u32_e32 v12, vcc, s11, v12
	v_lshlrev_b64 v[14:15], 2, v[14:15]
	v_addc_co_u32_e32 v13, vcc, v10, v13, vcc
	v_add_u32_e32 v16, 0x2a0, v3
	v_mov_b32_e32 v17, v5
	v_add_co_u32_e32 v14, vcc, s11, v14
	v_lshlrev_b64 v[16:17], 2, v[16:17]
	v_addc_co_u32_e32 v15, vcc, v10, v15, vcc
	v_add_u32_e32 v18, 0x380, v3
	v_mov_b32_e32 v19, v5
	v_add_co_u32_e32 v16, vcc, s11, v16
	v_lshlrev_b64 v[18:19], 2, v[18:19]
	v_addc_co_u32_e32 v17, vcc, v10, v17, vcc
	v_add_u32_e32 v20, 0x460, v3
	v_mov_b32_e32 v21, v5
	v_add_co_u32_e32 v18, vcc, s11, v18
	v_lshlrev_b64 v[20:21], 2, v[20:21]
	v_addc_co_u32_e32 v19, vcc, v10, v19, vcc
	v_add_u32_e32 v22, 0x540, v3
	v_mov_b32_e32 v23, v5
	v_add_co_u32_e32 v20, vcc, s11, v20
	v_lshlrev_b64 v[22:23], 2, v[22:23]
	v_addc_co_u32_e32 v21, vcc, v10, v21, vcc
	v_add_u32_e32 v24, 0x620, v3
	v_mov_b32_e32 v25, v5
	v_add_co_u32_e32 v22, vcc, s11, v22
	v_lshlrev_b64 v[24:25], 2, v[24:25]
	v_addc_co_u32_e32 v23, vcc, v10, v23, vcc
	v_mov_b32_e32 v4, v3
	v_add_co_u32_e32 v24, vcc, s11, v24
	v_lshlrev_b64 v[28:29], 2, v[4:5]
	v_addc_co_u32_e32 v25, vcc, v10, v25, vcc
	v_add_u32_e32 v4, 0xe0, v2
	v_add_co_u32_e32 v28, vcc, s11, v28
	v_addc_co_u32_e32 v29, vcc, v10, v29, vcc
	global_load_dword v1, v[26:27], off
	v_lshlrev_b64 v[26:27], 2, v[4:5]
	v_add_u32_e32 v4, 0x1c0, v2
	v_add_co_u32_e32 v26, vcc, s11, v26
	v_addc_co_u32_e32 v27, vcc, v10, v27, vcc
	v_lshlrev_b64 v[30:31], 2, v[4:5]
	v_add_u32_e32 v4, 0x2a0, v2
	global_load_dword v11, v[28:29], off
	global_load_dword v32, v[26:27], off
	;; [unrolled: 1-line block ×3, first 2 shown]
	v_add_co_u32_e32 v12, vcc, s11, v30
	v_addc_co_u32_e32 v13, vcc, v10, v31, vcc
	v_lshlrev_b64 v[26:27], 2, v[4:5]
	v_add_u32_e32 v4, 0x380, v2
	v_add_co_u32_e32 v26, vcc, s11, v26
	v_addc_co_u32_e32 v27, vcc, v10, v27, vcc
	v_lshlrev_b64 v[28:29], 2, v[4:5]
	v_add_u32_e32 v4, 0x460, v2
	global_load_dword v30, v[12:13], off
	global_load_dword v31, v[14:15], off
	;; [unrolled: 1-line block ×4, first 2 shown]
	v_add_co_u32_e32 v12, vcc, s11, v28
	v_addc_co_u32_e32 v13, vcc, v10, v29, vcc
	v_lshlrev_b64 v[14:15], 2, v[4:5]
	v_add_u32_e32 v4, 0x540, v2
	v_add_co_u32_e32 v14, vcc, s11, v14
	v_addc_co_u32_e32 v15, vcc, v10, v15, vcc
	v_lshlrev_b64 v[16:17], 2, v[4:5]
	v_add_u32_e32 v4, 0x620, v2
	global_load_dword v26, v[12:13], off
	global_load_dword v27, v[18:19], off
	;; [unrolled: 1-line block ×4, first 2 shown]
	v_add_co_u32_e32 v12, vcc, s11, v16
	v_addc_co_u32_e32 v13, vcc, v10, v17, vcc
	v_lshlrev_b64 v[14:15], 2, v[4:5]
	v_add_co_u32_e32 v14, vcc, s11, v14
	v_addc_co_u32_e32 v15, vcc, v10, v15, vcc
	global_load_dword v16, v[12:13], off
	global_load_dword v17, v[22:23], off
	;; [unrolled: 1-line block ×4, first 2 shown]
	v_add_u32_e32 v8, -8, v8
	s_add_i32 s13, s13, 16
	v_cmp_eq_u32_e32 vcc, 0, v8
	v_add_u32_e32 v12, 0x200, v9
	v_add_u32_e32 v13, 0x600, v9
	;; [unrolled: 1-line block ×8, first 2 shown]
	v_mov_b32_e32 v4, s13
	s_or_b64 s[8:9], vcc, s[8:9]
	v_add_u32_e32 v2, 0x700, v2
	s_waitcnt vmcnt(14)
	ds_write2_b32 v9, v1, v11 offset1:112
	v_add_u32_e32 v9, 0x1c00, v9
	s_waitcnt vmcnt(12)
	ds_write2_b32 v12, v32, v33 offset0:96 offset1:208
	s_waitcnt vmcnt(10)
	ds_write2_b32 v13, v30, v31 offset0:64 offset1:176
	;; [unrolled: 2-line block ×7, first 2 shown]
	s_andn2_b64 exec, exec, s[8:9]
	s_cbranch_execnz .LBB23_4
; %bb.5:
	s_or_b64 exec, exec, s[8:9]
.LBB23_6:
	s_or_b64 exec, exec, s[6:7]
	v_and_b32_e32 v1, 7, v7
	v_cmp_ne_u32_e32 vcc, 0, v1
	s_and_saveexec_b64 s[6:7], vcc
	s_cbranch_execz .LBB23_9
; %bb.7:
	s_movk_i32 s8, 0x1c0
	v_mul_lo_u32 v4, v4, s8
	v_lshlrev_b32_e32 v5, 2, v0
	v_add3_u32 v7, v4, v5, 0
	s_mov_b64 s[8:9], 0
	v_mov_b32_e32 v8, s12
	v_mov_b32_e32 v5, 0
.LBB23_8:                               ; =>This Inner Loop Header: Depth=1
	v_mov_b32_e32 v4, v2
	v_lshlrev_b64 v[10:11], 2, v[4:5]
	v_mov_b32_e32 v4, v3
	v_add_co_u32_e32 v10, vcc, s11, v10
	v_addc_co_u32_e32 v11, vcc, v8, v11, vcc
	v_lshlrev_b64 v[12:13], 2, v[4:5]
	v_add_co_u32_e32 v12, vcc, s11, v12
	v_addc_co_u32_e32 v13, vcc, v8, v13, vcc
	global_load_dword v4, v[10:11], off
	global_load_dword v9, v[12:13], off
	v_add_u32_e32 v1, -1, v1
	v_cmp_eq_u32_e32 vcc, 0, v1
	v_add_u32_e32 v2, 0xe0, v2
	v_add_u32_e32 v3, 0xe0, v3
	s_or_b64 s[8:9], vcc, s[8:9]
	s_waitcnt vmcnt(0)
	ds_write2_b32 v7, v4, v9 offset1:112
	v_add_u32_e32 v7, 0x380, v7
	s_andn2_b64 exec, exec, s[8:9]
	s_cbranch_execnz .LBB23_8
.LBB23_9:
	s_or_b64 exec, exec, s[6:7]
	v_add_u32_e32 v1, 1, v6
	v_and_b32_e32 v4, 0x7fffffe, v1
	s_movk_i32 s6, 0x70
	v_mad_u64_u32 v[2:3], s[6:7], v4, s6, v[0:1]
	v_cmp_ne_u32_e32 vcc, v1, v4
	s_orn2_b64 s[6:7], vcc, exec
.LBB23_10:
	s_or_b64 exec, exec, s[4:5]
	s_and_b64 exec, exec, s[6:7]
	s_cbranch_execz .LBB23_13
; %bb.11:
	s_lshl_b64 s[4:5], s[0:1], 3
	v_mov_b32_e32 v3, 0
	s_add_u32 s1, s18, s4
	v_lshlrev_b64 v[4:5], 2, v[2:3]
	s_addc_u32 s4, s19, s5
	v_mov_b32_e32 v1, s4
	v_add_co_u32_e32 v4, vcc, s1, v4
	v_addc_co_u32_e32 v5, vcc, v1, v5, vcc
	v_lshl_add_u32 v1, v2, 2, 0
	s_mov_b64 s[4:5], 0
.LBB23_12:                              ; =>This Inner Loop Header: Depth=1
	global_load_dword v3, v[4:5], off
	v_add_co_u32_e32 v4, vcc, 0x1c0, v4
	v_add_u32_e32 v2, 0x70, v2
	v_addc_co_u32_e32 v5, vcc, 0, v5, vcc
	v_cmp_le_i32_e32 vcc, s10, v2
	s_or_b64 s[4:5], vcc, s[4:5]
	s_waitcnt vmcnt(0)
	ds_write_b32 v1, v3
	v_add_u32_e32 v1, 0x1c0, v1
	s_andn2_b64 exec, exec, s[4:5]
	s_cbranch_execnz .LBB23_12
.LBB23_13:
	s_or_b64 exec, exec, s[2:3]
	v_mov_b32_e32 v1, 0
	s_waitcnt lgkmcnt(0)
	s_barrier
	ds_read_b32 v1, v1
	s_cmp_lt_i32 s21, 2
	s_cbranch_scc1 .LBB23_21
; %bb.14:
	s_add_i32 s1, s21, -1
	s_add_i32 s2, s21, -2
	s_cmp_lt_u32 s2, 7
	s_cbranch_scc1 .LBB23_18
; %bb.15:
	s_mov_b32 s4, 0
	s_add_i32 s2, 0, 8
	s_and_b32 s3, s1, -8
.LBB23_16:                              ; =>This Inner Loop Header: Depth=1
	v_mov_b32_e32 v8, s2
	ds_read2_b32 v[2:3], v8 offset1:2
	ds_read2_b32 v[4:5], v8 offset0:4 offset1:6
	ds_read2_b32 v[6:7], v8 offset0:8 offset1:10
	;; [unrolled: 1-line block ×3, first 2 shown]
	s_mov_b32 s5, s4
	s_waitcnt lgkmcnt(3)
	v_max3_f32 v1, v1, v2, v3
	s_waitcnt lgkmcnt(2)
	v_max3_f32 v1, v1, v4, v5
	s_add_i32 s2, s2, 64
	s_add_i32 s4, s4, 8
	s_waitcnt lgkmcnt(1)
	v_max3_f32 v1, v1, v6, v7
	s_cmp_eq_u32 s3, s4
	s_waitcnt lgkmcnt(0)
	v_max3_f32 v1, v1, v8, v9
	s_cbranch_scc0 .LBB23_16
; %bb.17:
	s_add_i32 s2, s5, 9
	s_and_b32 s1, s1, 7
	s_cmp_eq_u32 s1, 0
	s_cbranch_scc0 .LBB23_19
	s_branch .LBB23_21
.LBB23_18:
	s_mov_b32 s2, 1
	s_and_b32 s1, s1, 7
	s_cmp_eq_u32 s1, 0
	s_cbranch_scc1 .LBB23_21
.LBB23_19:
	s_lshl_b32 s2, s2, 3
	s_add_i32 s2, s2, 0
.LBB23_20:                              ; =>This Inner Loop Header: Depth=1
	v_mov_b32_e32 v2, s2
	ds_read_b32 v2, v2
	s_waitcnt lgkmcnt(1)
	v_max_f32_e32 v1, v1, v1
	s_add_i32 s2, s2, 8
	s_add_i32 s1, s1, -1
	s_cmp_lg_u32 s1, 0
	s_waitcnt lgkmcnt(0)
	v_max_f32_e32 v2, v2, v2
	v_max_f32_e32 v1, v1, v2
	s_cbranch_scc1 .LBB23_20
.LBB23_21:
	s_cmp_lt_i32 s21, 1
	s_cbranch_scc1 .LBB23_26
; %bb.22:
	s_mul_i32 s18, s0, 0x70
	s_ashr_i32 s19, s18, 31
	s_cmp_lt_u32 s21, 8
	v_mov_b32_e32 v8, 0
	s_cbranch_scc1 .LBB23_27
; %bb.23:
	s_lshl_b64 s[0:1], s[18:19], 2
	s_add_u32 s23, s16, s0
	s_addc_u32 s0, s17, s1
	v_lshlrev_b32_e32 v2, 2, v0
	v_mov_b32_e32 v10, s0
	v_add_co_u32_e32 v2, vcc, s23, v2
	v_addc_co_u32_e32 v3, vcc, 0, v10, vcc
	v_add_co_u32_e32 v2, vcc, 0x1c0, v2
	s_and_b32 s22, s21, 0x7ffffff8
	v_addc_co_u32_e32 v3, vcc, 0, v3, vcc
	v_add_u32_e32 v4, 0x1c0, v0
	s_mov_b32 s24, 0
	v_mov_b32_e32 v7, 0
	s_mov_b32 s25, 0x3fb8aa3b
	s_mov_b32 s26, 0xc2ce8ed0
	;; [unrolled: 1-line block ×3, first 2 shown]
	v_mov_b32_e32 v11, 0x7f800000
	s_mov_b32 s28, 0
	v_mov_b32_e32 v9, 0
	v_mov_b32_e32 v8, 0
.LBB23_24:                              ; =>This Inner Loop Header: Depth=1
	v_add_u32_e32 v6, 0xfffffe40, v4
	global_load_dword v36, v[2:3], off
	global_load_dword v37, v[2:3], off offset:448
	v_add_co_u32_e32 v2, vcc, 0xe00, v2
	v_lshlrev_b64 v[28:29], 2, v[6:7]
	v_addc_co_u32_e32 v3, vcc, 0, v3, vcc
	v_mov_b32_e32 v5, v7
	v_add_co_u32_e32 v28, vcc, s23, v28
	v_lshlrev_b64 v[30:31], 2, v[4:5]
	v_addc_co_u32_e32 v29, vcc, v10, v29, vcc
	v_add_u32_e32 v6, 0xffffff90, v4
	v_add_co_u32_e32 v30, vcc, s23, v30
	v_mov_b32_e32 v24, s24
	v_lshlrev_b64 v[32:33], 2, v[6:7]
	v_addc_co_u32_e32 v31, vcc, v10, v31, vcc
	ds_read2_b64 v[12:15], v24 offset1:1
	ds_read2_b64 v[16:19], v24 offset0:2 offset1:3
	ds_read2_b64 v[20:23], v24 offset0:4 offset1:5
	;; [unrolled: 1-line block ×3, first 2 shown]
	v_add_u32_e32 v6, 0x70, v4
	global_load_dword v5, v[28:29], off
	v_add_co_u32_e32 v28, vcc, s23, v32
	v_addc_co_u32_e32 v29, vcc, v10, v33, vcc
	v_lshlrev_b64 v[32:33], 2, v[6:7]
	v_add_u32_e32 v6, 0xe0, v4
	v_add_co_u32_e32 v32, vcc, s23, v32
	v_addc_co_u32_e32 v33, vcc, v10, v33, vcc
	v_lshlrev_b64 v[34:35], 2, v[6:7]
	v_add_u32_e32 v6, 0x150, v4
	global_load_dword v38, v[28:29], off
	global_load_dword v39, v[30:31], off
	;; [unrolled: 1-line block ×3, first 2 shown]
	v_add_co_u32_e32 v28, vcc, s23, v34
	v_addc_co_u32_e32 v29, vcc, v10, v35, vcc
	v_lshlrev_b64 v[30:31], 2, v[6:7]
	v_add_co_u32_e32 v30, vcc, s23, v30
	s_waitcnt lgkmcnt(3)
	v_sub_f32_e32 v6, v12, v1
	v_sub_f32_e32 v12, v14, v1
	s_waitcnt lgkmcnt(2)
	v_sub_f32_e32 v14, v16, v1
	v_sub_f32_e32 v16, v18, v1
	;; [unrolled: 3-line block ×4, first 2 shown]
	v_addc_co_u32_e32 v31, vcc, v10, v31, vcc
	global_load_dword v26, v[28:29], off
	v_mul_f32_e32 v32, 0x3fb8aa3b, v14
	global_load_dword v30, v[30:31], off
	v_mul_f32_e32 v28, 0x3fb8aa3b, v6
	v_fma_f32 v31, v6, s25, -v28
	v_rndne_f32_e32 v43, v28
	v_mul_f32_e32 v29, 0x3fb8aa3b, v12
	v_mul_f32_e32 v33, 0x3fb8aa3b, v16
	;; [unrolled: 1-line block ×3, first 2 shown]
	v_fmac_f32_e32 v31, 0x32a5705f, v6
	v_sub_f32_e32 v28, v28, v43
	v_fma_f32 v44, v12, s25, -v29
	v_rndne_f32_e32 v45, v29
	v_fma_f32 v46, v14, s25, -v32
	v_rndne_f32_e32 v47, v32
	;; [unrolled: 2-line block ×3, first 2 shown]
	v_fma_f32 v50, v18, s25, -v34
	v_add_f32_e32 v28, v28, v31
	v_rndne_f32_e32 v31, v34
	v_mul_f32_e32 v35, 0x3fb8aa3b, v20
	v_mul_f32_e32 v41, 0x3fb8aa3b, v22
	v_fmac_f32_e32 v44, 0x32a5705f, v12
	v_sub_f32_e32 v29, v29, v45
	v_fmac_f32_e32 v46, 0x32a5705f, v14
	v_sub_f32_e32 v32, v32, v47
	;; [unrolled: 2-line block ×4, first 2 shown]
	v_add_f32_e32 v29, v29, v44
	v_fma_f32 v44, v20, s25, -v35
	v_add_f32_e32 v32, v32, v46
	v_rndne_f32_e32 v46, v35
	v_add_f32_e32 v33, v33, v48
	v_fma_f32 v48, v22, s25, -v41
	v_add_f32_e32 v34, v34, v50
	v_rndne_f32_e32 v50, v41
	v_mul_f32_e32 v42, 0x3fb8aa3b, v24
	v_fmac_f32_e32 v44, 0x32a5705f, v20
	v_sub_f32_e32 v35, v35, v46
	v_fmac_f32_e32 v48, 0x32a5705f, v22
	v_sub_f32_e32 v41, v41, v50
	v_add_f32_e32 v35, v35, v44
	v_fma_f32 v44, v24, s25, -v42
	v_add_f32_e32 v41, v41, v48
	v_rndne_f32_e32 v48, v42
	v_cvt_i32_f32_e32 v43, v43
	v_fmac_f32_e32 v44, 0x32a5705f, v24
	v_sub_f32_e32 v42, v42, v48
	v_exp_f32_e32 v28, v28
	v_cvt_i32_f32_e32 v45, v45
	v_add_f32_e32 v42, v42, v44
	v_exp_f32_e32 v29, v29
	v_cvt_i32_f32_e32 v47, v47
	v_cvt_i32_f32_e32 v49, v49
	v_cvt_i32_f32_e32 v31, v31
	v_cvt_i32_f32_e32 v46, v46
	v_cvt_i32_f32_e32 v50, v50
	v_cvt_i32_f32_e32 v48, v48
	v_exp_f32_e32 v32, v32
	v_exp_f32_e32 v33, v33
	;; [unrolled: 1-line block ×6, first 2 shown]
	v_ldexp_f32 v28, v28, v43
	v_cmp_ngt_f32_e64 s[12:13], s26, v6
	v_ldexp_f32 v29, v29, v45
	v_cmp_ngt_f32_e32 vcc, s26, v12
	v_cndmask_b32_e64 v28, 0, v28, s[12:13]
	v_cmp_nlt_f32_e64 s[12:13], s27, v6
	v_ldexp_f32 v32, v32, v47
	v_cmp_ngt_f32_e64 s[0:1], s26, v14
	v_ldexp_f32 v33, v33, v49
	v_cmp_ngt_f32_e64 s[2:3], s26, v16
	;; [unrolled: 2-line block ×6, first 2 shown]
	v_cndmask_b32_e32 v29, 0, v29, vcc
	v_cmp_nlt_f32_e32 vcc, s27, v12
	v_cndmask_b32_e64 v6, v11, v28, s[12:13]
	v_cndmask_b32_e64 v12, 0, v32, s[0:1]
	v_cmp_nlt_f32_e64 s[0:1], s27, v14
	v_cndmask_b32_e64 v14, 0, v33, s[2:3]
	v_cmp_nlt_f32_e64 s[2:3], s27, v16
	v_cndmask_b32_e64 v16, 0, v31, s[4:5]
	v_cmp_nlt_f32_e64 s[4:5], s27, v18
	v_cndmask_b32_e64 v18, 0, v34, s[6:7]
	v_cmp_nlt_f32_e64 s[6:7], s27, v20
	v_cndmask_b32_e64 v20, 0, v35, s[8:9]
	v_cmp_nlt_f32_e64 s[8:9], s27, v22
	v_cndmask_b32_e64 v22, 0, v41, s[10:11]
	v_cmp_nlt_f32_e64 s[10:11], s27, v24
	v_cndmask_b32_e32 v24, v11, v29, vcc
	v_fmac_f32_e32 v9, v6, v13
	s_waitcnt vmcnt(5)
	v_fmac_f32_e32 v8, v5, v6
	v_cndmask_b32_e64 v12, v11, v12, s[0:1]
	v_fmac_f32_e32 v9, v24, v15
	v_fmac_f32_e32 v8, v36, v24
	v_cndmask_b32_e64 v14, v11, v14, s[2:3]
	v_fmac_f32_e32 v9, v12, v17
	;; [unrolled: 3-line block ×3, first 2 shown]
	s_waitcnt vmcnt(4)
	v_fmac_f32_e32 v8, v38, v14
	v_cndmask_b32_e64 v18, v11, v18, s[6:7]
	v_fmac_f32_e32 v9, v16, v21
	s_waitcnt vmcnt(3)
	v_fmac_f32_e32 v8, v39, v16
	v_cndmask_b32_e64 v20, v11, v20, s[8:9]
	v_fmac_f32_e32 v9, v18, v23
	s_waitcnt vmcnt(2)
	v_fmac_f32_e32 v8, v40, v18
	s_add_i32 s28, s28, 8
	s_add_i32 s24, s24, 64
	v_cndmask_b32_e64 v22, v11, v22, s[10:11]
	v_fmac_f32_e32 v9, v20, v25
	s_waitcnt vmcnt(1)
	v_fmac_f32_e32 v8, v26, v20
	s_cmp_eq_u32 s22, s28
	v_add_u32_e32 v4, 0x380, v4
	v_fmac_f32_e32 v9, v22, v27
	s_waitcnt vmcnt(0)
	v_fmac_f32_e32 v8, v30, v22
	s_cbranch_scc0 .LBB23_24
; %bb.25:
	s_and_b32 s0, s21, 7
	s_cmp_eq_u32 s0, 0
	s_cbranch_scc0 .LBB23_28
	s_branch .LBB23_30
.LBB23_26:
	s_waitcnt lgkmcnt(0)
	v_mov_b32_e32 v1, 0x7fc00000
	s_branch .LBB23_31
.LBB23_27:
	s_mov_b32 s22, 0
	v_mov_b32_e32 v9, 0
	s_and_b32 s0, s21, 7
	s_cmp_eq_u32 s0, 0
	s_cbranch_scc1 .LBB23_30
.LBB23_28:
	s_lshl_b64 s[2:3], s[18:19], 2
	s_mul_i32 s1, s22, 0x70
	v_add_u32_e32 v2, s1, v0
	v_mov_b32_e32 v3, 0
	s_add_u32 s1, s16, s2
	v_lshlrev_b64 v[2:3], 2, v[2:3]
	s_addc_u32 s2, s17, s3
	v_mov_b32_e32 v4, s2
	v_add_co_u32_e32 v2, vcc, s1, v2
	s_lshl_b32 s1, s22, 3
	v_addc_co_u32_e32 v3, vcc, v4, v3, vcc
	s_add_i32 s1, s1, 0
	s_mov_b32 s2, 0x3fb8aa3b
	s_mov_b32 s3, 0xc2ce8ed0
	;; [unrolled: 1-line block ×3, first 2 shown]
	v_mov_b32_e32 v4, 0x7f800000
.LBB23_29:                              ; =>This Inner Loop Header: Depth=1
	global_load_dword v5, v[2:3], off
	v_mov_b32_e32 v6, s1
	ds_read_b64 v[6:7], v6
	v_add_co_u32_e32 v2, vcc, 0x1c0, v2
	v_addc_co_u32_e32 v3, vcc, 0, v3, vcc
	s_waitcnt lgkmcnt(0)
	v_sub_f32_e32 v6, v6, v1
	v_mul_f32_e32 v10, 0x3fb8aa3b, v6
	v_fma_f32 v11, v6, s2, -v10
	v_rndne_f32_e32 v12, v10
	v_fmac_f32_e32 v11, 0x32a5705f, v6
	v_sub_f32_e32 v10, v10, v12
	v_add_f32_e32 v10, v10, v11
	v_cvt_i32_f32_e32 v12, v12
	v_exp_f32_e32 v10, v10
	v_cmp_ngt_f32_e32 vcc, s3, v6
	s_add_i32 s1, s1, 8
	s_add_i32 s0, s0, -1
	v_ldexp_f32 v10, v10, v12
	v_cndmask_b32_e32 v10, 0, v10, vcc
	v_cmp_nlt_f32_e32 vcc, s4, v6
	v_cndmask_b32_e32 v6, v4, v10, vcc
	s_cmp_lg_u32 s0, 0
	v_fmac_f32_e32 v9, v6, v7
	s_waitcnt vmcnt(0)
	v_fmac_f32_e32 v8, v5, v6
	s_cbranch_scc1 .LBB23_29
.LBB23_30:
	s_waitcnt lgkmcnt(0)
	v_div_scale_f32 v1, s[0:1], v9, v9, v8
	v_rcp_f32_e32 v2, v1
	v_div_scale_f32 v3, vcc, v8, v9, v8
	v_fma_f32 v4, -v1, v2, 1.0
	v_fmac_f32_e32 v2, v4, v2
	v_mul_f32_e32 v4, v3, v2
	v_fma_f32 v5, -v1, v4, v3
	v_fmac_f32_e32 v4, v5, v2
	v_fma_f32 v1, -v1, v4, v3
	v_div_fmas_f32 v1, v1, v2, v4
	v_div_fixup_f32 v1, v1, v9, v8
.LBB23_31:
	s_mul_i32 s0, s20, 0x70
	s_ashr_i32 s1, s0, 31
	s_lshl_b64 s[0:1], s[0:1], 2
	s_add_u32 s0, s14, s0
	s_addc_u32 s1, s15, s1
	v_lshlrev_b32_e32 v0, 2, v0
	global_store_dword v0, v1, s[0:1]
	s_endpgm
	.section	.rodata,"a",@progbits
	.p2align	6, 0x0
	.amdhsa_kernel _ZL26flash_attn_combine_resultsILi112EEvPKfPK15HIP_vector_typeIfLj2EEPfi
		.amdhsa_group_segment_fixed_size 0
		.amdhsa_private_segment_fixed_size 0
		.amdhsa_kernarg_size 288
		.amdhsa_user_sgpr_count 6
		.amdhsa_user_sgpr_private_segment_buffer 1
		.amdhsa_user_sgpr_dispatch_ptr 0
		.amdhsa_user_sgpr_queue_ptr 0
		.amdhsa_user_sgpr_kernarg_segment_ptr 1
		.amdhsa_user_sgpr_dispatch_id 0
		.amdhsa_user_sgpr_flat_scratch_init 0
		.amdhsa_user_sgpr_kernarg_preload_length 0
		.amdhsa_user_sgpr_kernarg_preload_offset 0
		.amdhsa_user_sgpr_private_segment_size 0
		.amdhsa_uses_dynamic_stack 0
		.amdhsa_system_sgpr_private_segment_wavefront_offset 0
		.amdhsa_system_sgpr_workgroup_id_x 1
		.amdhsa_system_sgpr_workgroup_id_y 1
		.amdhsa_system_sgpr_workgroup_id_z 1
		.amdhsa_system_sgpr_workgroup_info 0
		.amdhsa_system_vgpr_workitem_id 0
		.amdhsa_next_free_vgpr 51
		.amdhsa_next_free_sgpr 29
		.amdhsa_accum_offset 52
		.amdhsa_reserve_vcc 1
		.amdhsa_reserve_flat_scratch 0
		.amdhsa_float_round_mode_32 0
		.amdhsa_float_round_mode_16_64 0
		.amdhsa_float_denorm_mode_32 3
		.amdhsa_float_denorm_mode_16_64 3
		.amdhsa_dx10_clamp 1
		.amdhsa_ieee_mode 1
		.amdhsa_fp16_overflow 0
		.amdhsa_tg_split 0
		.amdhsa_exception_fp_ieee_invalid_op 0
		.amdhsa_exception_fp_denorm_src 0
		.amdhsa_exception_fp_ieee_div_zero 0
		.amdhsa_exception_fp_ieee_overflow 0
		.amdhsa_exception_fp_ieee_underflow 0
		.amdhsa_exception_fp_ieee_inexact 0
		.amdhsa_exception_int_div_zero 0
	.end_amdhsa_kernel
	.section	.text._ZL26flash_attn_combine_resultsILi112EEvPKfPK15HIP_vector_typeIfLj2EEPfi,"axG",@progbits,_ZL26flash_attn_combine_resultsILi112EEvPKfPK15HIP_vector_typeIfLj2EEPfi,comdat
.Lfunc_end23:
	.size	_ZL26flash_attn_combine_resultsILi112EEvPKfPK15HIP_vector_typeIfLj2EEPfi, .Lfunc_end23-_ZL26flash_attn_combine_resultsILi112EEvPKfPK15HIP_vector_typeIfLj2EEPfi
                                        ; -- End function
	.section	.AMDGPU.csdata,"",@progbits
; Kernel info:
; codeLenInByte = 3144
; NumSgprs: 33
; NumVgprs: 51
; NumAgprs: 0
; TotalNumVgprs: 51
; ScratchSize: 0
; MemoryBound: 0
; FloatMode: 240
; IeeeMode: 1
; LDSByteSize: 0 bytes/workgroup (compile time only)
; SGPRBlocks: 4
; VGPRBlocks: 6
; NumSGPRsForWavesPerEU: 33
; NumVGPRsForWavesPerEU: 51
; AccumOffset: 52
; Occupancy: 8
; WaveLimiterHint : 1
; COMPUTE_PGM_RSRC2:SCRATCH_EN: 0
; COMPUTE_PGM_RSRC2:USER_SGPR: 6
; COMPUTE_PGM_RSRC2:TRAP_HANDLER: 0
; COMPUTE_PGM_RSRC2:TGID_X_EN: 1
; COMPUTE_PGM_RSRC2:TGID_Y_EN: 1
; COMPUTE_PGM_RSRC2:TGID_Z_EN: 1
; COMPUTE_PGM_RSRC2:TIDIG_COMP_CNT: 0
; COMPUTE_PGM_RSRC3_GFX90A:ACCUM_OFFSET: 12
; COMPUTE_PGM_RSRC3_GFX90A:TG_SPLIT: 0
	.section	.text._ZL18flash_attn_ext_f16ILi128ELi128ELi8ELi2ELb0ELb0EEvPKcS1_S1_S1_S1_PKiPfP15HIP_vector_typeIfLj2EEffffjfiS5_IjLj3EEiiiiiiiiiiiliiliiiiil,"axG",@progbits,_ZL18flash_attn_ext_f16ILi128ELi128ELi8ELi2ELb0ELb0EEvPKcS1_S1_S1_S1_PKiPfP15HIP_vector_typeIfLj2EEffffjfiS5_IjLj3EEiiiiiiiiiiiliiliiiiil,comdat
	.globl	_ZL18flash_attn_ext_f16ILi128ELi128ELi8ELi2ELb0ELb0EEvPKcS1_S1_S1_S1_PKiPfP15HIP_vector_typeIfLj2EEffffjfiS5_IjLj3EEiiiiiiiiiiiliiliiiiil ; -- Begin function _ZL18flash_attn_ext_f16ILi128ELi128ELi8ELi2ELb0ELb0EEvPKcS1_S1_S1_S1_PKiPfP15HIP_vector_typeIfLj2EEffffjfiS5_IjLj3EEiiiiiiiiiiiliiliiiiil
	.p2align	8
	.type	_ZL18flash_attn_ext_f16ILi128ELi128ELi8ELi2ELb0ELb0EEvPKcS1_S1_S1_S1_PKiPfP15HIP_vector_typeIfLj2EEffffjfiS5_IjLj3EEiiiiiiiiiiiliiliiiiil,@function
_ZL18flash_attn_ext_f16ILi128ELi128ELi8ELi2ELb0ELb0EEvPKcS1_S1_S1_S1_PKiPfP15HIP_vector_typeIfLj2EEffffjfiS5_IjLj3EEiiiiiiiiiiiliiliiiiil: ; @_ZL18flash_attn_ext_f16ILi128ELi128ELi8ELi2ELb0ELb0EEvPKcS1_S1_S1_S1_PKiPfP15HIP_vector_typeIfLj2EEffffjfiS5_IjLj3EEiiiiiiiiiiiliiliiiiil
; %bb.0:
	s_load_dwordx2 s[2:3], s[4:5], 0x80
	s_load_dwordx4 s[28:31], s[4:5], 0x64
	s_mov_b32 s49, s6
                                        ; implicit-def: $vgpr218 : SGPR spill to VGPR lane
	s_load_dword s35, s[4:5], 0xd0
	s_mov_b32 s0, 0
	s_waitcnt lgkmcnt(0)
	s_abs_i32 s1, s3
	v_cvt_f32_u32_e32 v1, s1
	s_sub_i32 s8, 0, s1
	s_abs_i32 s7, s29
	s_xor_b32 s6, s29, s3
	v_rcp_iflag_f32_e32 v1, v1
	s_ashr_i32 s6, s6, 31
	v_cvt_f32_ubyte0_e32 v3, 0
	v_mul_f32_e32 v1, 0x4f7ffffe, v1
	v_cvt_u32_f32_e32 v1, v1
	v_readfirstlane_b32 s9, v1
	s_mul_i32 s8, s8, s9
	s_mul_hi_u32 s8, s9, s8
	s_add_i32 s9, s9, s8
	s_mul_hi_u32 s8, s7, s9
	s_mul_i32 s9, s8, s1
	s_sub_i32 s7, s7, s9
	s_add_i32 s10, s8, 1
	s_sub_i32 s9, s7, s1
	s_cmp_ge_u32 s7, s1
	s_cselect_b32 s8, s10, s8
	s_cselect_b32 s7, s9, s7
	s_add_i32 s9, s8, 1
	s_cmp_ge_u32 s7, s1
	s_cselect_b32 s1, s9, s8
	s_add_i32 s2, s2, 63
	s_xor_b32 s1, s1, s6
	s_ashr_i32 s7, s2, 31
	s_sub_i32 s33, s1, s6
	s_lshr_b32 s1, s7, 26
	s_add_i32 s2, s2, s1
	s_add_i32 s1, s28, 7
	s_lshr_b32 s6, s1, 3
	s_add_i32 s1, s33, 1
	s_ashr_i32 s80, s2, 6
	s_lshr_b32 s2, s1, 31
	s_add_i32 s1, s1, s2
	s_ashr_i32 s1, s1, 1
	v_writelane_b32 v218, s6, 0
	s_mul_i32 s2, s6, s80
	v_writelane_b32 v218, s2, 1
	s_mul_i32 s1, s2, s1
	;; [unrolled: 2-line block ×3, first 2 shown]
	s_mul_i32 s6, s1, s30
	s_ashr_i32 s7, s6, 31
	v_cvt_f32_u32_e32 v1, s35
	v_writelane_b32 v218, s1, 3
	s_mul_i32 s1, s7, s49
	s_mul_hi_u32 s2, s6, s49
	s_add_i32 s1, s2, s1
	s_mul_i32 s8, s6, s49
	s_cmp_lg_u64 s[0:1], 0
	s_cbranch_scc0 .LBB24_2
; %bb.1:
	v_madmk_f32 v2, v3, 0x4f800000, v1
	v_rcp_f32_e32 v2, v2
	s_sub_u32 s0, 0, s35
	s_subb_u32 s9, 0, 0
	s_mov_b64 s[2:3], 0
	v_mul_f32_e32 v2, 0x5f7ffffc, v2
	v_mul_f32_e32 v4, 0x2f800000, v2
	v_trunc_f32_e32 v4, v4
	v_madmk_f32 v2, v4, 0xcf800000, v2
	v_cvt_u32_f32_e32 v4, v4
	v_cvt_u32_f32_e32 v2, v2
	v_readfirstlane_b32 s10, v4
	v_readfirstlane_b32 s11, v2
	s_mul_hi_u32 s13, s0, s11
	s_mul_i32 s14, s0, s10
	s_mul_i32 s12, s9, s11
	s_add_i32 s13, s13, s14
	s_add_i32 s13, s13, s12
	s_mul_i32 s15, s0, s11
	s_mul_hi_u32 s12, s11, s13
	s_mul_i32 s14, s11, s13
	s_mul_hi_u32 s11, s11, s15
	s_add_u32 s11, s11, s14
	s_addc_u32 s12, 0, s12
	s_mul_hi_u32 s16, s10, s15
	s_mul_i32 s15, s10, s15
	s_add_u32 s11, s11, s15
	s_mul_hi_u32 s14, s10, s13
	s_addc_u32 s11, s12, s16
	s_addc_u32 s12, s14, 0
	s_mul_i32 s13, s10, s13
	s_add_u32 s11, s11, s13
	s_addc_u32 s12, 0, s12
	v_add_co_u32_e32 v2, vcc, s11, v2
	s_cmp_lg_u64 vcc, 0
	s_addc_u32 s10, s10, s12
	v_readfirstlane_b32 s12, v2
	s_mul_i32 s11, s0, s10
	s_mul_hi_u32 s13, s0, s12
	s_add_i32 s11, s13, s11
	s_mul_i32 s9, s9, s12
	s_add_i32 s11, s11, s9
	s_mul_i32 s0, s0, s12
	s_mul_hi_u32 s13, s10, s0
	s_mul_i32 s14, s10, s0
	s_mul_i32 s16, s12, s11
	s_mul_hi_u32 s0, s12, s0
	s_mul_hi_u32 s15, s12, s11
	s_add_u32 s0, s0, s16
	s_addc_u32 s12, 0, s15
	s_add_u32 s0, s0, s14
	s_mul_hi_u32 s9, s10, s11
	s_addc_u32 s0, s12, s13
	s_addc_u32 s9, s9, 0
	s_mul_i32 s11, s10, s11
	s_add_u32 s0, s0, s11
	s_addc_u32 s9, 0, s9
	v_add_co_u32_e32 v2, vcc, s0, v2
	s_cmp_lg_u64 vcc, 0
	s_addc_u32 s9, s10, s9
	s_ashr_i32 s10, s1, 31
	s_add_u32 s0, s8, s10
	s_mov_b32 s11, s10
	s_addc_u32 s1, s1, s10
	s_xor_b64 s[0:1], s[0:1], s[10:11]
	v_readfirstlane_b32 s14, v2
	s_mul_i32 s13, s0, s9
	s_mul_hi_u32 s15, s0, s14
	s_mul_hi_u32 s12, s0, s9
	s_add_u32 s13, s15, s13
	s_addc_u32 s12, 0, s12
	s_mul_hi_u32 s16, s1, s14
	s_mul_i32 s14, s1, s14
	s_add_u32 s13, s13, s14
	s_mul_hi_u32 s15, s1, s9
	s_addc_u32 s12, s12, s16
	s_addc_u32 s13, s15, 0
	s_mul_i32 s9, s1, s9
	s_add_u32 s9, s12, s9
	s_addc_u32 s12, 0, s13
	s_add_u32 s13, s9, 1
	s_addc_u32 s14, s12, 0
	s_add_u32 s15, s9, 2
	s_mul_i32 s17, s35, s12
	s_mul_hi_u32 s18, s35, s9
	s_addc_u32 s16, s12, 0
	s_add_i32 s18, s18, s17
	s_mul_i32 s17, s35, s9
	v_mov_b32_e32 v2, s17
	v_sub_co_u32_e32 v2, vcc, s0, v2
	s_cmp_lg_u64 vcc, 0
	s_subb_u32 s0, s1, s18
	v_subrev_co_u32_e32 v4, vcc, s35, v2
	s_cmp_lg_u64 vcc, 0
	s_subb_u32 s1, s0, 0
	v_readfirstlane_b32 s17, v4
	s_cmp_ge_u32 s17, s35
	s_cselect_b32 s17, -1, 0
	s_cmp_eq_u32 s1, 0
	s_cselect_b32 s1, s17, -1
	s_cmp_lg_u32 s1, 0
	s_cselect_b32 s1, s16, s14
	v_readfirstlane_b32 s14, v2
	s_cselect_b32 s13, s15, s13
	s_cmp_ge_u32 s14, s35
	s_cselect_b32 s14, -1, 0
	s_cmp_eq_u32 s0, 0
	s_cselect_b32 s0, s14, -1
	s_cmp_lg_u32 s0, 0
	s_cselect_b32 s1, s1, s12
	s_cselect_b32 s0, s13, s9
	s_xor_b64 s[0:1], s[0:1], s[10:11]
	s_sub_u32 s52, s0, s10
	s_branch .LBB24_3
.LBB24_2:
	s_mov_b64 s[2:3], -1
                                        ; implicit-def: $sgpr52_sgpr53
.LBB24_3:
	s_load_dwordx2 s[0:1], s[4:5], 0x74
	v_cvt_f32_u32_e32 v2, s35
	s_andn2_b64 vcc, exec, s[2:3]
	s_waitcnt lgkmcnt(0)
	v_writelane_b32 v218, s0, 4
	v_writelane_b32 v218, s1, 5
	s_cbranch_vccnz .LBB24_5
; %bb.4:
	v_rcp_iflag_f32_e32 v4, v2
	s_sub_i32 s0, 0, s35
	v_mul_f32_e32 v4, 0x4f7ffffe, v4
	v_cvt_u32_f32_e32 v4, v4
	v_readfirstlane_b32 s1, v4
	s_mul_i32 s0, s0, s1
	s_mul_hi_u32 s0, s1, s0
	s_add_i32 s1, s1, s0
	s_mul_hi_u32 s0, s8, s1
	s_mul_i32 s2, s0, s35
	s_sub_i32 s2, s8, s2
	s_add_i32 s1, s0, 1
	s_sub_i32 s3, s2, s35
	s_cmp_ge_u32 s2, s35
	s_cselect_b32 s0, s1, s0
	s_cselect_b32 s2, s3, s2
	s_add_i32 s1, s0, 1
	s_cmp_ge_u32 s2, s35
	s_cselect_b32 s52, s1, s0
.LBB24_5:
	s_add_i32 s0, s49, 1
	s_mul_i32 s1, s7, s0
	s_mul_hi_u32 s2, s6, s0
	s_add_i32 s3, s2, s1
	s_mov_b32 s2, 0
	s_cmp_lg_u64 s[2:3], 0
	s_mul_i32 s2, s6, s0
	s_cbranch_scc0 .LBB24_258
; %bb.6:
	v_madmk_f32 v1, v3, 0x4f800000, v1
	v_rcp_f32_e32 v1, v1
	s_sub_u32 s6, 0, s35
	s_subb_u32 s7, 0, 0
	v_mul_f32_e32 v1, 0x5f7ffffc, v1
	v_mul_f32_e32 v3, 0x2f800000, v1
	v_trunc_f32_e32 v3, v3
	v_madmk_f32 v1, v3, 0xcf800000, v1
	v_cvt_u32_f32_e32 v3, v3
	v_cvt_u32_f32_e32 v1, v1
	v_readfirstlane_b32 s8, v3
	v_readfirstlane_b32 s9, v1
	s_mul_hi_u32 s11, s6, s9
	s_mul_i32 s12, s6, s8
	s_mul_i32 s10, s7, s9
	s_add_i32 s11, s11, s12
	s_add_i32 s11, s11, s10
	s_mul_i32 s13, s6, s9
	s_mul_hi_u32 s10, s9, s11
	s_mul_i32 s12, s9, s11
	s_mul_hi_u32 s9, s9, s13
	s_add_u32 s9, s9, s12
	s_addc_u32 s10, 0, s10
	s_mul_hi_u32 s14, s8, s13
	s_mul_i32 s13, s8, s13
	s_add_u32 s9, s9, s13
	s_mul_hi_u32 s12, s8, s11
	s_addc_u32 s9, s10, s14
	s_addc_u32 s10, s12, 0
	s_mul_i32 s11, s8, s11
	s_add_u32 s9, s9, s11
	s_addc_u32 s10, 0, s10
	v_add_co_u32_e32 v1, vcc, s9, v1
	s_cmp_lg_u64 vcc, 0
	s_addc_u32 s8, s8, s10
	v_readfirstlane_b32 s10, v1
	s_mul_i32 s9, s6, s8
	s_mul_hi_u32 s11, s6, s10
	s_add_i32 s9, s11, s9
	s_mul_i32 s7, s7, s10
	s_add_i32 s9, s9, s7
	s_mul_i32 s6, s6, s10
	s_mul_hi_u32 s11, s8, s6
	s_mul_i32 s12, s8, s6
	s_mul_i32 s14, s10, s9
	s_mul_hi_u32 s6, s10, s6
	s_mul_hi_u32 s13, s10, s9
	s_add_u32 s6, s6, s14
	s_addc_u32 s10, 0, s13
	s_add_u32 s6, s6, s12
	s_mul_hi_u32 s7, s8, s9
	s_addc_u32 s6, s10, s11
	s_addc_u32 s7, s7, 0
	s_mul_i32 s9, s8, s9
	s_add_u32 s6, s6, s9
	s_addc_u32 s7, 0, s7
	v_add_co_u32_e32 v1, vcc, s6, v1
	s_cmp_lg_u64 vcc, 0
	s_addc_u32 s10, s8, s7
	s_ashr_i32 s6, s3, 31
	s_add_u32 s8, s2, s6
	s_mov_b32 s7, s6
	s_addc_u32 s9, s3, s6
	s_xor_b64 s[8:9], s[8:9], s[6:7]
	v_readfirstlane_b32 s12, v1
	s_mul_i32 s11, s8, s10
	s_mul_hi_u32 s13, s8, s12
	s_mul_hi_u32 s3, s8, s10
	s_add_u32 s11, s13, s11
	s_addc_u32 s3, 0, s3
	s_mul_hi_u32 s14, s9, s12
	s_mul_i32 s12, s9, s12
	s_add_u32 s11, s11, s12
	s_mul_hi_u32 s13, s9, s10
	s_addc_u32 s3, s3, s14
	s_addc_u32 s11, s13, 0
	s_mul_i32 s10, s9, s10
	s_add_u32 s3, s3, s10
	s_addc_u32 s10, 0, s11
	s_add_u32 s11, s3, 1
	s_addc_u32 s12, s10, 0
	s_add_u32 s13, s3, 2
	s_mul_i32 s15, s35, s10
	s_mul_hi_u32 s16, s35, s3
	s_addc_u32 s14, s10, 0
	s_add_i32 s16, s16, s15
	s_mul_i32 s15, s35, s3
	v_mov_b32_e32 v1, s15
	v_sub_co_u32_e32 v1, vcc, s8, v1
	s_cmp_lg_u64 vcc, 0
	s_subb_u32 s8, s9, s16
	v_subrev_co_u32_e32 v3, vcc, s35, v1
	s_cmp_lg_u64 vcc, 0
	s_subb_u32 s9, s8, 0
	v_readfirstlane_b32 s15, v3
	s_cmp_ge_u32 s15, s35
	s_cselect_b32 s15, -1, 0
	s_cmp_eq_u32 s9, 0
	s_cselect_b32 s9, s15, -1
	s_cmp_lg_u32 s9, 0
	s_cselect_b32 s9, s14, s12
	v_readfirstlane_b32 s12, v1
	s_cselect_b32 s11, s13, s11
	s_cmp_ge_u32 s12, s35
	s_cselect_b32 s12, -1, 0
	s_cmp_eq_u32 s8, 0
	s_cselect_b32 s8, s12, -1
	s_cmp_lg_u32 s8, 0
	s_cselect_b32 s9, s9, s10
	s_cselect_b32 s8, s11, s3
	s_xor_b64 s[8:9], s[8:9], s[6:7]
	s_sub_u32 s56, s8, s6
	s_load_dwordx2 s[42:43], s[4:5], 0x5c
	s_cbranch_execnz .LBB24_8
.LBB24_7:
	v_rcp_iflag_f32_e32 v1, v2
	s_sub_i32 s0, 0, s35
	v_mul_f32_e32 v1, 0x4f7ffffe, v1
	v_cvt_u32_f32_e32 v1, v1
	v_readfirstlane_b32 s1, v1
	s_mul_i32 s0, s0, s1
	s_mul_hi_u32 s0, s1, s0
	s_add_i32 s1, s1, s0
	s_mul_hi_u32 s0, s2, s1
	s_mul_i32 s3, s0, s35
	s_sub_i32 s2, s2, s3
	s_add_i32 s1, s0, 1
	s_sub_i32 s3, s2, s35
	s_cmp_ge_u32 s2, s35
	s_cselect_b32 s0, s1, s0
	s_cselect_b32 s2, s3, s2
	s_add_i32 s1, s0, 1
	s_cmp_ge_u32 s2, s35
	s_cselect_b32 s56, s1, s0
.LBB24_8:
	s_abs_i32 s81, s80
	v_cvt_f32_u32_e32 v1, s81
	v_readlane_b32 s2, v218, 4
	s_ashr_i32 s51, s2, 3
	s_sub_i32 s2, 0, s81
	v_rcp_iflag_f32_e32 v1, v1
	s_load_dwordx16 s[12:27], s[4:5], 0x0
	s_load_dword s6, s[4:5], 0x40
	s_load_dwordx2 s[0:1], s[4:5], 0x8c
	s_load_dwordx4 s[36:39], s[4:5], 0x98
	s_load_dwordx2 s[44:45], s[4:5], 0xa8
	s_load_dwordx2 s[10:11], s[4:5], 0xb8
	;; [unrolled: 1-line block ×3, first 2 shown]
	v_readlane_b32 s3, v218, 5
	s_waitcnt lgkmcnt(0)
	v_writelane_b32 v218, s0, 6
	v_mul_f32_e32 v1, 0x4f7ffffe, v1
	v_cvt_u32_f32_e32 v1, v1
	v_writelane_b32 v218, s1, 7
	s_abs_i32 s1, s52
	s_ashr_i32 s53, s31, 3
	v_readfirstlane_b32 s48, v1
	s_mul_i32 s2, s2, s48
	s_mul_hi_u32 s2, s48, s2
	s_add_i32 s48, s48, s2
	s_mul_hi_u32 s2, s1, s48
	s_mul_i32 s2, s2, s81
	s_sub_i32 s1, s1, s2
	s_ashr_i32 s34, s0, 2
	s_ashr_i32 s40, s11, 1
	;; [unrolled: 1-line block ×5, first 2 shown]
	s_sub_i32 s2, s1, s81
	s_cmp_ge_u32 s1, s81
	s_cselect_b32 s1, s2, s1
	s_sub_i32 s2, s1, s81
	s_cmp_ge_u32 s1, s81
	s_cselect_b32 s1, s2, s1
	s_xor_b32 s1, s1, s0
	s_sub_i32 s72, s1, s0
	s_sub_i32 s0, s56, s52
	s_add_i32 s2, s0, s72
	s_min_i32 s77, s80, s2
	s_cmp_gt_i32 s56, s52
	s_cselect_b64 s[8:9], -1, 0
	s_cmp_le_i32 s56, s52
	v_cvt_f16_f32_e32 v1, s6
	s_cselect_b64 s[0:1], -1, 0
	s_cmp_gt_i32 s80, s2
	s_cselect_b64 s[2:3], -1, 0
	s_or_b64 s[0:1], s[2:3], s[0:1]
	v_bfe_u32 v51, v0, 10, 10
	s_mov_b32 s59, 0
	s_and_b64 vcc, exec, s[0:1]
	v_pack_b32_f16 v57, v1, v1
	v_lshlrev_b32_e32 v53, 2, v51
	v_and_b32_e32 v55, 3, v51
	v_and_b32_e32 v63, 1, v51
	v_lshrrev_b32_e32 v75, 1, v51
	v_add_u32_e32 v73, 4, v51
	v_add_u32_e32 v67, 8, v51
	;; [unrolled: 1-line block ×3, first 2 shown]
	s_cbranch_vccz .LBB24_11
; %bb.9:
	s_andn2_b64 vcc, exec, s[8:9]
	s_cbranch_vccz .LBB24_238
.LBB24_10:
	s_endpgm
.LBB24_11:
	v_and_b32_e32 v18, 0x3ff, v0
	v_lshrrev_b32_e32 v5, 3, v18
	v_and_b32_e32 v3, 0x3f0, v53
	s_movk_i32 s2, 0x110
	v_and_b32_e32 v1, 15, v18
	v_and_b32_e32 v5, 30, v5
	v_mad_u32_u24 v2, v3, s2, 0
	v_mul_u32_u24_e32 v4, 0x110, v1
	v_lshlrev_b32_e32 v6, 2, v5
	v_add3_u32 v77, v2, v4, v6
	v_lshrrev_b32_e32 v2, 5, v18
	v_lshl_add_u32 v79, v51, 1, v2
	v_lshlrev_b32_e32 v2, 1, v18
	v_and_b32_e32 v20, 62, v2
	v_lshrrev_b32_e32 v2, 4, v18
	s_cmp_eq_u64 s[20:21], 0
	v_add_u32_e32 v10, v2, v53
	v_lshlrev_b32_e32 v2, 2, v18
	v_lshlrev_b32_e32 v19, 4, v51
	v_lshrrev_b32_e32 v11, 2, v18
	v_writelane_b32 v218, s35, 8
	s_cselect_b64 s[0:1], -1, 0
	v_mul_u32_u24_e32 v7, 0x90, v79
	v_and_b32_e32 v2, 60, v2
	v_and_b32_e32 v9, 48, v19
	;; [unrolled: 1-line block ×3, first 2 shown]
	v_lshlrev_b32_e32 v15, 1, v20
	v_writelane_b32 v218, s0, 9
	s_cmp_lg_u64 s[22:23], 0
	v_mul_u32_u24_e32 v8, 0x110, v10
	v_and_or_b32 v3, v18, 14, v3
	v_add_u16_e32 v13, v9, v12
	v_add3_u32 v81, 0, v7, v15
	v_lshlrev_b32_e32 v7, 2, v2
	v_writelane_b32 v218, s1, 10
	s_cselect_b64 s[0:1], -1, 0
	v_lshrrev_b32_e32 v3, 1, v3
	v_lshrrev_b16_e32 v13, 1, v13
	v_add3_u32 v83, 0, v8, v7
	v_mad_u32_u24 v7, v9, s2, 0
	v_writelane_b32 v218, s0, 11
	v_mul_u32_u24_e32 v3, 0x90, v3
	v_or_b32_e32 v11, 3, v11
	v_add3_u32 v86, v7, v4, v6
	v_lshlrev_b32_e32 v4, 2, v13
	s_lshl_b32 s58, s49, 4
	v_writelane_b32 v218, s1, 12
	s_ashr_i32 s41, s40, 31
	s_ashr_i32 s35, s34, 31
	s_lshl_b32 s0, s34, 4
	s_ashr_i32 s31, s30, 31
	s_lshl_b32 s1, s30, 4
	v_mul_u32_u24_e32 v14, 0x88, v12
	v_mul_u32_u24_e32 v12, 0x110, v12
	;; [unrolled: 1-line block ×3, first 2 shown]
	v_add3_u32 v87, 0, v3, v4
	v_lshlrev_b32_e32 v3, 1, v1
	s_lshl_b64 s[2:3], s[58:59], 3
	v_add3_u32 v89, v7, v12, v3
	v_add3_u32 v90, v7, v11, v3
	s_add_u32 s2, s26, s2
	v_or_b32_e32 v3, v53, v18
	s_addc_u32 s3, s27, s3
	v_lshlrev_b32_e32 v3, 3, v3
	v_mov_b32_e32 v4, s3
	v_add_co_u32_e32 v22, vcc, s2, v3
	v_lshrrev_b32_e32 v3, 2, v51
	v_addc_co_u32_e32 v23, vcc, 0, v4, vcc
	s_movk_i32 s6, 0x44
	v_or_b32_e32 v4, v19, v1
	v_add_u32_e32 v40, 1, v3
	v_mad_u32_u24 v21, v4, s6, v5
	v_lshlrev_b32_e32 v4, 2, v40
	v_and_b32_e32 v5, 15, v40
	s_movk_i32 s2, 0x1c0
	v_add_u32_e32 v25, 2, v3
	v_and_or_b32 v24, v4, s2, v5
	v_lshlrev_b32_e32 v4, 2, v25
	v_and_b32_e32 v5, 15, v25
	v_add_u32_e32 v41, 3, v3
	v_and_or_b32 v26, v4, s2, v5
	v_lshlrev_b32_e32 v4, 2, v41
	v_and_b32_e32 v5, 15, v41
	;; [unrolled: 4-line block ×13, first 2 shown]
	v_add_u32_e32 v54, 15, v3
	v_mad_u32_u24 v58, v51, s6, v18
	v_and_or_b32 v50, v4, s2, v5
	v_lshlrev_b32_e32 v3, 2, v54
	v_and_b32_e32 v5, 15, v54
	v_lshl_add_u32 v93, v58, 2, 0
	v_or_b32_e32 v58, v19, v18
	v_add_u32_e32 v19, v19, v18
	v_and_or_b32 v56, v3, s2, v5
	s_mov_b32 s2, s10
	s_abs_i32 s84, s10
	s_movk_i32 s10, 0xc0
	v_mul_u32_u24_e32 v95, 0x110, v19
	v_bfe_u32 v19, v51, 2, 4
	v_writelane_b32 v218, s49, 13
	v_and_or_b32 v19, v51, s10, v19
	v_readlane_b32 s50, v218, 3
	v_mul_u32_u24_e32 v97, 0x110, v19
	v_mad_u32_u24 v19, v19, s6, v18
	s_abs_i32 s55, s50
	v_lshl_add_u32 v98, v19, 2, 0
	v_mad_u32_u24 v19, v24, s6, v18
	v_cvt_f32_u32_e32 v4, s55
	v_lshl_add_u32 v100, v19, 2, 0
	v_mad_u32_u24 v19, v26, s6, v18
	v_lshl_add_u32 v103, v19, 2, 0
	v_mad_u32_u24 v19, v27, s6, v18
	;; [unrolled: 2-line block ×3, first 2 shown]
	v_readlane_b32 s49, v218, 2
	v_lshl_add_u32 v108, v19, 2, 0
	v_mad_u32_u24 v19, v30, s6, v18
	v_rcp_iflag_f32_e32 v4, v4
	s_abs_i32 s82, s49
	v_lshl_add_u32 v110, v19, 2, 0
	v_mad_u32_u24 v19, v32, s6, v18
	v_cvt_f32_u32_e32 v6, s82
	v_lshl_add_u32 v113, v19, 2, 0
	v_mad_u32_u24 v19, v33, s6, v18
	v_lshl_add_u32 v115, v19, 2, 0
	v_mad_u32_u24 v19, v35, s6, v18
	v_readlane_b32 s11, v218, 1
	v_lshl_add_u32 v118, v19, 2, 0
	v_mad_u32_u24 v19, v36, s6, v18
	v_mul_f32_e32 v3, 0x4f7ffffe, v4
	s_abs_i32 s83, s11
	v_lshl_add_u32 v120, v19, 2, 0
	v_mad_u32_u24 v19, v38, s6, v18
	v_cvt_u32_f32_e32 v3, v3
	v_rcp_iflag_f32_e32 v4, v6
	v_cvt_f32_u32_e32 v5, s83
	v_cvt_f32_u32_e32 v6, s84
	v_lshl_add_u32 v123, v19, 2, 0
	v_mad_u32_u24 v19, v39, s6, v18
	v_lshl_add_u32 v125, v19, 2, 0
	v_mad_u32_u24 v19, v44, s6, v18
	;; [unrolled: 2-line block ×4, first 2 shown]
	v_readfirstlane_b32 s7, v3
	v_rcp_iflag_f32_e32 v3, v5
	v_rcp_iflag_f32_e32 v5, v6
	v_lshl_add_u32 v133, v19, 2, 0
	v_mad_u32_u24 v19, v56, s6, v18
	v_lshl_add_u32 v135, v19, 2, 0
	v_and_b32_e32 v19, 31, v18
	v_lshlrev_b32_e32 v92, 2, v2
	v_mul_lo_u32 v2, s34, v10
	v_mul_lo_u32 v10, s30, v10
	v_lshlrev_b32_e32 v19, 2, v19
	v_ashrrev_i32_e32 v11, 31, v10
	v_lshl_add_u32 v96, v21, 2, 0
	v_mov_b32_e32 v21, s19
	v_add_co_u32_e32 v136, vcc, s18, v19
	v_mul_f32_e32 v3, 0x4f7ffffe, v3
	v_mul_f32_e32 v5, 0x4f7ffffe, v5
	v_add_u32_e32 v12, s1, v10
	v_mul_u32_u24_e32 v99, 0x110, v24
	v_lshrrev_b32_e32 v101, 1, v25
	v_addc_co_u32_e32 v137, vcc, 0, v21, vcc
	v_lshlrev_b64 v[24:25], 2, v[10:11]
	v_or_b32_e32 v14, v14, v1
	v_cvt_u32_f32_e32 v3, v3
	v_cvt_u32_f32_e32 v5, v5
	v_ashrrev_i32_e32 v13, 31, v12
	v_mov_b32_e32 v10, s17
	v_add_co_u32_e32 v138, vcc, s16, v24
	v_lshl_add_u32 v88, v14, 1, v7
	v_writelane_b32 v218, s2, 14
	v_add_u32_e32 v14, s1, v12
	v_mul_u32_u24_e32 v102, 0x110, v26
	v_mul_u32_u24_e32 v104, 0x110, v27
	v_addc_co_u32_e32 v139, vcc, v10, v25, vcc
	v_lshlrev_b64 v[26:27], 2, v[12:13]
	v_writelane_b32 v218, s3, 15
	v_mul_f32_e32 v4, 0x4f7ffffe, v4
	v_ashrrev_i32_e32 v15, 31, v14
	s_ashr_i32 s6, s50, 31
	v_add_co_u32_e32 v140, vcc, s16, v26
	v_cvt_u32_f32_e32 v4, v4
	s_sub_i32 s2, 0, s84
	v_add_u32_e32 v16, s1, v14
	v_lshrrev_b32_e32 v106, 1, v28
	v_mul_u32_u24_e32 v107, 0x110, v29
	v_writelane_b32 v218, s6, 16
	s_sub_i32 s6, 0, s55
	v_addc_co_u32_e32 v141, vcc, v10, v27, vcc
	v_lshlrev_b64 v[28:29], 2, v[14:15]
	v_readfirstlane_b32 s9, v3
	v_mul_lo_u32 v3, s2, v5
	v_ashrrev_i32_e32 v17, 31, v16
	s_mul_i32 s6, s6, s7
	v_add_co_u32_e32 v142, vcc, s16, v28
	v_mul_hi_u32 v3, v5, v3
	v_mul_u32_u24_e32 v109, 0x110, v30
	v_lshrrev_b32_e32 v111, 1, v31
	s_mul_hi_u32 s6, s7, s6
	v_addc_co_u32_e32 v143, vcc, v10, v29, vcc
	v_lshlrev_b64 v[30:31], 2, v[16:17]
	v_add_u32_e32 v91, v5, v3
	v_ashrrev_i32_e32 v3, 31, v2
	s_add_i32 s6, s7, s6
	v_add_co_u32_e32 v144, vcc, s16, v30
	v_readfirstlane_b32 s8, v4
	v_add_u32_e32 v4, s0, v2
	v_mul_u32_u24_e32 v112, 0x110, v32
	v_mul_u32_u24_e32 v114, 0x110, v33
	v_writelane_b32 v218, s6, 17
	s_sub_i32 s6, 0, s82
	v_addc_co_u32_e32 v145, vcc, v10, v31, vcc
	v_lshlrev_b64 v[32:33], 2, v[2:3]
	v_ashrrev_i32_e32 v5, 31, v4
	s_mul_i32 s6, s6, s8
	v_mov_b32_e32 v2, s15
	v_add_co_u32_e32 v146, vcc, s14, v32
	v_add_u32_e32 v6, s0, v4
	v_lshrrev_b32_e32 v116, 1, v34
	v_mul_u32_u24_e32 v117, 0x110, v35
	s_mul_hi_u32 s6, s8, s6
	v_addc_co_u32_e32 v147, vcc, v2, v33, vcc
	v_lshlrev_b64 v[34:35], 2, v[4:5]
	v_ashrrev_i32_e32 v7, 31, v6
	s_add_i32 s90, s8, s6
	s_sub_i32 s6, 0, s83
	v_add_co_u32_e32 v148, vcc, s14, v34
	v_add_u32_e32 v8, s0, v6
	v_mul_u32_u24_e32 v119, 0x110, v36
	v_lshrrev_b32_e32 v121, 1, v37
	s_mul_i32 s6, s6, s9
	v_addc_co_u32_e32 v149, vcc, v2, v35, vcc
	v_lshlrev_b64 v[36:37], 2, v[6:7]
	v_ashrrev_i32_e32 v9, 31, v8
	s_mul_hi_u32 s6, s9, s6
	v_add_co_u32_e32 v150, vcc, s14, v36
	v_mul_u32_u24_e32 v122, 0x110, v38
	v_mul_u32_u24_e32 v124, 0x110, v39
	s_add_i32 s92, s9, s6
	s_lshl_b64 s[6:7], s[40:41], 1
	v_addc_co_u32_e32 v151, vcc, v2, v37, vcc
	v_lshlrev_b64 v[38:39], 2, v[8:9]
	v_writelane_b32 v218, s6, 18
	v_add_co_u32_e32 v152, vcc, s14, v38
	v_mbcnt_lo_u32_b32 v177, -1, 0
	s_movk_i32 s86, 0x80
	v_cmp_eq_u32_e64 s[0:1], 0, v55
	v_cmp_ne_u32_e64 s[2:3], 0, v55
	v_cmp_gt_u32_e64 s[4:5], 16, v18
	v_mul_u32_u24_e32 v94, 0x110, v58
	v_lshrrev_b32_e32 v126, 1, v42
	v_mul_u32_u24_e32 v127, 0x110, v44
	v_mul_u32_u24_e32 v129, 0x110, v46
	v_lshrrev_b32_e32 v131, 1, v48
	v_mul_u32_u24_e32 v132, 0x110, v50
	v_mul_u32_u24_e32 v134, 0x110, v56
	s_ashr_i32 s89, s49, 31
	s_ashr_i32 s91, s11, 31
	v_writelane_b32 v218, s7, 19
	s_lshl_b64 s[66:67], s[30:31], 8
	s_lshl_b64 s[68:69], s[34:35], 8
	v_addc_co_u32_e32 v153, vcc, v2, v39, vcc
	s_mov_b32 s41, 0x3fb8aa3b
	s_mov_b32 s65, 0xc2ce8ed0
	;; [unrolled: 1-line block ×5, first 2 shown]
	v_mov_b32_e32 v154, 0
	v_add_u32_e32 v155, 0x1100, v83
	v_add_u32_e32 v156, 0x2200, v83
	;; [unrolled: 1-line block ×10, first 2 shown]
	v_lshrrev_b32_e32 v165, 1, v73
	v_lshrrev_b32_e32 v166, 1, v67
	v_lshrrev_b32_e32 v167, 1, v59
	v_lshrrev_b32_e32 v168, 3, v51
	v_lshrrev_b32_e32 v169, 1, v40
	v_and_b32_e32 v40, 1, v40
	v_lshrrev_b32_e32 v170, 1, v41
	v_and_b32_e32 v42, 1, v41
	v_lshrrev_b32_e32 v171, 1, v43
	;; [unrolled: 2-line block ×7, first 2 shown]
	v_and_b32_e32 v54, 1, v54
	v_lshlrev_b32_e32 v56, 4, v1
	v_mbcnt_hi_u32_b32 v178, -1, v177
	v_mov_b32_e32 v179, 0x7f800000
	v_and_b32_e32 v58, 1, v18
	v_mad_u64_u32 v[60:61], s[6:7], v63, s51, v[18:19]
	v_bfe_u32 v62, v51, 2, 1
	v_writelane_b32 v218, s51, 20
	s_branch .LBB24_14
.LBB24_12:                              ;   in Loop: Header=BB24_14 Depth=1
	s_or_b64 exec, exec, s[70:71]
	s_barrier
.LBB24_13:                              ;   in Loop: Header=BB24_14 Depth=1
	s_add_i32 s6, s52, s80
	s_abs_i32 s8, s6
	s_mul_hi_u32 s9, s8, s48
	s_mul_i32 s9, s9, s81
	s_sub_i32 s8, s8, s9
	s_ashr_i32 s7, s6, 31
	s_sub_i32 s9, s8, s81
	s_cmp_ge_u32 s8, s81
	s_cselect_b32 s8, s9, s8
	s_sub_i32 s9, s8, s81
	s_cmp_ge_u32 s8, s81
	s_cselect_b32 s8, s9, s8
	s_xor_b32 s8, s8, s7
	s_sub_i32 s7, s7, s8
	s_add_i32 s52, s6, s7
	s_sub_i32 s6, s56, s52
	s_min_i32 s77, s80, s6
	s_cmp_gt_i32 s56, s52
	s_cselect_b64 s[8:9], -1, 0
	s_cmp_le_i32 s80, s6
	s_cselect_b64 s[6:7], -1, 0
	s_and_b64 s[6:7], s[6:7], s[8:9]
	s_mov_b32 s72, 0
	s_and_b64 vcc, exec, s[6:7]
	s_cbranch_vccz .LBB24_237
.LBB24_14:                              ; =>This Loop Header: Depth=1
                                        ;     Child Loop BB24_150 Depth 2
                                        ;     Child Loop BB24_39 Depth 2
	s_ashr_i32 s6, s52, 31
	v_readlane_b32 s7, v218, 16
	s_xor_b32 s6, s6, s7
	s_abs_i32 s7, s52
	v_readlane_b32 s8, v218, 17
	s_mul_hi_u32 s8, s7, s8
	s_mul_i32 s9, s8, s55
	s_sub_i32 s7, s7, s9
	s_add_i32 s9, s8, 1
	s_sub_i32 s10, s7, s55
	s_cmp_ge_u32 s7, s55
	s_cselect_b32 s8, s9, s8
	s_cselect_b32 s7, s10, s7
	s_add_i32 s9, s8, 1
	s_cmp_ge_u32 s7, s55
	s_cselect_b32 s7, s9, s8
	s_xor_b32 s7, s7, s6
	s_sub_i32 s6, s7, s6
	v_readlane_b32 s7, v218, 3
	s_mul_i32 s7, s6, s7
	s_sub_i32 s7, s52, s7
	s_abs_i32 s9, s7
	s_mul_hi_u32 s10, s9, s90
	s_mul_i32 s11, s10, s82
	s_ashr_i32 s8, s7, 31
	s_sub_i32 s9, s9, s11
	s_xor_b32 s8, s8, s89
	s_add_i32 s11, s10, 1
	s_sub_i32 s49, s9, s82
	s_cmp_ge_u32 s9, s82
	s_cselect_b32 s10, s11, s10
	s_cselect_b32 s9, s49, s9
	s_add_i32 s11, s10, 1
	s_cmp_ge_u32 s9, s82
	s_cselect_b32 s9, s11, s10
	s_xor_b32 s9, s9, s8
	s_sub_i32 s8, s9, s8
	v_readlane_b32 s9, v218, 2
	s_mul_i32 s9, s8, s9
	s_sub_i32 s9, s7, s9
	s_abs_i32 s10, s9
	s_mul_hi_u32 s11, s10, s92
	s_mul_i32 s49, s11, s83
	s_ashr_i32 s7, s9, 31
	s_sub_i32 s10, s10, s49
	s_xor_b32 s7, s7, s91
	s_add_i32 s49, s11, 1
	s_sub_i32 s50, s10, s83
	s_cmp_ge_u32 s10, s83
	s_cselect_b32 s11, s49, s11
	s_cselect_b32 s10, s50, s10
	s_add_i32 s49, s11, 1
	s_cmp_ge_u32 s10, s83
	s_cselect_b32 s10, s49, s11
	s_xor_b32 s10, s10, s7
	s_sub_i32 s7, s10, s7
	v_readlane_b32 s10, v218, 1
	s_mul_i32 s10, s7, s10
	s_sub_i32 s9, s9, s10
	s_ashr_i32 s10, s9, 31
	s_abs_i32 s9, s9
	s_mul_hi_u32 s11, s9, s48
	s_mul_i32 s49, s11, s81
	s_sub_i32 s9, s9, s49
	s_xor_b32 s10, s10, s38
	s_add_i32 s49, s11, 1
	s_sub_i32 s50, s9, s81
	s_cmp_ge_u32 s9, s81
	s_cselect_b32 s11, s49, s11
	s_cselect_b32 s9, s50, s9
	s_add_i32 s49, s11, 1
	s_cmp_ge_u32 s9, s81
	s_cselect_b32 s9, s49, s11
	v_readlane_b32 s50, v218, 11
	s_xor_b32 s9, s9, s10
	v_readlane_b32 s51, v218, 12
	s_andn2_b64 vcc, exec, s[50:51]
	s_sub_i32 s87, s9, s10
	s_cbranch_vccnz .LBB24_16
; %bb.15:                               ;   in Loop: Header=BB24_14 Depth=1
	v_readlane_b32 s9, v218, 0
	s_mul_i32 s9, s6, s9
	s_add_i32 s10, s87, s9
	s_ashr_i32 s11, s10, 31
	s_lshl_b64 s[10:11], s[10:11], 2
	s_add_u32 s10, s22, s10
	s_addc_u32 s11, s23, s11
	global_load_dword v1, v154, s[10:11]
	s_waitcnt vmcnt(0)
	v_readfirstlane_b32 s9, v1
	s_ashr_i32 s10, s9, 31
	s_lshr_b32 s10, s10, 26
	s_add_i32 s9, s9, s10
	s_ashr_i32 s9, s9, 6
	s_min_i32 s77, s77, s9
.LBB24_16:                              ;   in Loop: Header=BB24_14 Depth=1
	v_readlane_b32 s50, v218, 4
	v_readlane_b32 s51, v218, 5
	s_mul_i32 s9, s8, s33
	s_lshl_b32 s64, s7, 1
	s_mul_i32 s7, s6, s51
	s_add_i32 s10, s64, s9
	s_ashr_i32 s9, s7, 31
	s_add_u32 s7, s12, s7
	s_mul_i32 s11, s10, s50
	s_addc_u32 s9, s13, s9
	s_ashr_i32 s49, s11, 31
	s_add_u32 s50, s7, s11
	s_addc_u32 s51, s9, s49
	s_ashr_i32 s9, s6, 31
	s_mul_i32 s7, s6, s37
	s_mul_hi_u32 s11, s6, s36
	s_add_i32 s7, s11, s7
	s_mul_i32 s11, s9, s36
	v_readlane_b32 s60, v218, 6
	s_add_i32 s78, s7, s11
	s_mul_i32 s79, s6, s36
	v_readlane_b32 s61, v218, 7
	s_add_u32 s7, s14, s79
	s_mul_i32 s76, s8, s61
	s_addc_u32 s11, s15, s78
	s_ashr_i32 s60, s76, 31
	s_add_u32 s49, s7, s76
	s_addc_u32 s54, s11, s60
	s_abs_i32 s7, s6
	v_mul_hi_u32 v1, s7, v91
	v_mul_lo_u32 v1, v1, s84
	v_sub_u32_e32 v1, s7, v1
	s_mul_i32 s7, s28, s29
	v_subrev_u32_e32 v2, s84, v1
	v_cmp_le_u32_e32 vcc, s84, v1
	s_mul_i32 s7, s7, s6
	v_cndmask_b32_e32 v1, v1, v2, vcc
	s_add_i32 s7, s10, s7
	v_subrev_u32_e32 v2, s84, v1
	v_cmp_le_u32_e32 vcc, s84, v1
	s_lshl_b32 s58, s7, 6
	v_cndmask_b32_e32 v1, v1, v2, vcc
	s_lshl_b64 s[62:63], s[58:59], 3
	v_xor_b32_e32 v1, s9, v1
	s_add_u32 s57, s24, s62
	s_mul_i32 s11, s6, s45
	s_mul_hi_u32 s58, s6, s44
	v_subrev_u32_e32 v1, s9, v1
	s_addc_u32 s7, s25, s63
	s_add_i32 s11, s58, s11
	s_mul_i32 s9, s9, s44
	s_add_i32 s58, s11, s9
	s_mul_i32 s61, s6, s44
	s_add_u32 s6, s16, s61
	s_mul_i32 s62, s8, s39
	s_addc_u32 s9, s17, s58
	s_ashr_i32 s63, s62, 31
	s_add_u32 s6, s6, s62
	s_addc_u32 s85, s9, s63
	s_ashr_i32 s11, s10, 31
	s_lshl_b64 s[8:9], s[10:11], 2
	v_ashrrev_i32_e32 v2, 31, v1
	v_mul_lo_u32 v3, v1, s47
	v_mul_hi_u32 v4, v1, s46
	s_add_u32 s10, s20, s8
	v_add_u32_e32 v3, v4, v3
	v_mul_lo_u32 v2, v2, s46
	v_mul_lo_u32 v64, v1, s46
	s_addc_u32 s11, s21, s9
	v_readlane_b32 s8, v218, 9
	v_add_u32_e32 v65, v3, v2
	v_mov_b32_e32 v1, s19
	v_add_co_u32_e32 v61, vcc, s18, v64
	v_readlane_b32 s9, v218, 10
	v_addc_co_u32_e32 v180, vcc, v1, v65, vcc
	s_and_b64 s[8:9], s[8:9], exec
	v_or_b32_e32 v19, s64, v63
	s_cselect_b32 s71, 0, s11
	s_cselect_b32 s70, 0, s10
	s_cmp_lg_u32 s72, 0
	v_cmp_gt_i32_e32 vcc, s33, v19
	s_cbranch_scc0 .LBB24_35
; %bb.17:                               ;   in Loop: Header=BB24_14 Depth=1
	s_lshl_b32 s88, s87, 3
	v_add_u32_e32 v1, s88, v75
	v_cmp_le_i32_e64 s[8:9], s28, v1
	s_xor_b64 s[10:11], vcc, -1
	s_or_b64 s[8:9], s[8:9], s[10:11]
	s_and_saveexec_b64 s[74:75], s[8:9]
	s_xor_b64 s[8:9], exec, s[74:75]
	s_cbranch_execz .LBB24_19
; %bb.18:                               ;   in Loop: Header=BB24_14 Depth=1
	ds_write_b32 v93, v154
                                        ; implicit-def: $vgpr1
.LBB24_19:                              ;   in Loop: Header=BB24_14 Depth=1
	s_andn2_saveexec_b64 s[8:9], s[8:9]
	s_cbranch_execz .LBB24_21
; %bb.20:                               ;   in Loop: Header=BB24_14 Depth=1
	v_mad_u64_u32 v[2:3], s[74:75], v1, s53, v[60:61]
	v_ashrrev_i32_e32 v3, 31, v2
	v_lshlrev_b64 v[2:3], 3, v[2:3]
	v_mov_b32_e32 v1, s51
	v_add_co_u32_e32 v2, vcc, s50, v2
	v_addc_co_u32_e32 v3, vcc, v1, v3, vcc
	global_load_dwordx2 v[2:3], v[2:3], off
	s_waitcnt vmcnt(0)
	v_cvt_f16_f32_e32 v1, v2
	v_cvt_f16_f32_e32 v2, v3
	v_pack_b32_f16 v1, v1, v2
	v_pk_mul_f16 v1, v57, v1
	ds_write_b32 v93, v1
.LBB24_21:                              ;   in Loop: Header=BB24_14 Depth=1
	s_or_b64 exec, exec, s[8:9]
	v_add_u32_e32 v1, s88, v165
	v_cmp_le_i32_e32 vcc, s28, v1
	s_or_b64 s[8:9], vcc, s[10:11]
	s_and_saveexec_b64 s[74:75], s[8:9]
	s_xor_b64 s[8:9], exec, s[74:75]
	s_cbranch_execz .LBB24_23
; %bb.22:                               ;   in Loop: Header=BB24_14 Depth=1
	ds_write_b32 v93, v154 offset:1088
                                        ; implicit-def: $vgpr1
.LBB24_23:                              ;   in Loop: Header=BB24_14 Depth=1
	s_andn2_saveexec_b64 s[8:9], s[8:9]
	s_cbranch_execz .LBB24_25
; %bb.24:                               ;   in Loop: Header=BB24_14 Depth=1
	v_mad_u64_u32 v[2:3], s[74:75], v1, s53, v[60:61]
	v_ashrrev_i32_e32 v3, 31, v2
	v_lshlrev_b64 v[2:3], 3, v[2:3]
	v_mov_b32_e32 v1, s51
	v_add_co_u32_e32 v2, vcc, s50, v2
	v_addc_co_u32_e32 v3, vcc, v1, v3, vcc
	global_load_dwordx2 v[2:3], v[2:3], off
	s_waitcnt vmcnt(0)
	v_cvt_f16_f32_e32 v1, v2
	v_cvt_f16_f32_e32 v2, v3
	v_pack_b32_f16 v1, v1, v2
	v_pk_mul_f16 v1, v57, v1
	ds_write_b32 v93, v1 offset:1088
.LBB24_25:                              ;   in Loop: Header=BB24_14 Depth=1
	s_or_b64 exec, exec, s[8:9]
	v_add_u32_e32 v1, s88, v166
	v_cmp_le_i32_e32 vcc, s28, v1
	s_or_b64 s[8:9], vcc, s[10:11]
	s_and_saveexec_b64 s[74:75], s[8:9]
	s_xor_b64 s[8:9], exec, s[74:75]
	s_cbranch_execz .LBB24_27
; %bb.26:                               ;   in Loop: Header=BB24_14 Depth=1
	ds_write_b32 v93, v154 offset:2176
                                        ; implicit-def: $vgpr1
.LBB24_27:                              ;   in Loop: Header=BB24_14 Depth=1
	s_andn2_saveexec_b64 s[8:9], s[8:9]
	s_cbranch_execz .LBB24_29
; %bb.28:                               ;   in Loop: Header=BB24_14 Depth=1
	v_mad_u64_u32 v[2:3], s[74:75], v1, s53, v[60:61]
	v_ashrrev_i32_e32 v3, 31, v2
	v_lshlrev_b64 v[2:3], 3, v[2:3]
	v_mov_b32_e32 v1, s51
	v_add_co_u32_e32 v2, vcc, s50, v2
	v_addc_co_u32_e32 v3, vcc, v1, v3, vcc
	global_load_dwordx2 v[2:3], v[2:3], off
	s_waitcnt vmcnt(0)
	v_cvt_f16_f32_e32 v1, v2
	v_cvt_f16_f32_e32 v2, v3
	v_pack_b32_f16 v1, v1, v2
	v_pk_mul_f16 v1, v57, v1
	ds_write_b32 v93, v1 offset:2176
.LBB24_29:                              ;   in Loop: Header=BB24_14 Depth=1
	;; [unrolled: 28-line block ×3, first 2 shown]
	s_or_b64 exec, exec, s[8:9]
	s_waitcnt lgkmcnt(0)
	s_barrier
	ds_read2_b64 v[14:17], v77 offset1:4
	ds_read2_b64 v[10:13], v77 offset0:8 offset1:12
	ds_read2_b64 v[6:9], v77 offset0:16 offset1:20
	;; [unrolled: 1-line block ×3, first 2 shown]
	s_add_i32 s10, s77, -1
	s_cmp_gt_i32 s10, s72
	s_waitcnt lgkmcnt(0)
	s_barrier
	s_cbranch_scc1 .LBB24_36
; %bb.34:                               ;   in Loop: Header=BB24_14 Depth=1
	v_and_b32_e32 v1, 64, v178
	s_mov_b32 s11, 0
	v_add_u32_e32 v21, 64, v1
	v_xor_b32_e32 v41, 32, v178
	v_xor_b32_e32 v43, 16, v178
	s_mov_b64 s[8:9], 0
	s_mov_b32 s73, 0xfeffffff
	s_branch .LBB24_37
.LBB24_35:                              ;   in Loop: Header=BB24_14 Depth=1
	s_cbranch_execz .LBB24_13
	s_branch .LBB24_129
.LBB24_36:                              ;   in Loop: Header=BB24_14 Depth=1
	s_mov_b64 s[8:9], -1
                                        ; implicit-def: $sgpr11
                                        ; implicit-def: $sgpr73
                                        ; implicit-def: $vgpr21
                                        ; implicit-def: $vgpr41
                                        ; implicit-def: $vgpr43
.LBB24_37:                              ;   in Loop: Header=BB24_14 Depth=1
	v_add_u32_e32 v1, s88, v79
	v_mul_hi_u32 v45, s42, v1
	v_add_u32_e32 v45, v1, v45
	v_lshrrev_b32_e32 v45, s43, v45
	v_mul_lo_u32 v45, v45, s28
	v_sub_u32_e32 v1, v1, v45
	v_mad_i64_i32 v[68:69], s[74:75], v1, s40, 0
	s_andn2_b64 vcc, exec, s[8:9]
	v_mov_b32_e32 v49, s11
	v_mov_b32_e32 v1, s11
	;; [unrolled: 1-line block ×3, first 2 shown]
	v_lshlrev_b64 v[68:69], 1, v[68:69]
	v_mov_b32_e32 v72, s11
	v_mov_b32_e32 v74, s11
	;; [unrolled: 1-line block ×16, first 2 shown]
	s_cbranch_vccnz .LBB24_40
; %bb.38:                               ;   in Loop: Header=BB24_14 Depth=1
	v_add_co_u32_e32 v1, vcc, v61, v68
	v_addc_co_u32_e32 v21, vcc, v180, v69, vcc
	v_lshlrev_b32_e32 v41, 1, v20
	v_mbcnt_hi_u32_b32 v45, -1, v177
	v_add_co_u32_e32 v184, vcc, v1, v41
	v_and_b32_e32 v1, 64, v45
	v_addc_co_u32_e32 v186, vcc, 0, v21, vcc
	v_add_u32_e32 v21, 64, v1
	v_xor_b32_e32 v41, 32, v45
	v_cmp_lt_i32_e32 vcc, v41, v21
	v_xor_b32_e32 v43, 16, v45
	v_cndmask_b32_e32 v1, v45, v41, vcc
	v_cmp_lt_i32_e32 vcc, v43, v21
	v_lshlrev_b32_e32 v188, 2, v1
	v_cndmask_b32_e32 v1, v45, v43, vcc
	v_mov_b32_e32 v70, 0
	v_lshlrev_b32_e32 v189, 2, v1
	s_lshl_b32 s8, s72, 6
	v_mov_b32_e32 v1, 0
	v_mov_b32_e32 v66, 0xfeffffff
	;; [unrolled: 1-line block ×17, first 2 shown]
.LBB24_39:                              ;   Parent Loop BB24_14 Depth=1
                                        ; =>  This Inner Loop Header: Depth=2
	s_ashr_i32 s9, s8, 31
	s_lshl_b64 s[74:75], s[8:9], 1
	v_mov_b32_e32 v198, v1
	s_nop 0
	v_add_co_u32_e32 v190, vcc, s74, v184
	v_mov_b32_e32 v1, s75
	v_addc_co_u32_e32 v191, vcc, v186, v1, vcc
	global_load_dword v1, v[190:191], off
	s_mul_hi_i32 s75, s8, s34
	s_mul_i32 s74, s8, s34
	s_lshl_b64 s[74:75], s[74:75], 2
	s_add_u32 s9, s49, s74
	s_addc_u32 s11, s54, s75
	v_mov_b32_e32 v71, v66
	v_mov_b32_e32 v66, s11
	s_mul_hi_i32 s75, s8, s30
	s_mul_i32 s74, s8, s30
	s_lshl_b64 s[74:75], s[74:75], 2
	s_waitcnt vmcnt(0)
	ds_write_b32 v81, v1 offset:17408
	v_add_co_u32_e32 v1, vcc, s9, v32
	v_addc_co_u32_e32 v66, vcc, v66, v33, vcc
	v_add_co_u32_e32 v190, vcc, v1, v92
	v_addc_co_u32_e32 v191, vcc, 0, v66, vcc
	global_load_dwordx4 v[190:193], v[190:191], off
	v_add_co_u32_e32 v1, vcc, s9, v34
	v_mov_b32_e32 v66, s11
	v_addc_co_u32_e32 v66, vcc, v66, v35, vcc
	s_waitcnt vmcnt(0)
	ds_write_b128 v83, v[190:193]
	v_add_co_u32_e32 v190, vcc, v1, v92
	v_addc_co_u32_e32 v191, vcc, 0, v66, vcc
	global_load_dwordx4 v[190:193], v[190:191], off
	v_add_co_u32_e32 v1, vcc, s9, v36
	v_mov_b32_e32 v66, s11
	v_addc_co_u32_e32 v66, vcc, v66, v37, vcc
	s_waitcnt vmcnt(0)
	ds_write_b128 v155, v[190:193]
	v_add_co_u32_e32 v190, vcc, v1, v92
	v_addc_co_u32_e32 v191, vcc, 0, v66, vcc
	global_load_dwordx4 v[190:193], v[190:191], off
	v_add_co_u32_e32 v1, vcc, s9, v38
	v_mov_b32_e32 v66, s11
	v_addc_co_u32_e32 v66, vcc, v66, v39, vcc
	s_add_u32 s9, s6, s74
	s_addc_u32 s11, s85, s75
	s_add_i32 s72, s72, 1
	s_add_i32 s8, s8, 64
	s_cmp_lt_i32 s72, s10
	s_waitcnt vmcnt(0)
	ds_write_b128 v156, v[190:193]
	v_add_co_u32_e32 v190, vcc, v1, v92
	v_addc_co_u32_e32 v191, vcc, 0, v66, vcc
	global_load_dwordx4 v[190:193], v[190:191], off
	v_add_u32_e32 v1, 0x4400, v87
	s_waitcnt vmcnt(0)
	ds_write_b128 v157, v[190:193]
	s_waitcnt lgkmcnt(0)
	s_barrier
	ds_read2_b64 v[190:193], v86 offset1:4
	s_waitcnt lgkmcnt(0)
	v_mfma_f32_16x16x16f16 v[194:197], v[190:191], v[14:15], 0
	v_mfma_f32_16x16x16f16 v[190:193], v[192:193], v[16:17], v[194:197]
	s_nop 7
	s_nop 1
	ds_read2_b64 v[194:197], v86 offset0:8 offset1:12
	s_waitcnt lgkmcnt(0)
	v_mfma_f32_16x16x16f16 v[190:193], v[194:195], v[10:11], v[190:193]
	v_mfma_f32_16x16x16f16 v[190:193], v[196:197], v[12:13], v[190:193]
	ds_read2_b64 v[194:197], v86 offset0:16 offset1:20
	s_waitcnt lgkmcnt(0)
	v_mfma_f32_16x16x16f16 v[190:193], v[194:195], v[6:7], v[190:193]
	v_mfma_f32_16x16x16f16 v[190:193], v[196:197], v[8:9], v[190:193]
	ds_read2_b64 v[194:197], v86 offset0:24 offset1:28
	s_waitcnt lgkmcnt(0)
	s_barrier
	v_mfma_f32_16x16x16f16 v[190:193], v[194:195], v[2:3], v[190:193]
	ds_read2_b32 v[194:195], v1 offset1:1
	v_mfma_f32_16x16x16f16 v[190:193], v[196:197], v[4:5], v[190:193]
	s_waitcnt lgkmcnt(0)
	v_cvt_f32_f16_e32 v196, v194
	v_cvt_f32_f16_sdwa v197, v194 dst_sel:DWORD dst_unused:UNUSED_PAD src0_sel:WORD_1
	v_cvt_f32_f16_e32 v194, v195
	v_cvt_f32_f16_sdwa v195, v195 dst_sel:DWORD dst_unused:UNUSED_PAD src0_sel:WORD_1
	s_nop 5
	v_pk_add_f32 v[190:191], v[190:191], v[196:197]
	v_add_f32_e32 v1, 0x40051340, v190
	v_add_f32_e32 v66, 0x40051340, v191
	v_pk_add_f32 v[192:193], v[192:193], v[194:195]
	v_max3_f32 v1, v71, v1, v66
	v_add_f32_e32 v66, 0x40051340, v192
	v_add_f32_e32 v194, 0x40051340, v193
	v_max3_f32 v1, v1, v66, v194
	ds_bpermute_b32 v66, v188, v1
	s_waitcnt lgkmcnt(0)
	v_max_f32_e32 v66, v66, v66
	v_max_f32_e32 v1, v1, v66
	ds_bpermute_b32 v66, v189, v1
	s_waitcnt lgkmcnt(0)
	v_max_f32_e32 v66, v66, v66
	v_max_f32_e32 v66, v1, v66
	v_pk_add_f32 v[190:191], v[190:191], v[66:67] op_sel_hi:[1,0] neg_lo:[0,1] neg_hi:[0,1]
	v_mul_f32_e32 v1, 0x3fb8aa3b, v191
	v_fma_f32 v194, v191, s41, -v1
	v_rndne_f32_e32 v195, v1
	v_fmac_f32_e32 v194, 0x32a5705f, v191
	v_sub_f32_e32 v1, v1, v195
	v_add_f32_e32 v1, v1, v194
	v_exp_f32_e32 v1, v1
	v_cvt_i32_f32_e32 v194, v195
	v_cmp_ngt_f32_e32 vcc, s65, v191
	v_sub_f32_e32 v71, v71, v66
	v_ldexp_f32 v1, v1, v194
	v_cndmask_b32_e32 v1, 0, v1, vcc
	v_cmp_nlt_f32_e32 vcc, s93, v191
	v_cndmask_b32_e32 v194, v179, v1, vcc
	v_mul_f32_e32 v1, 0x3fb8aa3b, v190
	v_fma_f32 v191, v190, s41, -v1
	v_rndne_f32_e32 v195, v1
	v_fmac_f32_e32 v191, 0x32a5705f, v190
	v_sub_f32_e32 v1, v1, v195
	v_add_f32_e32 v1, v1, v191
	v_exp_f32_e32 v1, v1
	v_cvt_i32_f32_e32 v191, v195
	v_cmp_ngt_f32_e32 vcc, s65, v190
	v_ldexp_f32 v1, v1, v191
	v_cndmask_b32_e32 v1, 0, v1, vcc
	v_cmp_nlt_f32_e32 vcc, s93, v190
	v_pk_add_f32 v[190:191], v[192:193], v[66:67] op_sel_hi:[1,0] neg_lo:[0,1] neg_hi:[0,1]
	v_cndmask_b32_e32 v195, v179, v1, vcc
	v_mul_f32_e32 v1, 0x3fb8aa3b, v191
	v_fma_f32 v192, v191, s41, -v1
	v_rndne_f32_e32 v193, v1
	v_fmac_f32_e32 v192, 0x32a5705f, v191
	v_sub_f32_e32 v1, v1, v193
	v_add_f32_e32 v1, v1, v192
	v_exp_f32_e32 v1, v1
	v_cvt_i32_f32_e32 v192, v193
	v_cmp_ngt_f32_e32 vcc, s65, v191
	v_ldexp_f32 v1, v1, v192
	v_cndmask_b32_e32 v1, 0, v1, vcc
	v_cmp_nlt_f32_e32 vcc, s93, v191
	v_cndmask_b32_e32 v191, v179, v1, vcc
	v_mul_f32_e32 v1, 0x3fb8aa3b, v190
	v_fma_f32 v192, v190, s41, -v1
	v_rndne_f32_e32 v193, v1
	v_fmac_f32_e32 v192, 0x32a5705f, v190
	v_sub_f32_e32 v1, v1, v193
	v_add_f32_e32 v1, v1, v192
	v_exp_f32_e32 v1, v1
	v_cvt_i32_f32_e32 v192, v193
	v_cmp_ngt_f32_e32 vcc, s65, v190
	v_ldexp_f32 v1, v1, v192
	v_cndmask_b32_e32 v1, 0, v1, vcc
	v_cmp_nlt_f32_e32 vcc, s93, v190
	v_mul_f32_e32 v190, 0x3fb8aa3b, v71
	v_fma_f32 v193, v71, s41, -v190
	v_rndne_f32_e32 v196, v190
	v_fmac_f32_e32 v193, 0x32a5705f, v71
	v_sub_f32_e32 v190, v190, v196
	v_add_f32_e32 v190, v190, v193
	v_exp_f32_e32 v190, v190
	v_cvt_i32_f32_e32 v193, v196
	v_cndmask_b32_e32 v192, v179, v1, vcc
	v_cmp_ngt_f32_e32 vcc, s65, v71
	v_add_f32_e32 v1, v195, v194
	v_ldexp_f32 v190, v190, v193
	v_cndmask_b32_e32 v190, 0, v190, vcc
	v_cmp_nlt_f32_e32 vcc, s93, v71
	v_add_f32_e32 v1, v192, v1
	v_cndmask_b32_e32 v190, v179, v190, vcc
	v_cmp_le_f32_e32 vcc, s94, v71
	v_add_f32_e32 v1, v191, v1
	v_cndmask_b32_e32 v71, 0, v190, vcc
	v_fmac_f32_e32 v1, v198, v71
	v_cvt_f16_f32_e32 v71, v71
	v_pk_mul_f16 v72, v71, v72 op_sel_hi:[0,1]
	v_pk_mul_f16 v49, v71, v49 op_sel_hi:[0,1]
	;; [unrolled: 1-line block ×16, first 2 shown]
	v_cvt_f16_f32_e32 v70, v195
	v_cvt_f16_f32_e32 v71, v194
	v_pack_b32_f16 v70, v70, v71
	v_cvt_f16_f32_e32 v71, v191
	v_cvt_f16_f32_e32 v191, v192
	v_mov_b32_e32 v192, s11
	v_pack_b32_f16 v71, v191, v71
	v_add_co_u32_e32 v191, vcc, s9, v24
	v_addc_co_u32_e32 v193, vcc, v192, v25, vcc
	v_add_co_u32_e32 v192, vcc, v191, v92
	v_addc_co_u32_e32 v193, vcc, 0, v193, vcc
	global_load_dwordx4 v[192:195], v[192:193], off
	v_add_co_u32_e32 v191, vcc, s9, v26
	s_waitcnt vmcnt(0)
	ds_write_b128 v83, v[192:195]
	v_mov_b32_e32 v192, s11
	v_addc_co_u32_e32 v193, vcc, v192, v27, vcc
	v_add_co_u32_e32 v192, vcc, v191, v92
	v_addc_co_u32_e32 v193, vcc, 0, v193, vcc
	global_load_dwordx4 v[192:195], v[192:193], off
	v_add_co_u32_e32 v191, vcc, s9, v28
	s_waitcnt vmcnt(0)
	ds_write_b128 v155, v[192:195]
	v_mov_b32_e32 v192, s11
	;; [unrolled: 8-line block ×3, first 2 shown]
	v_addc_co_u32_e32 v193, vcc, v192, v31, vcc
	v_add_co_u32_e32 v192, vcc, v191, v92
	v_addc_co_u32_e32 v193, vcc, 0, v193, vcc
	global_load_dwordx4 v[192:195], v[192:193], off
	s_waitcnt vmcnt(0)
	ds_write_b128 v157, v[192:195]
	s_waitcnt lgkmcnt(0)
	s_barrier
	ds_read_u16 v191, v89 offset:272
	ds_read_u16 v196, v89 offset:544
	v_cvt_f32_f16_e32 v194, v49
	v_cvt_f32_f16_sdwa v195, v49 dst_sel:DWORD dst_unused:UNUSED_PAD src0_sel:WORD_1
	ds_read_u16 v49, v90
	ds_read_u16 v198, v90 offset:32
	v_cvt_f32_f16_e32 v192, v72
	v_cvt_f32_f16_sdwa v193, v72 dst_sel:DWORD dst_unused:UNUSED_PAD src0_sel:WORD_1
	s_waitcnt lgkmcnt(1)
	v_perm_b32 v197, v49, v196, s95
	ds_read_u16 v49, v88
	ds_read_u16 v199, v88 offset:32
	s_waitcnt lgkmcnt(1)
	v_perm_b32 v196, v191, v49, s95
	s_nop 1
	v_mfma_f32_16x16x16f16 v[192:195], v[196:197], v[70:71], v[192:195]
	s_nop 7
	s_nop 2
	v_cvt_f16_f32_e32 v49, v192
	v_cvt_f16_f32_e32 v72, v193
	;; [unrolled: 1-line block ×4, first 2 shown]
	v_cvt_f32_f16_sdwa v193, v76 dst_sel:DWORD dst_unused:UNUSED_PAD src0_sel:WORD_1
	v_pack_b32_f16 v72, v49, v72
	v_cvt_f32_f16_e32 v194, v74
	v_pack_b32_f16 v49, v191, v192
	ds_read_u16 v191, v158 offset:272
	ds_read_u16 v196, v158 offset:544
	v_cvt_f32_f16_e32 v192, v76
	v_cvt_f32_f16_sdwa v195, v74 dst_sel:DWORD dst_unused:UNUSED_PAD src0_sel:WORD_1
	s_waitcnt lgkmcnt(0)
	v_perm_b32 v197, v198, v196, s95
	v_perm_b32 v196, v191, v199, s95
	s_nop 1
	v_mfma_f32_16x16x16f16 v[192:195], v[196:197], v[70:71], v[192:195]
	s_nop 7
	s_nop 2
	v_cvt_f16_f32_e32 v74, v192
	v_cvt_f16_f32_e32 v76, v193
	v_cvt_f16_f32_e32 v191, v194
	v_cvt_f16_f32_e32 v192, v195
	v_cvt_f32_f16_sdwa v193, v80 dst_sel:DWORD dst_unused:UNUSED_PAD src0_sel:WORD_1
	v_pack_b32_f16 v76, v74, v76
	v_cvt_f32_f16_e32 v194, v78
	v_pack_b32_f16 v74, v191, v192
	ds_read_u16 v191, v88 offset:64
	ds_read_u16 v196, v159 offset:272
	ds_read_u16 v197, v159 offset:544
	ds_read_u16 v198, v90 offset:64
	v_cvt_f32_f16_e32 v192, v80
	v_cvt_f32_f16_sdwa v195, v78 dst_sel:DWORD dst_unused:UNUSED_PAD src0_sel:WORD_1
	s_waitcnt lgkmcnt(2)
	v_perm_b32 v196, v196, v191, s95
	s_waitcnt lgkmcnt(0)
	v_perm_b32 v197, v198, v197, s95
	s_nop 1
	v_mfma_f32_16x16x16f16 v[192:195], v[196:197], v[70:71], v[192:195]
	s_nop 7
	s_nop 2
	v_cvt_f16_f32_e32 v78, v192
	v_cvt_f16_f32_e32 v80, v193
	v_cvt_f16_f32_e32 v191, v194
	v_cvt_f16_f32_e32 v192, v195
	v_cvt_f32_f16_sdwa v193, v84 dst_sel:DWORD dst_unused:UNUSED_PAD src0_sel:WORD_1
	v_pack_b32_f16 v80, v78, v80
	v_cvt_f32_f16_e32 v194, v82
	v_pack_b32_f16 v78, v191, v192
	ds_read_u16 v191, v88 offset:96
	ds_read_u16 v196, v160 offset:272
	ds_read_u16 v197, v160 offset:544
	ds_read_u16 v198, v90 offset:96
	v_cvt_f32_f16_e32 v192, v84
	v_cvt_f32_f16_sdwa v195, v82 dst_sel:DWORD dst_unused:UNUSED_PAD src0_sel:WORD_1
	s_waitcnt lgkmcnt(2)
	v_perm_b32 v196, v196, v191, s95
	s_waitcnt lgkmcnt(0)
	;; [unrolled: 22-line block ×6, first 2 shown]
	v_perm_b32 v191, v198, v191, s95
	s_barrier
	s_nop 0
	v_mfma_f32_16x16x16f16 v[190:193], v[190:191], v[70:71], v[192:195]
	s_nop 7
	s_nop 2
	v_cvt_f16_f32_e32 v47, v190
	v_cvt_f16_f32_e32 v70, v191
	;; [unrolled: 1-line block ×4, first 2 shown]
	v_pack_b32_f16 v70, v47, v70
	v_pack_b32_f16 v47, v71, v190
	s_cbranch_scc1 .LBB24_39
.LBB24_40:                              ;   in Loop: Header=BB24_14 Depth=1
	s_lshl_b32 s8, s72, 6
	s_ashr_i32 s9, s8, 31
	s_lshl_b64 s[10:11], s[8:9], 1
	v_mov_b32_e32 v71, s11
	v_add_co_u32_e32 v184, vcc, s10, v61
	v_addc_co_u32_e32 v71, vcc, v180, v71, vcc
	v_add_co_u32_e32 v68, vcc, v184, v68
	s_mul_hi_i32 s11, s34, s8
	s_mul_i32 s10, s34, s8
	v_addc_co_u32_e32 v69, vcc, v71, v69, vcc
	v_lshlrev_b32_e32 v71, 1, v20
	s_lshl_b64 s[10:11], s[10:11], 2
	v_add_co_u32_e32 v68, vcc, v68, v71
	s_add_u32 s9, s49, s10
	v_addc_co_u32_e32 v69, vcc, 0, v69, vcc
	s_addc_u32 s10, s54, s11
	global_load_dword v71, v[68:69], off
	v_mov_b32_e32 v68, s10
	v_add_co_u32_e32 v69, vcc, s9, v32
	v_addc_co_u32_e32 v184, vcc, v68, v33, vcc
	v_add_co_u32_e32 v68, vcc, v69, v92
	v_addc_co_u32_e32 v69, vcc, 0, v184, vcc
	v_mov_b32_e32 v184, s10
	v_add_co_u32_e32 v186, vcc, s9, v34
	v_addc_co_u32_e32 v184, vcc, v184, v35, vcc
	v_add_co_u32_e32 v192, vcc, v186, v92
	v_addc_co_u32_e32 v193, vcc, 0, v184, vcc
	global_load_dwordx4 v[188:191], v[68:69], off
	s_nop 0
	global_load_dwordx4 v[192:195], v[192:193], off
	v_mov_b32_e32 v68, s10
	v_add_co_u32_e32 v69, vcc, s9, v36
	v_addc_co_u32_e32 v184, vcc, v68, v37, vcc
	v_add_co_u32_e32 v68, vcc, v69, v92
	v_addc_co_u32_e32 v69, vcc, 0, v184, vcc
	v_mov_b32_e32 v184, s10
	v_add_co_u32_e32 v186, vcc, s9, v38
	v_addc_co_u32_e32 v184, vcc, v184, v39, vcc
	v_add_co_u32_e32 v200, vcc, v186, v92
	v_addc_co_u32_e32 v201, vcc, 0, v184, vcc
	global_load_dwordx4 v[196:199], v[68:69], off
	s_nop 0
	global_load_dwordx4 v[200:203], v[200:201], off
	v_cmp_lt_i32_e32 vcc, v41, v21
	s_mul_hi_i32 s9, s30, s8
	s_mul_i32 s8, s30, s8
	s_lshl_b64 s[8:9], s[8:9], 2
	s_add_u32 s8, s6, s8
	s_addc_u32 s9, s85, s9
	v_mov_b32_e32 v68, s9
	v_mov_b32_e32 v69, s9
	s_cmp_eq_u64 s[70:71], 0
	s_waitcnt vmcnt(4)
	ds_write_b32 v81, v71 offset:17408
	s_waitcnt vmcnt(3)
	ds_write_b128 v83, v[188:191]
	s_waitcnt vmcnt(2)
	ds_write_b128 v155, v[192:195]
	;; [unrolled: 2-line block ×4, first 2 shown]
	s_waitcnt lgkmcnt(0)
	s_barrier
	ds_read2_b64 v[188:191], v86 offset1:4
	s_waitcnt lgkmcnt(0)
	v_mfma_f32_16x16x16f16 v[192:195], v[188:189], v[14:15], 0
	v_cndmask_b32_e32 v14, v45, v41, vcc
	v_cmp_lt_i32_e32 vcc, v43, v21
	v_cndmask_b32_e32 v15, v45, v43, vcc
	ds_read2_b64 v[196:199], v86 offset0:8 offset1:12
	v_lshlrev_b32_e32 v41, 2, v14
	v_lshlrev_b32_e32 v21, 2, v15
	v_mov_b32_e32 v43, s9
	v_mfma_f32_16x16x16f16 v[14:17], v[190:191], v[16:17], v[192:195]
	ds_read2_b64 v[188:191], v86 offset0:16 offset1:20
	v_add_co_u32_e32 v184, vcc, s8, v24
	v_addc_co_u32_e32 v43, vcc, v43, v25, vcc
	v_add_u32_e32 v71, 0x4400, v87
	v_mov_b32_e32 v45, s9
	s_waitcnt lgkmcnt(1)
	v_mfma_f32_16x16x16f16 v[14:17], v[196:197], v[10:11], v[14:17]
	v_add_co_u32_e32 v186, vcc, s8, v26
	v_addc_co_u32_e32 v45, vcc, v45, v27, vcc
	v_add_co_u32_e32 v192, vcc, s8, v28
	v_addc_co_u32_e32 v193, vcc, v68, v29, vcc
	v_mfma_f32_16x16x16f16 v[10:13], v[198:199], v[12:13], v[14:17]
	v_add_co_u32_e32 v194, vcc, s8, v30
	v_addc_co_u32_e32 v195, vcc, v69, v31, vcc
	v_add_co_u32_e32 v68, vcc, v184, v92
	s_nop 3
	ds_read2_b64 v[14:17], v86 offset0:24 offset1:28
	s_waitcnt lgkmcnt(1)
	v_mfma_f32_16x16x16f16 v[10:13], v[188:189], v[6:7], v[10:13]
	s_waitcnt lgkmcnt(0)
	s_barrier
	v_addc_co_u32_e32 v69, vcc, 0, v43, vcc
	s_cselect_b64 s[8:9], -1, 0
	s_xor_b64 s[10:11], s[0:1], -1
	v_mfma_f32_16x16x16f16 v[6:9], v[190:191], v[8:9], v[10:13]
	s_or_b64 s[8:9], s[10:11], s[8:9]
	v_mfma_f32_16x16x16f16 v[6:9], v[14:15], v[2:3], v[6:9]
	s_nop 4
	ds_read2_b32 v[12:13], v71 offset1:1
	v_add_co_u32_e32 v10, vcc, v186, v92
	v_addc_co_u32_e32 v11, vcc, 0, v45, vcc
	s_waitcnt lgkmcnt(0)
	v_cvt_f32_f16_e32 v188, v12
	v_cvt_f32_f16_sdwa v189, v12 dst_sel:DWORD dst_unused:UNUSED_PAD src0_sel:WORD_1
	v_mfma_f32_16x16x16f16 v[2:5], v[16:17], v[4:5], v[6:9]
	v_cvt_f32_f16_e32 v12, v13
	v_cvt_f32_f16_sdwa v13, v13 dst_sel:DWORD dst_unused:UNUSED_PAD src0_sel:WORD_1
	v_add_co_u32_e32 v14, vcc, v192, v92
	v_addc_co_u32_e32 v15, vcc, 0, v193, vcc
	s_nop 6
	v_pk_add_f32 v[16:17], v[2:3], v[188:189]
	v_pk_add_f32 v[192:193], v[4:5], v[12:13]
	v_add_f32_e32 v2, 0x40051340, v16
	v_add_f32_e32 v3, 0x40051340, v17
	v_add_f32_e32 v4, 0x40051340, v192
	v_add_f32_e32 v5, 0x40051340, v193
	v_max3_f32 v2, v66, v2, v3
	v_max3_f32 v4, v2, v4, v5
	ds_bpermute_b32 v5, v41, v4
	v_add_co_u32_e32 v2, vcc, v194, v92
	v_addc_co_u32_e32 v3, vcc, 0, v195, vcc
	s_waitcnt lgkmcnt(0)
	v_max_f32_e32 v5, v5, v5
	v_max_f32_e32 v43, v4, v5
	global_load_dwordx4 v[4:7], v[68:69], off
	s_nop 0
	global_load_dwordx4 v[8:11], v[10:11], off
	s_nop 0
	;; [unrolled: 2-line block ×3, first 2 shown]
	global_load_dwordx4 v[188:191], v[2:3], off
	ds_bpermute_b32 v45, v21, v43
	s_waitcnt vmcnt(3)
	ds_write_b128 v83, v[4:7]
	s_waitcnt vmcnt(2)
	ds_write_b128 v155, v[8:11]
	;; [unrolled: 2-line block ×4, first 2 shown]
	s_waitcnt lgkmcnt(4)
	v_max_f32_e32 v2, v45, v45
	v_max_f32_e32 v2, v43, v2
	v_pk_add_f32 v[16:17], v[16:17], v[2:3] op_sel_hi:[1,0] neg_lo:[0,1] neg_hi:[0,1]
	v_pk_add_f32 v[68:69], v[192:193], v[2:3] op_sel_hi:[1,0] neg_lo:[0,1] neg_hi:[0,1]
	v_mul_f32_e32 v3, 0x3fb8aa3b, v17
	v_mul_f32_e32 v43, 0x3fb8aa3b, v16
	v_fma_f32 v71, v17, s41, -v3
	v_rndne_f32_e32 v184, v3
	v_fma_f32 v186, v16, s41, -v43
	v_rndne_f32_e32 v192, v43
	v_fmac_f32_e32 v71, 0x32a5705f, v17
	v_sub_f32_e32 v3, v3, v184
	v_fmac_f32_e32 v186, 0x32a5705f, v16
	v_sub_f32_e32 v43, v43, v192
	v_add_f32_e32 v3, v3, v71
	v_cvt_i32_f32_e32 v184, v184
	v_add_f32_e32 v43, v43, v186
	v_exp_f32_e32 v3, v3
	v_mul_f32_e32 v45, 0x3fb8aa3b, v69
	v_cvt_i32_f32_e32 v192, v192
	v_exp_f32_e32 v43, v43
	v_fma_f32 v193, v69, s41, -v45
	v_rndne_f32_e32 v194, v45
	v_fmac_f32_e32 v193, 0x32a5705f, v69
	v_sub_f32_e32 v45, v45, v194
	v_add_f32_e32 v45, v45, v193
	v_ldexp_f32 v3, v3, v184
	v_cmp_ngt_f32_e32 vcc, s65, v17
	v_cvt_i32_f32_e32 v194, v194
	v_exp_f32_e32 v45, v45
	v_ldexp_f32 v43, v43, v192
	v_cndmask_b32_e32 v3, 0, v3, vcc
	v_cmp_ngt_f32_e32 vcc, s65, v16
	v_cndmask_b32_e32 v43, 0, v43, vcc
	v_cmp_nlt_f32_e32 vcc, s93, v17
	v_cndmask_b32_e32 v3, v179, v3, vcc
	v_cmp_nlt_f32_e32 vcc, s93, v16
	v_cndmask_b32_e32 v16, v179, v43, vcc
	v_mul_f32_e32 v43, 0x3fb8aa3b, v68
	v_ldexp_f32 v17, v45, v194
	v_fma_f32 v45, v68, s41, -v43
	v_rndne_f32_e32 v71, v43
	v_fmac_f32_e32 v45, 0x32a5705f, v68
	v_sub_f32_e32 v43, v43, v71
	v_add_f32_e32 v43, v43, v45
	v_exp_f32_e32 v43, v43
	v_cvt_i32_f32_e32 v45, v71
	v_cmp_ngt_f32_e32 vcc, s65, v69
	v_cndmask_b32_e32 v17, 0, v17, vcc
	v_cmp_nlt_f32_e32 vcc, s93, v69
	v_ldexp_f32 v43, v43, v45
	v_sub_f32_e32 v45, v66, v2
	v_mul_f32_e32 v66, 0x3fb8aa3b, v45
	v_fma_f32 v69, v45, s41, -v66
	v_rndne_f32_e32 v71, v66
	v_fmac_f32_e32 v69, 0x32a5705f, v45
	v_sub_f32_e32 v66, v66, v71
	v_add_f32_e32 v66, v66, v69
	v_exp_f32_e32 v66, v66
	v_cvt_i32_f32_e32 v69, v71
	v_cndmask_b32_e32 v17, v179, v17, vcc
	v_cmp_ngt_f32_e32 vcc, s65, v68
	v_cndmask_b32_e32 v43, 0, v43, vcc
	v_cmp_nlt_f32_e32 vcc, s93, v68
	v_cndmask_b32_e32 v43, v179, v43, vcc
	v_ldexp_f32 v66, v66, v69
	v_cmp_ngt_f32_e32 vcc, s65, v45
	v_cndmask_b32_e32 v66, 0, v66, vcc
	v_cmp_nlt_f32_e32 vcc, s93, v45
	v_cndmask_b32_e32 v66, v179, v66, vcc
	v_cmp_le_f32_e32 vcc, s94, v45
	v_cndmask_b32_e32 v45, 0, v66, vcc
	v_cvt_f16_f32_e32 v66, v45
	v_add_f32_e32 v68, v16, v3
	v_add_f32_e32 v68, v43, v68
	;; [unrolled: 1-line block ×3, first 2 shown]
	v_fmac_f32_e32 v186, v1, v45
	v_pk_mul_f16 v1, v66, v72 op_sel_hi:[0,1]
	v_pk_mul_f16 v69, v66, v80 op_sel_hi:[0,1]
	;; [unrolled: 1-line block ×4, first 2 shown]
	s_waitcnt lgkmcnt(0)
	s_barrier
	v_cvt_f32_f16_e32 v4, v1
	v_cvt_f32_f16_sdwa v5, v1 dst_sel:DWORD dst_unused:UNUSED_PAD src0_sel:WORD_1
	ds_read_u16 v1, v89 offset:272
	ds_read_u16 v7, v89 offset:544
	ds_read_u16 v8, v90
	ds_read_u16 v11, v90 offset:32
	ds_read_u16 v14, v90 offset:64
	;; [unrolled: 1-line block ×5, first 2 shown]
	v_pk_mul_f16 v45, v66, v49 op_sel_hi:[0,1]
	v_pk_mul_f16 v49, v66, v76 op_sel_hi:[0,1]
	;; [unrolled: 1-line block ×8, first 2 shown]
	v_cvt_f16_f32_e32 v16, v16
	v_cvt_f16_f32_e32 v3, v3
	;; [unrolled: 1-line block ×4, first 2 shown]
	s_waitcnt lgkmcnt(5)
	v_perm_b32 v9, v8, v7, s95
	ds_read_u16 v7, v88
	ds_read_u16 v12, v88 offset:32
	ds_read_u16 v185, v88 offset:64
	;; [unrolled: 1-line block ×7, first 2 shown]
	s_waitcnt lgkmcnt(7)
	v_perm_b32 v8, v1, v7, s95
	v_cvt_f32_f16_e32 v6, v45
	v_cvt_f32_f16_sdwa v7, v45 dst_sel:DWORD dst_unused:UNUSED_PAD src0_sel:WORD_1
	v_pk_mul_f16 v71, v66, v78 op_sel_hi:[0,1]
	v_pk_mul_f16 v72, v66, v84 op_sel_hi:[0,1]
	;; [unrolled: 1-line block ×3, first 2 shown]
	v_pack_b32_f16 v84, v16, v3
	v_pack_b32_f16 v85, v43, v17
	v_pk_mul_f16 v45, v66, v47 op_sel_hi:[0,1]
	v_cvt_f32_f16_e32 v10, v68
	v_mfma_f32_16x16x16f16 v[4:7], v[8:9], v[84:85], v[4:7]
	v_cvt_f32_f16_e32 v8, v49
	v_cvt_f32_f16_sdwa v9, v49 dst_sel:DWORD dst_unused:UNUSED_PAD src0_sel:WORD_1
	s_nop 7
	s_nop 0
	v_cvt_f16_f32_e32 v1, v4
	v_cvt_f16_f32_e32 v3, v5
	ds_read_u16 v4, v158 offset:272
	ds_read_u16 v5, v158 offset:544
	;; [unrolled: 1-line block ×6, first 2 shown]
	s_waitcnt lgkmcnt(4)
	v_perm_b32 v13, v11, v5, s95
	v_perm_b32 v12, v4, v12, s95
	v_cvt_f32_f16_sdwa v11, v68 dst_sel:DWORD dst_unused:UNUSED_PAD src0_sel:WORD_1
	v_cvt_f16_f32_e32 v5, v6
	v_cvt_f16_f32_e32 v68, v7
	v_mfma_f32_16x16x16f16 v[6:9], v[12:13], v[84:85], v[8:11]
	s_waitcnt lgkmcnt(2)
	v_perm_b32 v13, v14, v17, s95
	v_perm_b32 v12, v16, v185, s95
	v_pack_b32_f16 v4, v1, v3
	s_waitcnt lgkmcnt(0)
	v_perm_b32 v17, v15, v47, s95
	s_nop 0
	v_cvt_f32_f16_e32 v10, v71
	v_cvt_f32_f16_sdwa v11, v71 dst_sel:DWORD dst_unused:UNUSED_PAD src0_sel:WORD_1
	v_perm_b32 v16, v43, v187, s95
	s_nop 0
	v_cvt_f16_f32_e32 v3, v6
	v_cvt_f16_f32_e32 v6, v7
	v_cvt_f16_f32_e32 v7, v8
	v_cvt_f16_f32_e32 v192, v9
	v_cvt_f32_f16_e32 v8, v69
	v_cvt_f32_f16_sdwa v9, v69 dst_sel:DWORD dst_unused:UNUSED_PAD src0_sel:WORD_1
	v_cvt_f32_f16_e32 v14, v74
	v_cvt_f32_f16_sdwa v15, v74 dst_sel:DWORD dst_unused:UNUSED_PAD src0_sel:WORD_1
	v_mfma_f32_16x16x16f16 v[8:11], v[12:13], v[84:85], v[8:11]
	v_cvt_f32_f16_e32 v12, v72
	v_cvt_f32_f16_sdwa v13, v72 dst_sel:DWORD dst_unused:UNUSED_PAD src0_sel:WORD_1
	v_pack_b32_f16 v1, v5, v68
	v_pack_b32_f16 v5, v7, v192
	;; [unrolled: 1-line block ×3, first 2 shown]
	ds_read_u16 v49, v90 offset:192
	ds_read_u16 v66, v90 offset:224
	v_cvt_f32_f16_e32 v68, v80
	s_nop 2
	v_cvt_f16_f32_e32 v7, v9
	v_cvt_f16_f32_e32 v9, v10
	;; [unrolled: 1-line block ×3, first 2 shown]
	v_mfma_f32_16x16x16f16 v[10:13], v[16:17], v[84:85], v[12:15]
	v_cvt_f16_f32_e32 v3, v8
	v_cvt_f32_f16_sdwa v69, v80 dst_sel:DWORD dst_unused:UNUSED_PAD src0_sel:WORD_1
	v_pack_b32_f16 v8, v3, v7
	s_nop 3
	v_cvt_f32_f16_e32 v14, v78
	s_nop 2
	v_cvt_f16_f32_e32 v3, v10
	v_cvt_f16_f32_e32 v10, v11
	;; [unrolled: 1-line block ×4, first 2 shown]
	v_cvt_f32_f16_e32 v12, v76
	v_cvt_f32_f16_sdwa v13, v76 dst_sel:DWORD dst_unused:UNUSED_PAD src0_sel:WORD_1
	ds_read_u16 v7, v161 offset:272
	ds_read_u16 v15, v161 offset:544
	;; [unrolled: 1-line block ×8, first 2 shown]
	s_waitcnt lgkmcnt(6)
	v_perm_b32 v17, v70, v15, s95
	v_perm_b32 v16, v7, v188, s95
	v_cvt_f32_f16_sdwa v15, v78 dst_sel:DWORD dst_unused:UNUSED_PAD src0_sel:WORD_1
	v_cvt_f32_f16_e32 v70, v82
	v_pack_b32_f16 v7, v9, v43
	v_mfma_f32_16x16x16f16 v[12:15], v[16:17], v[84:85], v[12:15]
	s_waitcnt lgkmcnt(4)
	v_perm_b32 v17, v184, v72, s95
	v_perm_b32 v16, v71, v189, s95
	v_cvt_f32_f16_sdwa v71, v82 dst_sel:DWORD dst_unused:UNUSED_PAD src0_sel:WORD_1
	v_pack_b32_f16 v9, v11, v47
	v_pack_b32_f16 v10, v3, v10
	v_cvt_f32_f16_e32 v184, v45
	s_waitcnt lgkmcnt(0)
	s_nop 2
	v_cvt_f16_f32_e32 v11, v13
	v_cvt_f16_f32_e32 v13, v14
	;; [unrolled: 1-line block ×3, first 2 shown]
	v_mfma_f32_16x16x16f16 v[14:17], v[16:17], v[84:85], v[68:71]
	v_cvt_f16_f32_e32 v3, v12
	s_barrier
	v_pack_b32_f16 v12, v3, v11
	v_pack_b32_f16 v11, v13, v43
	s_nop 2
	v_cvt_f32_f16_e32 v68, v181
	s_nop 2
	v_cvt_f16_f32_e32 v3, v14
	v_cvt_f16_f32_e32 v14, v15
	;; [unrolled: 1-line block ×4, first 2 shown]
	v_perm_b32 v17, v49, v76, s95
	v_perm_b32 v16, v74, v190, s95
	v_cvt_f32_f16_sdwa v69, v181 dst_sel:DWORD dst_unused:UNUSED_PAD src0_sel:WORD_1
	v_cvt_f32_f16_e32 v70, v182
	v_cvt_f32_f16_sdwa v71, v182 dst_sel:DWORD dst_unused:UNUSED_PAD src0_sel:WORD_1
	v_pack_b32_f16 v14, v3, v14
	v_pack_b32_f16 v13, v15, v47
	v_mfma_f32_16x16x16f16 v[68:71], v[16:17], v[84:85], v[68:71]
	v_cvt_f32_f16_e32 v182, v183
	v_cvt_f32_f16_sdwa v183, v183 dst_sel:DWORD dst_unused:UNUSED_PAD src0_sel:WORD_1
	ds_bpermute_b32 v47, v41, v186
	s_nop 7
	v_cvt_f16_f32_e32 v3, v68
	v_cvt_f16_f32_e32 v15, v69
	v_perm_b32 v69, v66, v187, s95
	v_perm_b32 v68, v185, v191, s95
	v_cvt_f32_f16_sdwa v185, v45 dst_sel:DWORD dst_unused:UNUSED_PAD src0_sel:WORD_1
	v_cvt_f16_f32_e32 v17, v70
	v_cvt_f16_f32_e32 v43, v71
	v_mfma_f32_16x16x16f16 v[68:71], v[68:69], v[84:85], v[182:185]
	v_pack_b32_f16 v16, v3, v15
	v_pack_b32_f16 v15, v17, v43
	s_nop 7
	s_nop 0
	v_cvt_f16_f32_e32 v3, v68
	v_cvt_f16_f32_e32 v45, v69
	;; [unrolled: 1-line block ×4, first 2 shown]
	v_pack_b32_f16 v66, v3, v45
	s_waitcnt lgkmcnt(0)
	v_add_f32_e32 v3, v186, v47
	ds_bpermute_b32 v45, v21, v3
	v_pack_b32_f16 v17, v17, v43
	s_waitcnt lgkmcnt(0)
	v_add_f32_e32 v3, v3, v45
	s_and_saveexec_b64 s[10:11], s[8:9]
	s_xor_b64 s[8:9], exec, s[10:11]
	s_andn2_saveexec_b64 s[8:9], s[8:9]
	s_cbranch_execz .LBB24_42
; %bb.41:                               ;   in Loop: Header=BB24_14 Depth=1
	v_lshlrev_b32_e32 v43, 2, v58
	global_load_dword v43, v43, s[70:71]
	v_max_f32_e32 v47, v2, v2
	s_waitcnt vmcnt(0)
	v_max_f32_e32 v45, v43, v43
	v_max_f32_e32 v68, v47, v45
	v_sub_f32_e32 v2, v2, v68
	v_mul_f32_e32 v45, 0x3fb8aa3b, v2
	v_fma_f32 v47, v2, s41, -v45
	v_rndne_f32_e32 v49, v45
	v_fmac_f32_e32 v47, 0x32a5705f, v2
	v_sub_f32_e32 v45, v45, v49
	v_add_f32_e32 v45, v45, v47
	v_exp_f32_e32 v45, v45
	v_cvt_i32_f32_e32 v47, v49
	v_cmp_ngt_f32_e32 vcc, s65, v2
	v_sub_f32_e32 v43, v43, v68
	v_ldexp_f32 v45, v45, v47
	v_cndmask_b32_e32 v45, 0, v45, vcc
	v_cmp_nlt_f32_e32 vcc, s93, v2
	v_cndmask_b32_e32 v45, v179, v45, vcc
	v_cmp_le_f32_e32 vcc, s94, v2
	v_cndmask_b32_e32 v2, 0, v45, vcc
	v_cvt_f16_f32_e32 v45, v2
	v_cmp_ngt_f32_e32 vcc, s65, v43
	v_pk_mul_f16 v4, v45, v4 op_sel_hi:[0,1]
	v_pk_mul_f16 v1, v45, v1 op_sel_hi:[0,1]
	;; [unrolled: 1-line block ×16, first 2 shown]
	v_mul_f32_e32 v45, 0x3fb8aa3b, v43
	v_fma_f32 v47, v43, s41, -v45
	v_rndne_f32_e32 v49, v45
	v_fmac_f32_e32 v47, 0x32a5705f, v43
	v_sub_f32_e32 v45, v45, v49
	v_add_f32_e32 v45, v45, v47
	v_exp_f32_e32 v45, v45
	v_cvt_i32_f32_e32 v47, v49
	v_ldexp_f32 v45, v45, v47
	v_cndmask_b32_e32 v45, 0, v45, vcc
	v_cmp_nlt_f32_e32 vcc, s93, v43
	v_cndmask_b32_e32 v69, v179, v45, vcc
	v_fmac_f32_e32 v69, v3, v2
	v_pk_mov_b32 v[2:3], v[68:69], v[68:69] op_sel:[0,1]
.LBB24_42:                              ;   in Loop: Header=BB24_14 Depth=1
	s_or_b64 exec, exec, s[8:9]
	s_and_saveexec_b64 s[8:9], s[4:5]
	s_cbranch_execz .LBB24_44
; %bb.43:                               ;   in Loop: Header=BB24_14 Depth=1
	v_add_u32_e32 v43, 0, v94
	ds_write2_b32 v43, v2, v3 offset0:64 offset1:65
.LBB24_44:                              ;   in Loop: Header=BB24_14 Depth=1
	s_or_b64 exec, exec, s[8:9]
	s_waitcnt lgkmcnt(0)
	s_barrier
	s_and_saveexec_b64 s[8:9], s[2:3]
	s_xor_b64 s[8:9], exec, s[8:9]
	s_cbranch_execz .LBB24_46
; %bb.45:                               ;   in Loop: Header=BB24_14 Depth=1
	s_barrier
	s_waitcnt lgkmcnt(0)
                                        ; implicit-def: $vgpr41
                                        ; implicit-def: $vgpr21
.LBB24_46:                              ;   in Loop: Header=BB24_14 Depth=1
	s_andn2_saveexec_b64 s[8:9], s[8:9]
	s_cbranch_execz .LBB24_50
; %bb.47:                               ;   in Loop: Header=BB24_14 Depth=1
	v_add_u32_e32 v3, 0, v95
	ds_read_b64 v[68:69], v3 offset:256
	s_waitcnt lgkmcnt(0)
	s_barrier
	ds_bpermute_b32 v2, v41, v68
	v_max_f32_e32 v43, v68, v68
	s_waitcnt lgkmcnt(0)
	v_max_f32_e32 v2, v2, v2
	v_max_f32_e32 v2, v43, v2
	ds_bpermute_b32 v43, v21, v2
	s_waitcnt lgkmcnt(0)
	v_max_f32_e32 v43, v43, v43
	v_max_f32_e32 v2, v2, v43
	v_sub_f32_e32 v43, v68, v2
	v_mul_f32_e32 v45, 0x3fb8aa3b, v43
	v_fma_f32 v47, v43, s41, -v45
	v_rndne_f32_e32 v49, v45
	v_fmac_f32_e32 v47, 0x32a5705f, v43
	v_sub_f32_e32 v45, v45, v49
	v_add_f32_e32 v45, v45, v47
	v_cvt_i32_f32_e32 v49, v49
	v_exp_f32_e32 v45, v45
	v_cmp_ngt_f32_e32 vcc, s65, v43
	v_ldexp_f32 v45, v45, v49
	v_cndmask_b32_e32 v45, 0, v45, vcc
	v_cmp_nlt_f32_e32 vcc, s93, v43
	v_cndmask_b32_e32 v68, v179, v45, vcc
	v_mul_f32_e32 v43, v69, v68
	ds_bpermute_b32 v41, v41, v43
	s_waitcnt lgkmcnt(0)
	v_fmac_f32_e32 v41, v69, v68
	ds_bpermute_b32 v21, v21, v41
	s_waitcnt lgkmcnt(0)
	v_add_f32_e32 v69, v41, v21
	ds_write_b64 v3, v[68:69] offset:256
	s_and_saveexec_b64 s[10:11], s[4:5]
	s_cbranch_execz .LBB24_49
; %bb.48:                               ;   in Loop: Header=BB24_14 Depth=1
	v_mov_b32_e32 v3, v69
	global_store_dwordx2 v[22:23], v[2:3], off
.LBB24_49:                              ;   in Loop: Header=BB24_14 Depth=1
	s_or_b64 exec, exec, s[10:11]
.LBB24_50:                              ;   in Loop: Header=BB24_14 Depth=1
	s_or_b64 exec, exec, s[8:9]
	ds_write2_b32 v96, v4, v1 offset1:1
	ds_write2_b32 v96, v6, v5 offset0:8 offset1:9
	ds_write2_b32 v96, v8, v7 offset0:16 offset1:17
	;; [unrolled: 1-line block ×7, first 2 shown]
	s_waitcnt lgkmcnt(0)
	s_barrier
	s_and_saveexec_b64 s[72:73], s[0:1]
	s_cbranch_execz .LBB24_128
; %bb.51:                               ;   in Loop: Header=BB24_14 Depth=1
	v_add_u32_e32 v2, s88, v168
	v_or_b32_e32 v1, s64, v62
	v_cmp_gt_i32_e64 s[8:9], s28, v2
	v_cmp_gt_i32_e32 vcc, s33, v1
	s_and_b64 s[8:9], s[8:9], vcc
	v_mov_b32_e32 v1, 0x47
	s_and_saveexec_b64 s[10:11], s[8:9]
	s_cbranch_execz .LBB24_53
; %bb.52:                               ;   in Loop: Header=BB24_14 Depth=1
	v_add_u32_e32 v1, 0, v97
	ds_read2st64_b32 v[4:5], v1 offset0:1 offset1:18
	ds_read2st64_b32 v[6:7], v98 offset1:17
	ds_read2st64_b32 v[8:9], v1 offset0:35 offset1:52
	ds_read2st64_b32 v[10:11], v98 offset0:34 offset1:51
	v_mad_u64_u32 v[2:3], s[8:9], v2, s29, v[62:63]
	s_waitcnt lgkmcnt(2)
	v_cvt_f32_f16_sdwa v13, v6 dst_sel:DWORD dst_unused:UNUSED_PAD src0_sel:WORD_1
	v_cvt_f32_f16_e32 v12, v6
	v_cvt_f32_f16_sdwa v15, v7 dst_sel:DWORD dst_unused:UNUSED_PAD src0_sel:WORD_1
	v_cvt_f32_f16_e32 v14, v7
	s_waitcnt lgkmcnt(0)
	v_cvt_f32_f16_sdwa v7, v10 dst_sel:DWORD dst_unused:UNUSED_PAD src0_sel:WORD_1
	v_cvt_f32_f16_e32 v6, v10
	v_pk_fma_f32 v[12:13], v[4:5], v[12:13], 0 op_sel_hi:[0,1,0]
	v_mov_b32_e32 v4, v5
	v_pk_fma_f32 v[4:5], v[4:5], v[14:15], v[12:13] op_sel_hi:[0,1,1]
	v_lshl_add_u32 v2, v2, 6, v18
	v_pk_fma_f32 v[4:5], v[8:9], v[6:7], v[4:5] op_sel_hi:[0,1,1]
	v_cvt_f32_f16_sdwa v7, v11 dst_sel:DWORD dst_unused:UNUSED_PAD src0_sel:WORD_1
	v_cvt_f32_f16_e32 v6, v11
	v_ashrrev_i32_e32 v3, 31, v2
	v_lshlrev_b64 v[2:3], 3, v[2:3]
	v_add_co_u32_e64 v2, s[8:9], s57, v2
	v_mov_b32_e32 v1, s7
	v_mov_b32_e32 v8, v9
	v_addc_co_u32_e64 v3, s[8:9], v1, v3, s[8:9]
	v_pk_fma_f32 v[4:5], v[8:9], v[6:7], v[4:5] op_sel_hi:[0,1,1]
	v_mov_b32_e32 v1, 0
	global_store_dwordx2 v[2:3], v[4:5], off
.LBB24_53:                              ;   in Loop: Header=BB24_14 Depth=1
	s_or_b64 exec, exec, s[10:11]
	s_movk_i32 s8, 0x47
	v_cmp_gt_i32_e64 s[8:9], s8, v1
	s_mov_b64 s[10:11], -1
	s_and_saveexec_b64 s[74:75], s[8:9]
; %bb.54:                               ;   in Loop: Header=BB24_14 Depth=1
	v_cmp_eq_u32_e64 s[8:9], 0, v1
	s_orn2_b64 s[10:11], s[8:9], exec
; %bb.55:                               ;   in Loop: Header=BB24_14 Depth=1
	s_or_b64 exec, exec, s[74:75]
	s_and_b64 exec, exec, s[10:11]
	s_cbranch_execz .LBB24_128
; %bb.56:                               ;   in Loop: Header=BB24_14 Depth=1
	v_add_u32_e32 v2, s88, v169
	v_or_b32_e32 v1, s64, v40
	v_cmp_gt_i32_e64 s[8:9], s28, v2
	v_cmp_gt_i32_e64 s[10:11], s33, v1
	s_and_b64 s[8:9], s[8:9], s[10:11]
	v_mov_b32_e32 v1, 0x47
	s_and_saveexec_b64 s[10:11], s[8:9]
	s_cbranch_execz .LBB24_58
; %bb.57:                               ;   in Loop: Header=BB24_14 Depth=1
	v_add_u32_e32 v1, 0, v99
	ds_read2st64_b32 v[4:5], v1 offset0:1 offset1:18
	ds_read2st64_b32 v[6:7], v100 offset1:17
	ds_read2st64_b32 v[8:9], v1 offset0:35 offset1:52
	ds_read2st64_b32 v[10:11], v100 offset0:34 offset1:51
	v_mad_u64_u32 v[2:3], s[8:9], v2, s29, v[40:41]
	s_waitcnt lgkmcnt(2)
	v_cvt_f32_f16_sdwa v13, v6 dst_sel:DWORD dst_unused:UNUSED_PAD src0_sel:WORD_1
	v_cvt_f32_f16_e32 v12, v6
	v_cvt_f32_f16_sdwa v15, v7 dst_sel:DWORD dst_unused:UNUSED_PAD src0_sel:WORD_1
	v_cvt_f32_f16_e32 v14, v7
	s_waitcnt lgkmcnt(0)
	v_cvt_f32_f16_sdwa v7, v10 dst_sel:DWORD dst_unused:UNUSED_PAD src0_sel:WORD_1
	v_cvt_f32_f16_e32 v6, v10
	v_pk_fma_f32 v[12:13], v[4:5], v[12:13], 0 op_sel_hi:[0,1,0]
	v_mov_b32_e32 v4, v5
	v_pk_fma_f32 v[4:5], v[4:5], v[14:15], v[12:13] op_sel_hi:[0,1,1]
	v_lshl_add_u32 v2, v2, 6, v18
	v_pk_fma_f32 v[4:5], v[8:9], v[6:7], v[4:5] op_sel_hi:[0,1,1]
	v_cvt_f32_f16_sdwa v7, v11 dst_sel:DWORD dst_unused:UNUSED_PAD src0_sel:WORD_1
	v_cvt_f32_f16_e32 v6, v11
	v_ashrrev_i32_e32 v3, 31, v2
	v_lshlrev_b64 v[2:3], 3, v[2:3]
	v_add_co_u32_e64 v2, s[8:9], s57, v2
	v_mov_b32_e32 v1, s7
	v_mov_b32_e32 v8, v9
	v_addc_co_u32_e64 v3, s[8:9], v1, v3, s[8:9]
	v_pk_fma_f32 v[4:5], v[8:9], v[6:7], v[4:5] op_sel_hi:[0,1,1]
	v_mov_b32_e32 v1, 0
	global_store_dwordx2 v[2:3], v[4:5], off
.LBB24_58:                              ;   in Loop: Header=BB24_14 Depth=1
	s_or_b64 exec, exec, s[10:11]
	s_movk_i32 s8, 0x47
	v_cmp_gt_i32_e64 s[8:9], s8, v1
	s_mov_b64 s[10:11], -1
	s_and_saveexec_b64 s[74:75], s[8:9]
; %bb.59:                               ;   in Loop: Header=BB24_14 Depth=1
	v_cmp_eq_u32_e64 s[8:9], 0, v1
	s_orn2_b64 s[10:11], s[8:9], exec
; %bb.60:                               ;   in Loop: Header=BB24_14 Depth=1
	s_or_b64 exec, exec, s[74:75]
	s_and_b64 exec, exec, s[10:11]
	s_cbranch_execz .LBB24_128
; %bb.61:                               ;   in Loop: Header=BB24_14 Depth=1
	v_add_u32_e32 v2, s88, v101
	v_cmp_gt_i32_e64 s[8:9], s28, v2
	s_and_b64 s[8:9], s[8:9], vcc
	v_mov_b32_e32 v1, 0x47
	s_and_saveexec_b64 s[10:11], s[8:9]
	s_cbranch_execz .LBB24_63
; %bb.62:                               ;   in Loop: Header=BB24_14 Depth=1
	v_add_u32_e32 v1, 0, v102
	ds_read2st64_b32 v[4:5], v1 offset0:1 offset1:18
	ds_read2st64_b32 v[6:7], v103 offset1:17
	ds_read2st64_b32 v[8:9], v1 offset0:35 offset1:52
	ds_read2st64_b32 v[10:11], v103 offset0:34 offset1:51
	v_mad_u64_u32 v[2:3], s[8:9], v2, s29, v[62:63]
	s_waitcnt lgkmcnt(2)
	v_cvt_f32_f16_sdwa v13, v6 dst_sel:DWORD dst_unused:UNUSED_PAD src0_sel:WORD_1
	v_cvt_f32_f16_e32 v12, v6
	v_cvt_f32_f16_sdwa v15, v7 dst_sel:DWORD dst_unused:UNUSED_PAD src0_sel:WORD_1
	v_cvt_f32_f16_e32 v14, v7
	s_waitcnt lgkmcnt(0)
	v_cvt_f32_f16_sdwa v7, v10 dst_sel:DWORD dst_unused:UNUSED_PAD src0_sel:WORD_1
	v_cvt_f32_f16_e32 v6, v10
	v_pk_fma_f32 v[12:13], v[4:5], v[12:13], 0 op_sel_hi:[0,1,0]
	v_mov_b32_e32 v4, v5
	v_pk_fma_f32 v[4:5], v[4:5], v[14:15], v[12:13] op_sel_hi:[0,1,1]
	v_lshl_add_u32 v2, v2, 6, v18
	v_pk_fma_f32 v[4:5], v[8:9], v[6:7], v[4:5] op_sel_hi:[0,1,1]
	v_cvt_f32_f16_sdwa v7, v11 dst_sel:DWORD dst_unused:UNUSED_PAD src0_sel:WORD_1
	v_cvt_f32_f16_e32 v6, v11
	v_ashrrev_i32_e32 v3, 31, v2
	v_lshlrev_b64 v[2:3], 3, v[2:3]
	v_add_co_u32_e64 v2, s[8:9], s57, v2
	v_mov_b32_e32 v1, s7
	v_mov_b32_e32 v8, v9
	v_addc_co_u32_e64 v3, s[8:9], v1, v3, s[8:9]
	v_pk_fma_f32 v[4:5], v[8:9], v[6:7], v[4:5] op_sel_hi:[0,1,1]
	v_mov_b32_e32 v1, 0
	global_store_dwordx2 v[2:3], v[4:5], off
.LBB24_63:                              ;   in Loop: Header=BB24_14 Depth=1
	s_or_b64 exec, exec, s[10:11]
	s_movk_i32 s8, 0x47
	v_cmp_gt_i32_e64 s[8:9], s8, v1
	s_mov_b64 s[10:11], -1
	s_and_saveexec_b64 s[74:75], s[8:9]
; %bb.64:                               ;   in Loop: Header=BB24_14 Depth=1
	v_cmp_eq_u32_e64 s[8:9], 0, v1
	s_orn2_b64 s[10:11], s[8:9], exec
; %bb.65:                               ;   in Loop: Header=BB24_14 Depth=1
	s_or_b64 exec, exec, s[74:75]
	s_and_b64 exec, exec, s[10:11]
	s_cbranch_execz .LBB24_128
; %bb.66:                               ;   in Loop: Header=BB24_14 Depth=1
	v_add_u32_e32 v2, s88, v170
	v_or_b32_e32 v1, s64, v42
	v_cmp_gt_i32_e64 s[8:9], s28, v2
	v_cmp_gt_i32_e64 s[10:11], s33, v1
	s_and_b64 s[8:9], s[8:9], s[10:11]
	v_mov_b32_e32 v1, 0x47
	s_and_saveexec_b64 s[10:11], s[8:9]
	s_cbranch_execz .LBB24_68
; %bb.67:                               ;   in Loop: Header=BB24_14 Depth=1
	v_add_u32_e32 v1, 0, v104
	ds_read2st64_b32 v[4:5], v1 offset0:1 offset1:18
	ds_read2st64_b32 v[6:7], v105 offset1:17
	ds_read2st64_b32 v[8:9], v1 offset0:35 offset1:52
	ds_read2st64_b32 v[10:11], v105 offset0:34 offset1:51
	v_mad_u64_u32 v[2:3], s[8:9], v2, s29, v[42:43]
	s_waitcnt lgkmcnt(2)
	v_cvt_f32_f16_sdwa v13, v6 dst_sel:DWORD dst_unused:UNUSED_PAD src0_sel:WORD_1
	v_cvt_f32_f16_e32 v12, v6
	v_cvt_f32_f16_sdwa v15, v7 dst_sel:DWORD dst_unused:UNUSED_PAD src0_sel:WORD_1
	v_cvt_f32_f16_e32 v14, v7
	s_waitcnt lgkmcnt(0)
	v_cvt_f32_f16_sdwa v7, v10 dst_sel:DWORD dst_unused:UNUSED_PAD src0_sel:WORD_1
	v_cvt_f32_f16_e32 v6, v10
	v_pk_fma_f32 v[12:13], v[4:5], v[12:13], 0 op_sel_hi:[0,1,0]
	v_mov_b32_e32 v4, v5
	v_pk_fma_f32 v[4:5], v[4:5], v[14:15], v[12:13] op_sel_hi:[0,1,1]
	v_lshl_add_u32 v2, v2, 6, v18
	v_pk_fma_f32 v[4:5], v[8:9], v[6:7], v[4:5] op_sel_hi:[0,1,1]
	v_cvt_f32_f16_sdwa v7, v11 dst_sel:DWORD dst_unused:UNUSED_PAD src0_sel:WORD_1
	v_cvt_f32_f16_e32 v6, v11
	v_ashrrev_i32_e32 v3, 31, v2
	v_lshlrev_b64 v[2:3], 3, v[2:3]
	v_add_co_u32_e64 v2, s[8:9], s57, v2
	v_mov_b32_e32 v1, s7
	v_mov_b32_e32 v8, v9
	v_addc_co_u32_e64 v3, s[8:9], v1, v3, s[8:9]
	v_pk_fma_f32 v[4:5], v[8:9], v[6:7], v[4:5] op_sel_hi:[0,1,1]
	v_mov_b32_e32 v1, 0
	global_store_dwordx2 v[2:3], v[4:5], off
.LBB24_68:                              ;   in Loop: Header=BB24_14 Depth=1
	s_or_b64 exec, exec, s[10:11]
	s_movk_i32 s8, 0x47
	v_cmp_gt_i32_e64 s[8:9], s8, v1
	s_mov_b64 s[10:11], -1
	s_and_saveexec_b64 s[74:75], s[8:9]
; %bb.69:                               ;   in Loop: Header=BB24_14 Depth=1
	v_cmp_eq_u32_e64 s[8:9], 0, v1
	s_orn2_b64 s[10:11], s[8:9], exec
; %bb.70:                               ;   in Loop: Header=BB24_14 Depth=1
	s_or_b64 exec, exec, s[74:75]
	s_and_b64 exec, exec, s[10:11]
	s_cbranch_execz .LBB24_128
; %bb.71:                               ;   in Loop: Header=BB24_14 Depth=1
	v_add_u32_e32 v2, s88, v106
	v_cmp_gt_i32_e64 s[8:9], s28, v2
	s_and_b64 s[8:9], s[8:9], vcc
	v_mov_b32_e32 v1, 0x47
	s_and_saveexec_b64 s[10:11], s[8:9]
	s_cbranch_execz .LBB24_73
; %bb.72:                               ;   in Loop: Header=BB24_14 Depth=1
	v_add_u32_e32 v1, 0, v107
	ds_read2st64_b32 v[4:5], v1 offset0:1 offset1:18
	ds_read2st64_b32 v[6:7], v108 offset1:17
	ds_read2st64_b32 v[8:9], v1 offset0:35 offset1:52
	ds_read2st64_b32 v[10:11], v108 offset0:34 offset1:51
	v_mad_u64_u32 v[2:3], s[8:9], v2, s29, v[62:63]
	s_waitcnt lgkmcnt(2)
	v_cvt_f32_f16_sdwa v13, v6 dst_sel:DWORD dst_unused:UNUSED_PAD src0_sel:WORD_1
	v_cvt_f32_f16_e32 v12, v6
	v_cvt_f32_f16_sdwa v15, v7 dst_sel:DWORD dst_unused:UNUSED_PAD src0_sel:WORD_1
	v_cvt_f32_f16_e32 v14, v7
	s_waitcnt lgkmcnt(0)
	v_cvt_f32_f16_sdwa v7, v10 dst_sel:DWORD dst_unused:UNUSED_PAD src0_sel:WORD_1
	v_cvt_f32_f16_e32 v6, v10
	v_pk_fma_f32 v[12:13], v[4:5], v[12:13], 0 op_sel_hi:[0,1,0]
	v_mov_b32_e32 v4, v5
	v_pk_fma_f32 v[4:5], v[4:5], v[14:15], v[12:13] op_sel_hi:[0,1,1]
	v_lshl_add_u32 v2, v2, 6, v18
	v_pk_fma_f32 v[4:5], v[8:9], v[6:7], v[4:5] op_sel_hi:[0,1,1]
	v_cvt_f32_f16_sdwa v7, v11 dst_sel:DWORD dst_unused:UNUSED_PAD src0_sel:WORD_1
	v_cvt_f32_f16_e32 v6, v11
	v_ashrrev_i32_e32 v3, 31, v2
	v_lshlrev_b64 v[2:3], 3, v[2:3]
	v_add_co_u32_e64 v2, s[8:9], s57, v2
	v_mov_b32_e32 v1, s7
	v_mov_b32_e32 v8, v9
	v_addc_co_u32_e64 v3, s[8:9], v1, v3, s[8:9]
	v_pk_fma_f32 v[4:5], v[8:9], v[6:7], v[4:5] op_sel_hi:[0,1,1]
	v_mov_b32_e32 v1, 0
	global_store_dwordx2 v[2:3], v[4:5], off
.LBB24_73:                              ;   in Loop: Header=BB24_14 Depth=1
	s_or_b64 exec, exec, s[10:11]
	s_movk_i32 s8, 0x47
	v_cmp_gt_i32_e64 s[8:9], s8, v1
	s_mov_b64 s[10:11], -1
	s_and_saveexec_b64 s[74:75], s[8:9]
; %bb.74:                               ;   in Loop: Header=BB24_14 Depth=1
	v_cmp_eq_u32_e64 s[8:9], 0, v1
	s_orn2_b64 s[10:11], s[8:9], exec
; %bb.75:                               ;   in Loop: Header=BB24_14 Depth=1
	s_or_b64 exec, exec, s[74:75]
	s_and_b64 exec, exec, s[10:11]
	s_cbranch_execz .LBB24_128
; %bb.76:                               ;   in Loop: Header=BB24_14 Depth=1
	v_add_u32_e32 v2, s88, v171
	v_or_b32_e32 v1, s64, v44
	v_cmp_gt_i32_e64 s[8:9], s28, v2
	v_cmp_gt_i32_e64 s[10:11], s33, v1
	s_and_b64 s[8:9], s[8:9], s[10:11]
	v_mov_b32_e32 v1, 0x47
	s_and_saveexec_b64 s[10:11], s[8:9]
	s_cbranch_execz .LBB24_78
; %bb.77:                               ;   in Loop: Header=BB24_14 Depth=1
	v_add_u32_e32 v1, 0, v109
	ds_read2st64_b32 v[4:5], v1 offset0:1 offset1:18
	ds_read2st64_b32 v[6:7], v110 offset1:17
	ds_read2st64_b32 v[8:9], v1 offset0:35 offset1:52
	ds_read2st64_b32 v[10:11], v110 offset0:34 offset1:51
	v_mad_u64_u32 v[2:3], s[8:9], v2, s29, v[44:45]
	s_waitcnt lgkmcnt(2)
	v_cvt_f32_f16_sdwa v13, v6 dst_sel:DWORD dst_unused:UNUSED_PAD src0_sel:WORD_1
	v_cvt_f32_f16_e32 v12, v6
	v_cvt_f32_f16_sdwa v15, v7 dst_sel:DWORD dst_unused:UNUSED_PAD src0_sel:WORD_1
	v_cvt_f32_f16_e32 v14, v7
	s_waitcnt lgkmcnt(0)
	v_cvt_f32_f16_sdwa v7, v10 dst_sel:DWORD dst_unused:UNUSED_PAD src0_sel:WORD_1
	v_cvt_f32_f16_e32 v6, v10
	v_pk_fma_f32 v[12:13], v[4:5], v[12:13], 0 op_sel_hi:[0,1,0]
	v_mov_b32_e32 v4, v5
	v_pk_fma_f32 v[4:5], v[4:5], v[14:15], v[12:13] op_sel_hi:[0,1,1]
	v_lshl_add_u32 v2, v2, 6, v18
	v_pk_fma_f32 v[4:5], v[8:9], v[6:7], v[4:5] op_sel_hi:[0,1,1]
	v_cvt_f32_f16_sdwa v7, v11 dst_sel:DWORD dst_unused:UNUSED_PAD src0_sel:WORD_1
	v_cvt_f32_f16_e32 v6, v11
	v_ashrrev_i32_e32 v3, 31, v2
	v_lshlrev_b64 v[2:3], 3, v[2:3]
	v_add_co_u32_e64 v2, s[8:9], s57, v2
	v_mov_b32_e32 v1, s7
	v_mov_b32_e32 v8, v9
	v_addc_co_u32_e64 v3, s[8:9], v1, v3, s[8:9]
	v_pk_fma_f32 v[4:5], v[8:9], v[6:7], v[4:5] op_sel_hi:[0,1,1]
	v_mov_b32_e32 v1, 0
	global_store_dwordx2 v[2:3], v[4:5], off
.LBB24_78:                              ;   in Loop: Header=BB24_14 Depth=1
	s_or_b64 exec, exec, s[10:11]
	s_movk_i32 s8, 0x47
	v_cmp_gt_i32_e64 s[8:9], s8, v1
	s_mov_b64 s[10:11], -1
	s_and_saveexec_b64 s[74:75], s[8:9]
; %bb.79:                               ;   in Loop: Header=BB24_14 Depth=1
	v_cmp_eq_u32_e64 s[8:9], 0, v1
	s_orn2_b64 s[10:11], s[8:9], exec
; %bb.80:                               ;   in Loop: Header=BB24_14 Depth=1
	s_or_b64 exec, exec, s[74:75]
	s_and_b64 exec, exec, s[10:11]
	s_cbranch_execz .LBB24_128
; %bb.81:                               ;   in Loop: Header=BB24_14 Depth=1
	v_add_u32_e32 v2, s88, v111
	v_cmp_gt_i32_e64 s[8:9], s28, v2
	s_and_b64 s[8:9], s[8:9], vcc
	v_mov_b32_e32 v1, 0x47
	s_and_saveexec_b64 s[10:11], s[8:9]
	s_cbranch_execz .LBB24_83
; %bb.82:                               ;   in Loop: Header=BB24_14 Depth=1
	v_add_u32_e32 v1, 0, v112
	ds_read2st64_b32 v[4:5], v1 offset0:1 offset1:18
	ds_read2st64_b32 v[6:7], v113 offset1:17
	ds_read2st64_b32 v[8:9], v1 offset0:35 offset1:52
	ds_read2st64_b32 v[10:11], v113 offset0:34 offset1:51
	v_mad_u64_u32 v[2:3], s[8:9], v2, s29, v[62:63]
	s_waitcnt lgkmcnt(2)
	v_cvt_f32_f16_sdwa v13, v6 dst_sel:DWORD dst_unused:UNUSED_PAD src0_sel:WORD_1
	v_cvt_f32_f16_e32 v12, v6
	v_cvt_f32_f16_sdwa v15, v7 dst_sel:DWORD dst_unused:UNUSED_PAD src0_sel:WORD_1
	v_cvt_f32_f16_e32 v14, v7
	s_waitcnt lgkmcnt(0)
	v_cvt_f32_f16_sdwa v7, v10 dst_sel:DWORD dst_unused:UNUSED_PAD src0_sel:WORD_1
	v_cvt_f32_f16_e32 v6, v10
	v_pk_fma_f32 v[12:13], v[4:5], v[12:13], 0 op_sel_hi:[0,1,0]
	v_mov_b32_e32 v4, v5
	v_pk_fma_f32 v[4:5], v[4:5], v[14:15], v[12:13] op_sel_hi:[0,1,1]
	v_lshl_add_u32 v2, v2, 6, v18
	v_pk_fma_f32 v[4:5], v[8:9], v[6:7], v[4:5] op_sel_hi:[0,1,1]
	v_cvt_f32_f16_sdwa v7, v11 dst_sel:DWORD dst_unused:UNUSED_PAD src0_sel:WORD_1
	v_cvt_f32_f16_e32 v6, v11
	v_ashrrev_i32_e32 v3, 31, v2
	v_lshlrev_b64 v[2:3], 3, v[2:3]
	v_add_co_u32_e64 v2, s[8:9], s57, v2
	v_mov_b32_e32 v1, s7
	v_mov_b32_e32 v8, v9
	v_addc_co_u32_e64 v3, s[8:9], v1, v3, s[8:9]
	v_pk_fma_f32 v[4:5], v[8:9], v[6:7], v[4:5] op_sel_hi:[0,1,1]
	v_mov_b32_e32 v1, 0
	global_store_dwordx2 v[2:3], v[4:5], off
.LBB24_83:                              ;   in Loop: Header=BB24_14 Depth=1
	s_or_b64 exec, exec, s[10:11]
	s_movk_i32 s8, 0x47
	v_cmp_gt_i32_e64 s[8:9], s8, v1
	s_mov_b64 s[10:11], -1
	s_and_saveexec_b64 s[74:75], s[8:9]
; %bb.84:                               ;   in Loop: Header=BB24_14 Depth=1
	v_cmp_eq_u32_e64 s[8:9], 0, v1
	s_orn2_b64 s[10:11], s[8:9], exec
; %bb.85:                               ;   in Loop: Header=BB24_14 Depth=1
	s_or_b64 exec, exec, s[74:75]
	s_and_b64 exec, exec, s[10:11]
	s_cbranch_execz .LBB24_128
; %bb.86:                               ;   in Loop: Header=BB24_14 Depth=1
	v_add_u32_e32 v2, s88, v172
	v_or_b32_e32 v1, s64, v46
	v_cmp_gt_i32_e64 s[8:9], s28, v2
	v_cmp_gt_i32_e64 s[10:11], s33, v1
	s_and_b64 s[8:9], s[8:9], s[10:11]
	v_mov_b32_e32 v1, 0x47
	s_and_saveexec_b64 s[10:11], s[8:9]
	s_cbranch_execz .LBB24_88
; %bb.87:                               ;   in Loop: Header=BB24_14 Depth=1
	v_add_u32_e32 v1, 0, v114
	ds_read2st64_b32 v[4:5], v1 offset0:1 offset1:18
	ds_read2st64_b32 v[6:7], v115 offset1:17
	ds_read2st64_b32 v[8:9], v1 offset0:35 offset1:52
	ds_read2st64_b32 v[10:11], v115 offset0:34 offset1:51
	v_mad_u64_u32 v[2:3], s[8:9], v2, s29, v[46:47]
	s_waitcnt lgkmcnt(2)
	v_cvt_f32_f16_sdwa v13, v6 dst_sel:DWORD dst_unused:UNUSED_PAD src0_sel:WORD_1
	v_cvt_f32_f16_e32 v12, v6
	v_cvt_f32_f16_sdwa v15, v7 dst_sel:DWORD dst_unused:UNUSED_PAD src0_sel:WORD_1
	v_cvt_f32_f16_e32 v14, v7
	s_waitcnt lgkmcnt(0)
	v_cvt_f32_f16_sdwa v7, v10 dst_sel:DWORD dst_unused:UNUSED_PAD src0_sel:WORD_1
	v_cvt_f32_f16_e32 v6, v10
	v_pk_fma_f32 v[12:13], v[4:5], v[12:13], 0 op_sel_hi:[0,1,0]
	v_mov_b32_e32 v4, v5
	v_pk_fma_f32 v[4:5], v[4:5], v[14:15], v[12:13] op_sel_hi:[0,1,1]
	v_lshl_add_u32 v2, v2, 6, v18
	v_pk_fma_f32 v[4:5], v[8:9], v[6:7], v[4:5] op_sel_hi:[0,1,1]
	v_cvt_f32_f16_sdwa v7, v11 dst_sel:DWORD dst_unused:UNUSED_PAD src0_sel:WORD_1
	v_cvt_f32_f16_e32 v6, v11
	v_ashrrev_i32_e32 v3, 31, v2
	v_lshlrev_b64 v[2:3], 3, v[2:3]
	v_add_co_u32_e64 v2, s[8:9], s57, v2
	v_mov_b32_e32 v1, s7
	v_mov_b32_e32 v8, v9
	v_addc_co_u32_e64 v3, s[8:9], v1, v3, s[8:9]
	v_pk_fma_f32 v[4:5], v[8:9], v[6:7], v[4:5] op_sel_hi:[0,1,1]
	v_mov_b32_e32 v1, 0
	global_store_dwordx2 v[2:3], v[4:5], off
.LBB24_88:                              ;   in Loop: Header=BB24_14 Depth=1
	s_or_b64 exec, exec, s[10:11]
	s_movk_i32 s8, 0x47
	v_cmp_gt_i32_e64 s[8:9], s8, v1
	s_mov_b64 s[10:11], -1
	s_and_saveexec_b64 s[74:75], s[8:9]
; %bb.89:                               ;   in Loop: Header=BB24_14 Depth=1
	v_cmp_eq_u32_e64 s[8:9], 0, v1
	s_orn2_b64 s[10:11], s[8:9], exec
; %bb.90:                               ;   in Loop: Header=BB24_14 Depth=1
	s_or_b64 exec, exec, s[74:75]
	s_and_b64 exec, exec, s[10:11]
	s_cbranch_execz .LBB24_128
; %bb.91:                               ;   in Loop: Header=BB24_14 Depth=1
	v_add_u32_e32 v2, s88, v116
	v_cmp_gt_i32_e64 s[8:9], s28, v2
	s_and_b64 s[8:9], s[8:9], vcc
	v_mov_b32_e32 v1, 0x47
	s_and_saveexec_b64 s[10:11], s[8:9]
	s_cbranch_execz .LBB24_93
; %bb.92:                               ;   in Loop: Header=BB24_14 Depth=1
	v_add_u32_e32 v1, 0, v117
	ds_read2st64_b32 v[4:5], v1 offset0:1 offset1:18
	ds_read2st64_b32 v[6:7], v118 offset1:17
	ds_read2st64_b32 v[8:9], v1 offset0:35 offset1:52
	ds_read2st64_b32 v[10:11], v118 offset0:34 offset1:51
	v_mad_u64_u32 v[2:3], s[8:9], v2, s29, v[62:63]
	s_waitcnt lgkmcnt(2)
	v_cvt_f32_f16_sdwa v13, v6 dst_sel:DWORD dst_unused:UNUSED_PAD src0_sel:WORD_1
	v_cvt_f32_f16_e32 v12, v6
	v_cvt_f32_f16_sdwa v15, v7 dst_sel:DWORD dst_unused:UNUSED_PAD src0_sel:WORD_1
	v_cvt_f32_f16_e32 v14, v7
	s_waitcnt lgkmcnt(0)
	v_cvt_f32_f16_sdwa v7, v10 dst_sel:DWORD dst_unused:UNUSED_PAD src0_sel:WORD_1
	v_cvt_f32_f16_e32 v6, v10
	v_pk_fma_f32 v[12:13], v[4:5], v[12:13], 0 op_sel_hi:[0,1,0]
	v_mov_b32_e32 v4, v5
	v_pk_fma_f32 v[4:5], v[4:5], v[14:15], v[12:13] op_sel_hi:[0,1,1]
	v_lshl_add_u32 v2, v2, 6, v18
	v_pk_fma_f32 v[4:5], v[8:9], v[6:7], v[4:5] op_sel_hi:[0,1,1]
	v_cvt_f32_f16_sdwa v7, v11 dst_sel:DWORD dst_unused:UNUSED_PAD src0_sel:WORD_1
	v_cvt_f32_f16_e32 v6, v11
	v_ashrrev_i32_e32 v3, 31, v2
	v_lshlrev_b64 v[2:3], 3, v[2:3]
	v_add_co_u32_e64 v2, s[8:9], s57, v2
	v_mov_b32_e32 v1, s7
	v_mov_b32_e32 v8, v9
	v_addc_co_u32_e64 v3, s[8:9], v1, v3, s[8:9]
	v_pk_fma_f32 v[4:5], v[8:9], v[6:7], v[4:5] op_sel_hi:[0,1,1]
	v_mov_b32_e32 v1, 0
	global_store_dwordx2 v[2:3], v[4:5], off
.LBB24_93:                              ;   in Loop: Header=BB24_14 Depth=1
	s_or_b64 exec, exec, s[10:11]
	s_movk_i32 s8, 0x47
	v_cmp_gt_i32_e64 s[8:9], s8, v1
	s_mov_b64 s[10:11], -1
	s_and_saveexec_b64 s[74:75], s[8:9]
; %bb.94:                               ;   in Loop: Header=BB24_14 Depth=1
	v_cmp_eq_u32_e64 s[8:9], 0, v1
	s_orn2_b64 s[10:11], s[8:9], exec
; %bb.95:                               ;   in Loop: Header=BB24_14 Depth=1
	s_or_b64 exec, exec, s[74:75]
	s_and_b64 exec, exec, s[10:11]
	s_cbranch_execz .LBB24_128
; %bb.96:                               ;   in Loop: Header=BB24_14 Depth=1
	v_add_u32_e32 v2, s88, v173
	v_or_b32_e32 v1, s64, v48
	v_cmp_gt_i32_e64 s[8:9], s28, v2
	v_cmp_gt_i32_e64 s[10:11], s33, v1
	s_and_b64 s[8:9], s[8:9], s[10:11]
	v_mov_b32_e32 v1, 0x47
	s_and_saveexec_b64 s[10:11], s[8:9]
	s_cbranch_execz .LBB24_98
; %bb.97:                               ;   in Loop: Header=BB24_14 Depth=1
	v_add_u32_e32 v1, 0, v119
	ds_read2st64_b32 v[4:5], v1 offset0:1 offset1:18
	ds_read2st64_b32 v[6:7], v120 offset1:17
	ds_read2st64_b32 v[8:9], v1 offset0:35 offset1:52
	ds_read2st64_b32 v[10:11], v120 offset0:34 offset1:51
	v_mad_u64_u32 v[2:3], s[8:9], v2, s29, v[48:49]
	s_waitcnt lgkmcnt(2)
	v_cvt_f32_f16_sdwa v13, v6 dst_sel:DWORD dst_unused:UNUSED_PAD src0_sel:WORD_1
	v_cvt_f32_f16_e32 v12, v6
	v_cvt_f32_f16_sdwa v15, v7 dst_sel:DWORD dst_unused:UNUSED_PAD src0_sel:WORD_1
	v_cvt_f32_f16_e32 v14, v7
	s_waitcnt lgkmcnt(0)
	v_cvt_f32_f16_sdwa v7, v10 dst_sel:DWORD dst_unused:UNUSED_PAD src0_sel:WORD_1
	v_cvt_f32_f16_e32 v6, v10
	v_pk_fma_f32 v[12:13], v[4:5], v[12:13], 0 op_sel_hi:[0,1,0]
	v_mov_b32_e32 v4, v5
	v_pk_fma_f32 v[4:5], v[4:5], v[14:15], v[12:13] op_sel_hi:[0,1,1]
	v_lshl_add_u32 v2, v2, 6, v18
	v_pk_fma_f32 v[4:5], v[8:9], v[6:7], v[4:5] op_sel_hi:[0,1,1]
	v_cvt_f32_f16_sdwa v7, v11 dst_sel:DWORD dst_unused:UNUSED_PAD src0_sel:WORD_1
	v_cvt_f32_f16_e32 v6, v11
	v_ashrrev_i32_e32 v3, 31, v2
	v_lshlrev_b64 v[2:3], 3, v[2:3]
	v_add_co_u32_e64 v2, s[8:9], s57, v2
	v_mov_b32_e32 v1, s7
	v_mov_b32_e32 v8, v9
	v_addc_co_u32_e64 v3, s[8:9], v1, v3, s[8:9]
	v_pk_fma_f32 v[4:5], v[8:9], v[6:7], v[4:5] op_sel_hi:[0,1,1]
	v_mov_b32_e32 v1, 0
	global_store_dwordx2 v[2:3], v[4:5], off
.LBB24_98:                              ;   in Loop: Header=BB24_14 Depth=1
	s_or_b64 exec, exec, s[10:11]
	s_movk_i32 s8, 0x47
	v_cmp_gt_i32_e64 s[8:9], s8, v1
	s_mov_b64 s[10:11], -1
	s_and_saveexec_b64 s[74:75], s[8:9]
; %bb.99:                               ;   in Loop: Header=BB24_14 Depth=1
	v_cmp_eq_u32_e64 s[8:9], 0, v1
	s_orn2_b64 s[10:11], s[8:9], exec
; %bb.100:                              ;   in Loop: Header=BB24_14 Depth=1
	s_or_b64 exec, exec, s[74:75]
	s_and_b64 exec, exec, s[10:11]
	s_cbranch_execz .LBB24_128
; %bb.101:                              ;   in Loop: Header=BB24_14 Depth=1
	v_add_u32_e32 v2, s88, v121
	v_cmp_gt_i32_e64 s[8:9], s28, v2
	s_and_b64 s[8:9], s[8:9], vcc
	v_mov_b32_e32 v1, 0x47
	s_and_saveexec_b64 s[10:11], s[8:9]
	s_cbranch_execz .LBB24_103
; %bb.102:                              ;   in Loop: Header=BB24_14 Depth=1
	v_add_u32_e32 v1, 0, v122
	ds_read2st64_b32 v[4:5], v1 offset0:1 offset1:18
	ds_read2st64_b32 v[6:7], v123 offset1:17
	ds_read2st64_b32 v[8:9], v1 offset0:35 offset1:52
	ds_read2st64_b32 v[10:11], v123 offset0:34 offset1:51
	v_mad_u64_u32 v[2:3], s[8:9], v2, s29, v[62:63]
	s_waitcnt lgkmcnt(2)
	v_cvt_f32_f16_sdwa v13, v6 dst_sel:DWORD dst_unused:UNUSED_PAD src0_sel:WORD_1
	v_cvt_f32_f16_e32 v12, v6
	v_cvt_f32_f16_sdwa v15, v7 dst_sel:DWORD dst_unused:UNUSED_PAD src0_sel:WORD_1
	v_cvt_f32_f16_e32 v14, v7
	s_waitcnt lgkmcnt(0)
	v_cvt_f32_f16_sdwa v7, v10 dst_sel:DWORD dst_unused:UNUSED_PAD src0_sel:WORD_1
	v_cvt_f32_f16_e32 v6, v10
	v_pk_fma_f32 v[12:13], v[4:5], v[12:13], 0 op_sel_hi:[0,1,0]
	v_mov_b32_e32 v4, v5
	v_pk_fma_f32 v[4:5], v[4:5], v[14:15], v[12:13] op_sel_hi:[0,1,1]
	v_lshl_add_u32 v2, v2, 6, v18
	v_pk_fma_f32 v[4:5], v[8:9], v[6:7], v[4:5] op_sel_hi:[0,1,1]
	v_cvt_f32_f16_sdwa v7, v11 dst_sel:DWORD dst_unused:UNUSED_PAD src0_sel:WORD_1
	v_cvt_f32_f16_e32 v6, v11
	v_ashrrev_i32_e32 v3, 31, v2
	v_lshlrev_b64 v[2:3], 3, v[2:3]
	v_add_co_u32_e64 v2, s[8:9], s57, v2
	v_mov_b32_e32 v1, s7
	v_mov_b32_e32 v8, v9
	v_addc_co_u32_e64 v3, s[8:9], v1, v3, s[8:9]
	v_pk_fma_f32 v[4:5], v[8:9], v[6:7], v[4:5] op_sel_hi:[0,1,1]
	v_mov_b32_e32 v1, 0
	global_store_dwordx2 v[2:3], v[4:5], off
.LBB24_103:                             ;   in Loop: Header=BB24_14 Depth=1
	s_or_b64 exec, exec, s[10:11]
	s_movk_i32 s8, 0x47
	v_cmp_gt_i32_e64 s[8:9], s8, v1
	s_mov_b64 s[10:11], -1
	s_and_saveexec_b64 s[74:75], s[8:9]
; %bb.104:                              ;   in Loop: Header=BB24_14 Depth=1
	v_cmp_eq_u32_e64 s[8:9], 0, v1
	s_orn2_b64 s[10:11], s[8:9], exec
; %bb.105:                              ;   in Loop: Header=BB24_14 Depth=1
	s_or_b64 exec, exec, s[74:75]
	s_and_b64 exec, exec, s[10:11]
	s_cbranch_execz .LBB24_128
; %bb.106:                              ;   in Loop: Header=BB24_14 Depth=1
	v_add_u32_e32 v2, s88, v174
	v_or_b32_e32 v1, s64, v50
	v_cmp_gt_i32_e64 s[8:9], s28, v2
	v_cmp_gt_i32_e64 s[10:11], s33, v1
	s_and_b64 s[8:9], s[8:9], s[10:11]
	v_mov_b32_e32 v1, 0x47
	s_and_saveexec_b64 s[10:11], s[8:9]
	s_cbranch_execz .LBB24_108
; %bb.107:                              ;   in Loop: Header=BB24_14 Depth=1
	v_add_u32_e32 v1, 0, v124
	ds_read2st64_b32 v[4:5], v1 offset0:1 offset1:18
	ds_read2st64_b32 v[6:7], v125 offset1:17
	ds_read2st64_b32 v[8:9], v1 offset0:35 offset1:52
	ds_read2st64_b32 v[10:11], v125 offset0:34 offset1:51
	v_mad_u64_u32 v[2:3], s[8:9], v2, s29, v[50:51]
	s_waitcnt lgkmcnt(2)
	v_cvt_f32_f16_sdwa v13, v6 dst_sel:DWORD dst_unused:UNUSED_PAD src0_sel:WORD_1
	v_cvt_f32_f16_e32 v12, v6
	v_cvt_f32_f16_sdwa v15, v7 dst_sel:DWORD dst_unused:UNUSED_PAD src0_sel:WORD_1
	v_cvt_f32_f16_e32 v14, v7
	s_waitcnt lgkmcnt(0)
	v_cvt_f32_f16_sdwa v7, v10 dst_sel:DWORD dst_unused:UNUSED_PAD src0_sel:WORD_1
	v_cvt_f32_f16_e32 v6, v10
	v_pk_fma_f32 v[12:13], v[4:5], v[12:13], 0 op_sel_hi:[0,1,0]
	v_mov_b32_e32 v4, v5
	v_pk_fma_f32 v[4:5], v[4:5], v[14:15], v[12:13] op_sel_hi:[0,1,1]
	v_lshl_add_u32 v2, v2, 6, v18
	v_pk_fma_f32 v[4:5], v[8:9], v[6:7], v[4:5] op_sel_hi:[0,1,1]
	v_cvt_f32_f16_sdwa v7, v11 dst_sel:DWORD dst_unused:UNUSED_PAD src0_sel:WORD_1
	v_cvt_f32_f16_e32 v6, v11
	v_ashrrev_i32_e32 v3, 31, v2
	v_lshlrev_b64 v[2:3], 3, v[2:3]
	v_add_co_u32_e64 v2, s[8:9], s57, v2
	v_mov_b32_e32 v1, s7
	v_mov_b32_e32 v8, v9
	v_addc_co_u32_e64 v3, s[8:9], v1, v3, s[8:9]
	v_pk_fma_f32 v[4:5], v[8:9], v[6:7], v[4:5] op_sel_hi:[0,1,1]
	v_mov_b32_e32 v1, 0
	global_store_dwordx2 v[2:3], v[4:5], off
.LBB24_108:                             ;   in Loop: Header=BB24_14 Depth=1
	s_or_b64 exec, exec, s[10:11]
	s_movk_i32 s8, 0x47
	v_cmp_gt_i32_e64 s[8:9], s8, v1
	s_mov_b64 s[10:11], -1
	s_and_saveexec_b64 s[74:75], s[8:9]
; %bb.109:                              ;   in Loop: Header=BB24_14 Depth=1
	v_cmp_eq_u32_e64 s[8:9], 0, v1
	s_orn2_b64 s[10:11], s[8:9], exec
; %bb.110:                              ;   in Loop: Header=BB24_14 Depth=1
	s_or_b64 exec, exec, s[74:75]
	s_and_b64 exec, exec, s[10:11]
	s_cbranch_execz .LBB24_128
; %bb.111:                              ;   in Loop: Header=BB24_14 Depth=1
	v_add_u32_e32 v2, s88, v126
	v_cmp_gt_i32_e64 s[8:9], s28, v2
	s_and_b64 s[8:9], s[8:9], vcc
	v_mov_b32_e32 v1, 0x47
	s_and_saveexec_b64 s[10:11], s[8:9]
	s_cbranch_execz .LBB24_113
; %bb.112:                              ;   in Loop: Header=BB24_14 Depth=1
	v_add_u32_e32 v1, 0, v127
	ds_read2st64_b32 v[4:5], v1 offset0:1 offset1:18
	ds_read2st64_b32 v[6:7], v128 offset1:17
	ds_read2st64_b32 v[8:9], v1 offset0:35 offset1:52
	ds_read2st64_b32 v[10:11], v128 offset0:34 offset1:51
	v_mad_u64_u32 v[2:3], s[8:9], v2, s29, v[62:63]
	s_waitcnt lgkmcnt(2)
	v_cvt_f32_f16_sdwa v13, v6 dst_sel:DWORD dst_unused:UNUSED_PAD src0_sel:WORD_1
	v_cvt_f32_f16_e32 v12, v6
	v_cvt_f32_f16_sdwa v15, v7 dst_sel:DWORD dst_unused:UNUSED_PAD src0_sel:WORD_1
	v_cvt_f32_f16_e32 v14, v7
	s_waitcnt lgkmcnt(0)
	v_cvt_f32_f16_sdwa v7, v10 dst_sel:DWORD dst_unused:UNUSED_PAD src0_sel:WORD_1
	v_cvt_f32_f16_e32 v6, v10
	v_pk_fma_f32 v[12:13], v[4:5], v[12:13], 0 op_sel_hi:[0,1,0]
	v_mov_b32_e32 v4, v5
	v_pk_fma_f32 v[4:5], v[4:5], v[14:15], v[12:13] op_sel_hi:[0,1,1]
	v_lshl_add_u32 v2, v2, 6, v18
	v_pk_fma_f32 v[4:5], v[8:9], v[6:7], v[4:5] op_sel_hi:[0,1,1]
	v_cvt_f32_f16_sdwa v7, v11 dst_sel:DWORD dst_unused:UNUSED_PAD src0_sel:WORD_1
	v_cvt_f32_f16_e32 v6, v11
	v_ashrrev_i32_e32 v3, 31, v2
	v_lshlrev_b64 v[2:3], 3, v[2:3]
	v_add_co_u32_e64 v2, s[8:9], s57, v2
	v_mov_b32_e32 v1, s7
	v_mov_b32_e32 v8, v9
	v_addc_co_u32_e64 v3, s[8:9], v1, v3, s[8:9]
	v_pk_fma_f32 v[4:5], v[8:9], v[6:7], v[4:5] op_sel_hi:[0,1,1]
	v_mov_b32_e32 v1, 0
	global_store_dwordx2 v[2:3], v[4:5], off
.LBB24_113:                             ;   in Loop: Header=BB24_14 Depth=1
	s_or_b64 exec, exec, s[10:11]
	s_movk_i32 s8, 0x47
	v_cmp_gt_i32_e64 s[8:9], s8, v1
	s_mov_b64 s[10:11], -1
	s_and_saveexec_b64 s[74:75], s[8:9]
; %bb.114:                              ;   in Loop: Header=BB24_14 Depth=1
	v_cmp_eq_u32_e64 s[8:9], 0, v1
	s_orn2_b64 s[10:11], s[8:9], exec
; %bb.115:                              ;   in Loop: Header=BB24_14 Depth=1
	s_or_b64 exec, exec, s[74:75]
	s_and_b64 exec, exec, s[10:11]
	s_cbranch_execz .LBB24_128
; %bb.116:                              ;   in Loop: Header=BB24_14 Depth=1
	v_add_u32_e32 v2, s88, v175
	v_or_b32_e32 v1, s64, v52
	v_cmp_gt_i32_e64 s[8:9], s28, v2
	v_cmp_gt_i32_e64 s[10:11], s33, v1
	s_and_b64 s[8:9], s[8:9], s[10:11]
	v_mov_b32_e32 v1, 0x47
	s_and_saveexec_b64 s[10:11], s[8:9]
	s_cbranch_execz .LBB24_118
; %bb.117:                              ;   in Loop: Header=BB24_14 Depth=1
	v_add_u32_e32 v1, 0, v129
	ds_read2st64_b32 v[4:5], v1 offset0:1 offset1:18
	ds_read2st64_b32 v[6:7], v130 offset1:17
	ds_read2st64_b32 v[8:9], v1 offset0:35 offset1:52
	ds_read2st64_b32 v[10:11], v130 offset0:34 offset1:51
	v_mad_u64_u32 v[2:3], s[8:9], v2, s29, v[52:53]
	s_waitcnt lgkmcnt(2)
	v_cvt_f32_f16_sdwa v13, v6 dst_sel:DWORD dst_unused:UNUSED_PAD src0_sel:WORD_1
	v_cvt_f32_f16_e32 v12, v6
	v_cvt_f32_f16_sdwa v15, v7 dst_sel:DWORD dst_unused:UNUSED_PAD src0_sel:WORD_1
	v_cvt_f32_f16_e32 v14, v7
	s_waitcnt lgkmcnt(0)
	v_cvt_f32_f16_sdwa v7, v10 dst_sel:DWORD dst_unused:UNUSED_PAD src0_sel:WORD_1
	v_cvt_f32_f16_e32 v6, v10
	v_pk_fma_f32 v[12:13], v[4:5], v[12:13], 0 op_sel_hi:[0,1,0]
	v_mov_b32_e32 v4, v5
	v_pk_fma_f32 v[4:5], v[4:5], v[14:15], v[12:13] op_sel_hi:[0,1,1]
	v_lshl_add_u32 v2, v2, 6, v18
	v_pk_fma_f32 v[4:5], v[8:9], v[6:7], v[4:5] op_sel_hi:[0,1,1]
	v_cvt_f32_f16_sdwa v7, v11 dst_sel:DWORD dst_unused:UNUSED_PAD src0_sel:WORD_1
	v_cvt_f32_f16_e32 v6, v11
	v_ashrrev_i32_e32 v3, 31, v2
	v_lshlrev_b64 v[2:3], 3, v[2:3]
	v_add_co_u32_e64 v2, s[8:9], s57, v2
	v_mov_b32_e32 v1, s7
	v_mov_b32_e32 v8, v9
	v_addc_co_u32_e64 v3, s[8:9], v1, v3, s[8:9]
	v_pk_fma_f32 v[4:5], v[8:9], v[6:7], v[4:5] op_sel_hi:[0,1,1]
	v_mov_b32_e32 v1, 0
	global_store_dwordx2 v[2:3], v[4:5], off
.LBB24_118:                             ;   in Loop: Header=BB24_14 Depth=1
	s_or_b64 exec, exec, s[10:11]
	s_movk_i32 s8, 0x47
	v_cmp_gt_i32_e64 s[8:9], s8, v1
	s_mov_b64 s[10:11], -1
	s_and_saveexec_b64 s[74:75], s[8:9]
; %bb.119:                              ;   in Loop: Header=BB24_14 Depth=1
	v_cmp_eq_u32_e64 s[8:9], 0, v1
	s_orn2_b64 s[10:11], s[8:9], exec
; %bb.120:                              ;   in Loop: Header=BB24_14 Depth=1
	s_or_b64 exec, exec, s[74:75]
	s_and_b64 exec, exec, s[10:11]
	s_cbranch_execz .LBB24_128
; %bb.121:                              ;   in Loop: Header=BB24_14 Depth=1
	v_add_u32_e32 v2, s88, v131
	v_cmp_gt_i32_e64 s[8:9], s28, v2
	s_and_b64 s[10:11], s[8:9], vcc
	v_mov_b32_e32 v1, 0x47
	s_and_saveexec_b64 s[8:9], s[10:11]
	s_cbranch_execz .LBB24_123
; %bb.122:                              ;   in Loop: Header=BB24_14 Depth=1
	v_add_u32_e32 v1, 0, v132
	ds_read2st64_b32 v[4:5], v1 offset0:1 offset1:18
	ds_read2st64_b32 v[6:7], v133 offset1:17
	ds_read2st64_b32 v[8:9], v1 offset0:35 offset1:52
	ds_read2st64_b32 v[10:11], v133 offset0:34 offset1:51
	v_mad_u64_u32 v[2:3], s[10:11], v2, s29, v[62:63]
	s_waitcnt lgkmcnt(2)
	v_cvt_f32_f16_sdwa v13, v6 dst_sel:DWORD dst_unused:UNUSED_PAD src0_sel:WORD_1
	v_cvt_f32_f16_e32 v12, v6
	v_cvt_f32_f16_sdwa v15, v7 dst_sel:DWORD dst_unused:UNUSED_PAD src0_sel:WORD_1
	v_cvt_f32_f16_e32 v14, v7
	s_waitcnt lgkmcnt(0)
	v_cvt_f32_f16_sdwa v7, v10 dst_sel:DWORD dst_unused:UNUSED_PAD src0_sel:WORD_1
	v_cvt_f32_f16_e32 v6, v10
	v_pk_fma_f32 v[12:13], v[4:5], v[12:13], 0 op_sel_hi:[0,1,0]
	v_mov_b32_e32 v4, v5
	v_pk_fma_f32 v[4:5], v[4:5], v[14:15], v[12:13] op_sel_hi:[0,1,1]
	v_lshl_add_u32 v2, v2, 6, v18
	v_pk_fma_f32 v[4:5], v[8:9], v[6:7], v[4:5] op_sel_hi:[0,1,1]
	v_cvt_f32_f16_sdwa v7, v11 dst_sel:DWORD dst_unused:UNUSED_PAD src0_sel:WORD_1
	v_cvt_f32_f16_e32 v6, v11
	v_ashrrev_i32_e32 v3, 31, v2
	v_lshlrev_b64 v[2:3], 3, v[2:3]
	v_add_co_u32_e32 v2, vcc, s57, v2
	v_mov_b32_e32 v1, s7
	v_mov_b32_e32 v8, v9
	v_addc_co_u32_e32 v3, vcc, v1, v3, vcc
	v_pk_fma_f32 v[4:5], v[8:9], v[6:7], v[4:5] op_sel_hi:[0,1,1]
	v_mov_b32_e32 v1, 0
	global_store_dwordx2 v[2:3], v[4:5], off
.LBB24_123:                             ;   in Loop: Header=BB24_14 Depth=1
	s_or_b64 exec, exec, s[8:9]
	s_movk_i32 s8, 0x47
	v_cmp_gt_i32_e32 vcc, s8, v1
	s_mov_b64 s[8:9], -1
	s_and_saveexec_b64 s[10:11], vcc
; %bb.124:                              ;   in Loop: Header=BB24_14 Depth=1
	v_cmp_eq_u32_e32 vcc, 0, v1
	s_orn2_b64 s[8:9], vcc, exec
; %bb.125:                              ;   in Loop: Header=BB24_14 Depth=1
	s_or_b64 exec, exec, s[10:11]
	s_and_b64 exec, exec, s[8:9]
	s_cbranch_execz .LBB24_128
; %bb.126:                              ;   in Loop: Header=BB24_14 Depth=1
	v_add_u32_e32 v1, s88, v176
	v_or_b32_e32 v2, s64, v54
	v_cmp_gt_i32_e32 vcc, s28, v1
	v_cmp_gt_i32_e64 s[8:9], s33, v2
	s_and_b64 s[8:9], vcc, s[8:9]
	s_and_b64 exec, exec, s[8:9]
	s_cbranch_execz .LBB24_128
; %bb.127:                              ;   in Loop: Header=BB24_14 Depth=1
	v_mad_u64_u32 v[2:3], s[8:9], v1, s29, v[54:55]
	v_add_u32_e32 v1, 0, v134
	ds_read2st64_b32 v[4:5], v1 offset0:1 offset1:18
	ds_read2st64_b32 v[6:7], v135 offset1:17
	ds_read2st64_b32 v[8:9], v1 offset0:35 offset1:52
	ds_read2st64_b32 v[10:11], v135 offset0:34 offset1:51
	v_lshl_add_u32 v2, v2, 6, v18
	v_ashrrev_i32_e32 v3, 31, v2
	s_waitcnt lgkmcnt(2)
	v_cvt_f32_f16_sdwa v13, v6 dst_sel:DWORD dst_unused:UNUSED_PAD src0_sel:WORD_1
	v_cvt_f32_f16_e32 v12, v6
	v_cvt_f32_f16_sdwa v15, v7 dst_sel:DWORD dst_unused:UNUSED_PAD src0_sel:WORD_1
	v_cvt_f32_f16_e32 v14, v7
	s_waitcnt lgkmcnt(0)
	v_cvt_f32_f16_sdwa v7, v10 dst_sel:DWORD dst_unused:UNUSED_PAD src0_sel:WORD_1
	v_cvt_f32_f16_e32 v6, v10
	v_pk_fma_f32 v[12:13], v[4:5], v[12:13], 0 op_sel_hi:[0,1,0]
	v_mov_b32_e32 v4, v5
	v_pk_fma_f32 v[4:5], v[4:5], v[14:15], v[12:13] op_sel_hi:[0,1,1]
	v_pk_fma_f32 v[4:5], v[8:9], v[6:7], v[4:5] op_sel_hi:[0,1,1]
	v_cvt_f32_f16_sdwa v7, v11 dst_sel:DWORD dst_unused:UNUSED_PAD src0_sel:WORD_1
	v_cvt_f32_f16_e32 v6, v11
	v_lshlrev_b64 v[2:3], 3, v[2:3]
	v_add_co_u32_e32 v2, vcc, s57, v2
	v_mov_b32_e32 v1, s7
	v_mov_b32_e32 v8, v9
	v_addc_co_u32_e32 v3, vcc, v1, v3, vcc
	v_pk_fma_f32 v[4:5], v[8:9], v[6:7], v[4:5] op_sel_hi:[0,1,1]
	global_store_dwordx2 v[2:3], v[4:5], off
.LBB24_128:                             ;   in Loop: Header=BB24_14 Depth=1
	s_or_b64 exec, exec, s[72:73]
	s_barrier
	s_branch .LBB24_13
.LBB24_129:                             ;   in Loop: Header=BB24_14 Depth=1
	s_lshl_b32 s74, s87, 3
	v_add_u32_e32 v1, s74, v75
	v_cmp_gt_i32_e64 s[8:9], s33, v19
	v_cmp_le_i32_e32 vcc, s28, v1
	s_xor_b64 s[8:9], s[8:9], -1
	s_or_b64 s[10:11], vcc, s[8:9]
	s_and_saveexec_b64 s[72:73], s[10:11]
	s_xor_b64 s[10:11], exec, s[72:73]
	s_cbranch_execz .LBB24_131
; %bb.130:                              ;   in Loop: Header=BB24_14 Depth=1
	ds_write_b32 v93, v154
                                        ; implicit-def: $vgpr1
.LBB24_131:                             ;   in Loop: Header=BB24_14 Depth=1
	s_andn2_saveexec_b64 s[10:11], s[10:11]
	s_cbranch_execz .LBB24_133
; %bb.132:                              ;   in Loop: Header=BB24_14 Depth=1
	v_mad_u64_u32 v[2:3], s[72:73], v1, s53, v[60:61]
	v_ashrrev_i32_e32 v3, 31, v2
	v_lshlrev_b64 v[2:3], 3, v[2:3]
	v_mov_b32_e32 v1, s51
	v_add_co_u32_e32 v2, vcc, s50, v2
	v_addc_co_u32_e32 v3, vcc, v1, v3, vcc
	global_load_dwordx2 v[2:3], v[2:3], off
	s_waitcnt vmcnt(0)
	v_cvt_f16_f32_e32 v1, v2
	v_cvt_f16_f32_e32 v2, v3
	v_pack_b32_f16 v1, v1, v2
	v_pk_mul_f16 v1, v57, v1
	ds_write_b32 v93, v1
.LBB24_133:                             ;   in Loop: Header=BB24_14 Depth=1
	s_or_b64 exec, exec, s[10:11]
	v_add_u32_e32 v1, s74, v165
	v_cmp_le_i32_e32 vcc, s28, v1
	s_or_b64 s[10:11], vcc, s[8:9]
	s_and_saveexec_b64 s[72:73], s[10:11]
	s_xor_b64 s[10:11], exec, s[72:73]
	s_cbranch_execz .LBB24_135
; %bb.134:                              ;   in Loop: Header=BB24_14 Depth=1
	ds_write_b32 v93, v154 offset:1088
                                        ; implicit-def: $vgpr1
.LBB24_135:                             ;   in Loop: Header=BB24_14 Depth=1
	s_andn2_saveexec_b64 s[10:11], s[10:11]
	s_cbranch_execz .LBB24_137
; %bb.136:                              ;   in Loop: Header=BB24_14 Depth=1
	v_mad_u64_u32 v[2:3], s[72:73], v1, s53, v[60:61]
	v_ashrrev_i32_e32 v3, 31, v2
	v_lshlrev_b64 v[2:3], 3, v[2:3]
	v_mov_b32_e32 v1, s51
	v_add_co_u32_e32 v2, vcc, s50, v2
	v_addc_co_u32_e32 v3, vcc, v1, v3, vcc
	global_load_dwordx2 v[2:3], v[2:3], off
	s_waitcnt vmcnt(0)
	v_cvt_f16_f32_e32 v1, v2
	v_cvt_f16_f32_e32 v2, v3
	v_pack_b32_f16 v1, v1, v2
	v_pk_mul_f16 v1, v57, v1
	ds_write_b32 v93, v1 offset:1088
.LBB24_137:                             ;   in Loop: Header=BB24_14 Depth=1
	s_or_b64 exec, exec, s[10:11]
	v_add_u32_e32 v1, s74, v166
	v_cmp_le_i32_e32 vcc, s28, v1
	s_or_b64 s[10:11], vcc, s[8:9]
	s_and_saveexec_b64 s[72:73], s[10:11]
	s_xor_b64 s[10:11], exec, s[72:73]
	s_cbranch_execz .LBB24_139
; %bb.138:                              ;   in Loop: Header=BB24_14 Depth=1
	ds_write_b32 v93, v154 offset:2176
                                        ; implicit-def: $vgpr1
.LBB24_139:                             ;   in Loop: Header=BB24_14 Depth=1
	s_andn2_saveexec_b64 s[10:11], s[10:11]
	s_cbranch_execz .LBB24_141
; %bb.140:                              ;   in Loop: Header=BB24_14 Depth=1
	v_mad_u64_u32 v[2:3], s[72:73], v1, s53, v[60:61]
	v_ashrrev_i32_e32 v3, 31, v2
	v_lshlrev_b64 v[2:3], 3, v[2:3]
	v_mov_b32_e32 v1, s51
	v_add_co_u32_e32 v2, vcc, s50, v2
	v_addc_co_u32_e32 v3, vcc, v1, v3, vcc
	global_load_dwordx2 v[2:3], v[2:3], off
	s_waitcnt vmcnt(0)
	v_cvt_f16_f32_e32 v1, v2
	v_cvt_f16_f32_e32 v2, v3
	v_pack_b32_f16 v1, v1, v2
	v_pk_mul_f16 v1, v57, v1
	ds_write_b32 v93, v1 offset:2176
.LBB24_141:                             ;   in Loop: Header=BB24_14 Depth=1
	;; [unrolled: 28-line block ×3, first 2 shown]
	s_or_b64 exec, exec, s[8:9]
	s_waitcnt lgkmcnt(0)
	s_barrier
	ds_read2_b64 v[14:17], v77 offset1:4
	ds_read2_b64 v[10:13], v77 offset0:8 offset1:12
	ds_read2_b64 v[6:9], v77 offset0:16 offset1:20
	;; [unrolled: 1-line block ×3, first 2 shown]
	s_cmp_gt_i32 s77, 1
	s_waitcnt lgkmcnt(0)
	s_barrier
	s_cbranch_scc1 .LBB24_147
; %bb.146:                              ;   in Loop: Header=BB24_14 Depth=1
	v_mbcnt_hi_u32_b32 v69, -1, v177
	v_and_b32_e32 v1, 64, v69
	s_mov_b32 s10, 0
	v_add_u32_e32 v71, 64, v1
	v_xor_b32_e32 v181, 32, v69
	v_xor_b32_e32 v182, 16, v69
	s_mov_b64 s[8:9], 0
	s_mov_b32 s11, 0xfeffffff
	s_branch .LBB24_148
.LBB24_147:                             ;   in Loop: Header=BB24_14 Depth=1
	s_mov_b64 s[8:9], -1
                                        ; implicit-def: $sgpr10
                                        ; implicit-def: $sgpr11
                                        ; implicit-def: $vgpr69
                                        ; implicit-def: $vgpr71
                                        ; implicit-def: $vgpr181
                                        ; implicit-def: $vgpr182
.LBB24_148:                             ;   in Loop: Header=BB24_14 Depth=1
	v_add_u32_e32 v1, s74, v79
	v_mul_hi_u32 v19, s42, v1
	v_add_u32_e32 v19, v1, v19
	v_lshrrev_b32_e32 v19, s43, v19
	v_mul_lo_u32 v19, v19, s28
	v_sub_u32_e32 v184, v1, v19
	s_andn2_b64 vcc, exec, s[8:9]
	v_mov_b32_e32 v187, s10
	v_mov_b32_e32 v183, s10
	;; [unrolled: 1-line block ×18, first 2 shown]
	s_cbranch_vccnz .LBB24_151
; %bb.149:                              ;   in Loop: Header=BB24_14 Depth=1
	v_mbcnt_hi_u32_b32 v69, -1, v177
	v_and_b32_e32 v1, 64, v69
	v_add_u32_e32 v71, 64, v1
	v_xor_b32_e32 v181, 32, v69
	v_readlane_b32 s8, v218, 18
	v_cmp_lt_i32_e32 vcc, v181, v71
	v_xor_b32_e32 v182, 16, v69
	v_readlane_b32 s9, v218, 19
	s_add_i32 s10, s77, -1
	v_cndmask_b32_e32 v1, v69, v181, vcc
	v_cmp_lt_i32_e32 vcc, v182, v71
	v_mad_i64_i32 v[64:65], s[8:9], s8, v184, v[64:65]
	v_lshlrev_b32_e32 v185, 2, v1
	v_cndmask_b32_e32 v1, v69, v182, vcc
	v_add_co_u32_e32 v64, vcc, v136, v64
	s_add_u32 s8, s61, s62
	v_addc_co_u32_e32 v65, vcc, v137, v65, vcc
	s_addc_u32 s9, s58, s63
	v_lshlrev_b32_e32 v186, 2, v1
	v_mov_b32_e32 v1, s9
	v_add_co_u32_e32 v68, vcc, s8, v138
	v_addc_co_u32_e32 v1, vcc, v139, v1, vcc
	v_mov_b32_e32 v19, s9
	v_add_co_u32_e32 v70, vcc, s8, v140
	v_addc_co_u32_e32 v19, vcc, v141, v19, vcc
	;; [unrolled: 3-line block ×3, first 2 shown]
	v_mov_b32_e32 v41, s9
	v_add_co_u32_e32 v74, vcc, s8, v144
	s_add_u32 s8, s79, s76
	v_addc_co_u32_e32 v41, vcc, v145, v41, vcc
	s_addc_u32 s9, s78, s60
	v_mov_b32_e32 v43, s9
	v_add_co_u32_e32 v76, vcc, s8, v146
	v_addc_co_u32_e32 v43, vcc, v147, v43, vcc
	v_mov_b32_e32 v45, s9
	v_add_co_u32_e32 v78, vcc, s8, v148
	v_addc_co_u32_e32 v45, vcc, v149, v45, vcc
	;; [unrolled: 3-line block ×3, first 2 shown]
	v_mov_b32_e32 v49, s9
	v_add_co_u32_e32 v82, vcc, s8, v152
	v_mov_b32_e32 v85, 0
	v_addc_co_u32_e32 v49, vcc, v153, v49, vcc
	v_mov_b32_e32 v183, 0
	v_mov_b32_e32 v66, 0xfeffffff
	s_mov_b32 s8, s10
	v_mov_b32_e32 v84, 0
	v_mov_b32_e32 v200, 0
	;; [unrolled: 1-line block ×15, first 2 shown]
.LBB24_150:                             ;   Parent Loop BB24_14 Depth=1
                                        ; =>  This Inner Loop Header: Depth=2
	v_add_co_u32_e32 v202, vcc, v76, v56
	v_addc_co_u32_e32 v203, vcc, 0, v43, vcc
	v_mov_b32_e32 v201, v66
	global_load_dword v66, v[64:65], off
	v_mov_b32_e32 v210, v183
	global_load_dwordx4 v[202:205], v[202:203], off
	s_add_i32 s8, s8, -1
	s_cmp_lg_u32 s8, 0
	s_waitcnt vmcnt(1)
	ds_write_b32 v81, v66 offset:17408
	v_add_u32_e32 v66, 0x4400, v87
	s_waitcnt vmcnt(0)
	ds_write_b128 v83, v[202:205]
	v_add_co_u32_e32 v202, vcc, v78, v56
	v_addc_co_u32_e32 v203, vcc, 0, v45, vcc
	global_load_dwordx4 v[202:205], v[202:203], off
	s_waitcnt vmcnt(0)
	ds_write_b128 v155, v[202:205]
	v_add_co_u32_e32 v202, vcc, v80, v56
	v_addc_co_u32_e32 v203, vcc, 0, v47, vcc
	global_load_dwordx4 v[202:205], v[202:203], off
	;; [unrolled: 5-line block ×3, first 2 shown]
	s_waitcnt vmcnt(0)
	ds_write_b128 v157, v[202:205]
	s_waitcnt lgkmcnt(0)
	s_barrier
	ds_read2_b64 v[202:205], v86 offset1:4
	s_waitcnt lgkmcnt(0)
	v_mfma_f32_16x16x16f16 v[206:209], v[202:203], v[14:15], 0
	v_mfma_f32_16x16x16f16 v[202:205], v[204:205], v[16:17], v[206:209]
	s_nop 7
	s_nop 1
	ds_read2_b64 v[206:209], v86 offset0:8 offset1:12
	s_waitcnt lgkmcnt(0)
	v_mfma_f32_16x16x16f16 v[202:205], v[206:207], v[10:11], v[202:205]
	v_mfma_f32_16x16x16f16 v[202:205], v[208:209], v[12:13], v[202:205]
	ds_read2_b64 v[206:209], v86 offset0:16 offset1:20
	s_waitcnt lgkmcnt(0)
	v_mfma_f32_16x16x16f16 v[202:205], v[206:207], v[6:7], v[202:205]
	v_mfma_f32_16x16x16f16 v[202:205], v[208:209], v[8:9], v[202:205]
	ds_read2_b64 v[206:209], v86 offset0:24 offset1:28
	s_waitcnt lgkmcnt(0)
	s_barrier
	v_mfma_f32_16x16x16f16 v[202:205], v[206:207], v[2:3], v[202:205]
	ds_read2_b32 v[206:207], v66 offset1:1
	v_mfma_f32_16x16x16f16 v[202:205], v[208:209], v[4:5], v[202:205]
	s_waitcnt lgkmcnt(0)
	v_cvt_f32_f16_e32 v208, v206
	v_cvt_f32_f16_sdwa v209, v206 dst_sel:DWORD dst_unused:UNUSED_PAD src0_sel:WORD_1
	v_cvt_f32_f16_e32 v206, v207
	v_cvt_f32_f16_sdwa v207, v207 dst_sel:DWORD dst_unused:UNUSED_PAD src0_sel:WORD_1
	s_nop 5
	v_pk_add_f32 v[202:203], v[202:203], v[208:209]
	v_add_f32_e32 v66, 0x40051340, v202
	v_add_f32_e32 v183, 0x40051340, v203
	v_pk_add_f32 v[204:205], v[204:205], v[206:207]
	v_max3_f32 v66, v201, v66, v183
	v_add_f32_e32 v183, 0x40051340, v204
	v_add_f32_e32 v206, 0x40051340, v205
	v_max3_f32 v66, v66, v183, v206
	ds_bpermute_b32 v183, v185, v66
	s_waitcnt lgkmcnt(0)
	v_max_f32_e32 v183, v183, v183
	v_max_f32_e32 v66, v66, v183
	ds_bpermute_b32 v183, v186, v66
	s_waitcnt lgkmcnt(0)
	v_max_f32_e32 v183, v183, v183
	v_max_f32_e32 v66, v66, v183
	v_pk_add_f32 v[202:203], v[202:203], v[66:67] op_sel_hi:[1,0] neg_lo:[0,1] neg_hi:[0,1]
	v_mul_f32_e32 v183, 0x3fb8aa3b, v203
	v_fma_f32 v206, v203, s41, -v183
	v_rndne_f32_e32 v207, v183
	v_fmac_f32_e32 v206, 0x32a5705f, v203
	v_sub_f32_e32 v183, v183, v207
	v_add_f32_e32 v183, v183, v206
	v_exp_f32_e32 v183, v183
	v_cvt_i32_f32_e32 v206, v207
	v_cmp_ngt_f32_e32 vcc, s65, v203
	v_sub_f32_e32 v201, v201, v66
	v_ldexp_f32 v183, v183, v206
	v_cndmask_b32_e32 v183, 0, v183, vcc
	v_cmp_nlt_f32_e32 vcc, s93, v203
	v_cndmask_b32_e32 v206, v179, v183, vcc
	v_mul_f32_e32 v183, 0x3fb8aa3b, v202
	v_fma_f32 v203, v202, s41, -v183
	v_rndne_f32_e32 v207, v183
	v_fmac_f32_e32 v203, 0x32a5705f, v202
	v_sub_f32_e32 v183, v183, v207
	v_add_f32_e32 v183, v183, v203
	v_exp_f32_e32 v183, v183
	v_cvt_i32_f32_e32 v203, v207
	v_cmp_ngt_f32_e32 vcc, s65, v202
	v_ldexp_f32 v183, v183, v203
	v_cndmask_b32_e32 v183, 0, v183, vcc
	v_cmp_nlt_f32_e32 vcc, s93, v202
	v_pk_add_f32 v[202:203], v[204:205], v[66:67] op_sel_hi:[1,0] neg_lo:[0,1] neg_hi:[0,1]
	v_cndmask_b32_e32 v207, v179, v183, vcc
	v_mul_f32_e32 v183, 0x3fb8aa3b, v203
	v_fma_f32 v204, v203, s41, -v183
	v_rndne_f32_e32 v205, v183
	v_fmac_f32_e32 v204, 0x32a5705f, v203
	v_sub_f32_e32 v183, v183, v205
	v_add_f32_e32 v183, v183, v204
	v_exp_f32_e32 v183, v183
	v_cvt_i32_f32_e32 v204, v205
	v_cmp_ngt_f32_e32 vcc, s65, v203
	v_ldexp_f32 v183, v183, v204
	v_cndmask_b32_e32 v183, 0, v183, vcc
	v_cmp_nlt_f32_e32 vcc, s93, v203
	v_cndmask_b32_e32 v203, v179, v183, vcc
	v_mul_f32_e32 v183, 0x3fb8aa3b, v202
	v_fma_f32 v204, v202, s41, -v183
	v_rndne_f32_e32 v205, v183
	v_fmac_f32_e32 v204, 0x32a5705f, v202
	v_sub_f32_e32 v183, v183, v205
	v_add_f32_e32 v183, v183, v204
	v_exp_f32_e32 v183, v183
	v_cvt_i32_f32_e32 v204, v205
	v_cmp_ngt_f32_e32 vcc, s65, v202
	v_ldexp_f32 v183, v183, v204
	v_cndmask_b32_e32 v183, 0, v183, vcc
	v_cmp_nlt_f32_e32 vcc, s93, v202
	v_mul_f32_e32 v202, 0x3fb8aa3b, v201
	v_fma_f32 v205, v201, s41, -v202
	v_rndne_f32_e32 v208, v202
	v_fmac_f32_e32 v205, 0x32a5705f, v201
	v_sub_f32_e32 v202, v202, v208
	v_add_f32_e32 v202, v202, v205
	v_exp_f32_e32 v202, v202
	v_cvt_i32_f32_e32 v205, v208
	v_cndmask_b32_e32 v204, v179, v183, vcc
	v_cmp_ngt_f32_e32 vcc, s65, v201
	v_add_f32_e32 v183, v207, v206
	v_ldexp_f32 v202, v202, v205
	v_cndmask_b32_e32 v202, 0, v202, vcc
	v_cmp_nlt_f32_e32 vcc, s93, v201
	v_add_f32_e32 v183, v204, v183
	v_cndmask_b32_e32 v202, v179, v202, vcc
	v_cmp_le_f32_e32 vcc, s94, v201
	v_add_f32_e32 v183, v203, v183
	v_cndmask_b32_e32 v201, 0, v202, vcc
	v_fmac_f32_e32 v183, v210, v201
	v_cvt_f16_f32_e32 v201, v201
	v_pk_mul_f16 v205, v201, v188 op_sel_hi:[0,1]
	v_pk_mul_f16 v187, v201, v187 op_sel_hi:[0,1]
	;; [unrolled: 1-line block ×16, first 2 shown]
	v_cvt_f16_f32_e32 v84, v207
	v_cvt_f16_f32_e32 v85, v206
	v_cvt_f16_f32_e32 v188, v204
	v_cvt_f32_f16_e32 v206, v213
	v_cvt_f32_f16_sdwa v207, v213 dst_sel:DWORD dst_unused:UNUSED_PAD src0_sel:WORD_1
	v_pack_b32_f16 v84, v84, v85
	v_cvt_f16_f32_e32 v85, v203
	v_pack_b32_f16 v85, v188, v85
	v_add_co_u32_e32 v188, vcc, v68, v56
	v_addc_co_u32_e32 v189, vcc, 0, v1, vcc
	global_load_dwordx4 v[188:191], v[188:189], off
	s_waitcnt vmcnt(0)
	ds_write_b128 v83, v[188:191]
	v_add_co_u32_e32 v188, vcc, v70, v56
	v_addc_co_u32_e32 v189, vcc, 0, v19, vcc
	global_load_dwordx4 v[188:191], v[188:189], off
	s_waitcnt vmcnt(0)
	ds_write_b128 v155, v[188:191]
	;; [unrolled: 5-line block ×3, first 2 shown]
	v_add_co_u32_e32 v188, vcc, v74, v56
	v_addc_co_u32_e32 v189, vcc, 0, v41, vcc
	global_load_dwordx4 v[188:191], v[188:189], off
	v_add_co_u32_e32 v64, vcc, s86, v64
	v_addc_co_u32_e32 v65, vcc, 0, v65, vcc
	v_add_co_u32_e32 v68, vcc, s66, v68
	s_waitcnt vmcnt(0)
	ds_write_b128 v157, v[188:191]
	s_waitcnt lgkmcnt(0)
	s_barrier
	ds_read_u16 v192, v89 offset:272
	ds_read_u16 v193, v89 offset:544
	v_cvt_f32_f16_e32 v190, v187
	v_cvt_f32_f16_sdwa v191, v187 dst_sel:DWORD dst_unused:UNUSED_PAD src0_sel:WORD_1
	ds_read_u16 v187, v90
	ds_read_u16 v194, v90 offset:32
	v_cvt_f32_f16_e32 v188, v205
	v_cvt_f32_f16_sdwa v189, v205 dst_sel:DWORD dst_unused:UNUSED_PAD src0_sel:WORD_1
	s_waitcnt lgkmcnt(1)
	v_perm_b32 v193, v187, v193, s95
	ds_read_u16 v187, v88
	ds_read_u16 v203, v88 offset:32
	s_waitcnt lgkmcnt(1)
	v_perm_b32 v192, v192, v187, s95
	s_nop 1
	v_mfma_f32_16x16x16f16 v[188:191], v[192:193], v[84:85], v[188:191]
	v_cvt_f32_f16_e32 v192, v209
	v_cvt_f32_f16_sdwa v193, v209 dst_sel:DWORD dst_unused:UNUSED_PAD src0_sel:WORD_1
	s_nop 7
	s_nop 0
	v_cvt_f16_f32_e32 v187, v188
	v_cvt_f16_f32_e32 v188, v189
	;; [unrolled: 1-line block ×4, first 2 shown]
	v_cvt_f32_f16_sdwa v191, v208 dst_sel:DWORD dst_unused:UNUSED_PAD src0_sel:WORD_1
	v_pack_b32_f16 v188, v187, v188
	v_pack_b32_f16 v187, v189, v190
	ds_read_u16 v189, v158 offset:272
	ds_read_u16 v195, v158 offset:544
	v_cvt_f32_f16_e32 v190, v208
	s_waitcnt lgkmcnt(0)
	v_perm_b32 v195, v194, v195, s95
	v_perm_b32 v194, v189, v203, s95
	s_nop 1
	v_mfma_f32_16x16x16f16 v[190:193], v[194:195], v[84:85], v[190:193]
	v_cvt_f32_f16_e32 v194, v211
	v_cvt_f32_f16_sdwa v195, v211 dst_sel:DWORD dst_unused:UNUSED_PAD src0_sel:WORD_1
	s_nop 7
	s_nop 0
	v_cvt_f16_f32_e32 v189, v190
	v_cvt_f16_f32_e32 v190, v191
	;; [unrolled: 1-line block ×4, first 2 shown]
	v_cvt_f32_f16_sdwa v193, v210 dst_sel:DWORD dst_unused:UNUSED_PAD src0_sel:WORD_1
	v_pack_b32_f16 v190, v189, v190
	v_pack_b32_f16 v189, v191, v192
	ds_read_u16 v191, v88 offset:64
	ds_read_u16 v203, v159 offset:272
	;; [unrolled: 1-line block ×4, first 2 shown]
	v_cvt_f32_f16_e32 v192, v210
	s_waitcnt lgkmcnt(0)
	v_perm_b32 v205, v205, v204, s95
	v_perm_b32 v204, v203, v191, s95
	s_nop 1
	v_mfma_f32_16x16x16f16 v[192:195], v[204:205], v[84:85], v[192:195]
	v_cvt_f32_f16_e32 v204, v212
	v_cvt_f32_f16_sdwa v205, v212 dst_sel:DWORD dst_unused:UNUSED_PAD src0_sel:WORD_1
	s_nop 7
	s_nop 0
	v_cvt_f16_f32_e32 v191, v192
	v_cvt_f16_f32_e32 v192, v193
	;; [unrolled: 1-line block ×4, first 2 shown]
	v_pack_b32_f16 v192, v191, v192
	v_pack_b32_f16 v191, v193, v194
	ds_read_u16 v193, v88 offset:96
	ds_read_u16 v194, v160 offset:272
	;; [unrolled: 1-line block ×4, first 2 shown]
	s_waitcnt lgkmcnt(2)
	v_perm_b32 v194, v194, v193, s95
	s_waitcnt lgkmcnt(0)
	v_perm_b32 v195, v203, v195, s95
	s_nop 1
	v_mfma_f32_16x16x16f16 v[204:207], v[194:195], v[84:85], v[204:207]
	s_nop 7
	s_nop 2
	v_cvt_f16_f32_e32 v193, v204
	v_cvt_f16_f32_e32 v194, v205
	;; [unrolled: 1-line block ×4, first 2 shown]
	v_cvt_f32_f16_e32 v204, v196
	v_pack_b32_f16 v194, v193, v194
	v_cvt_f32_f16_sdwa v205, v196 dst_sel:DWORD dst_unused:UNUSED_PAD src0_sel:WORD_1
	v_pack_b32_f16 v193, v195, v203
	ds_read_u16 v195, v88 offset:128
	ds_read_u16 v203, v161 offset:272
	;; [unrolled: 1-line block ×4, first 2 shown]
	v_cvt_f32_f16_e32 v206, v214
	v_cvt_f32_f16_sdwa v207, v214 dst_sel:DWORD dst_unused:UNUSED_PAD src0_sel:WORD_1
	s_waitcnt lgkmcnt(0)
	v_perm_b32 v209, v209, v208, s95
	v_perm_b32 v208, v203, v195, s95
	s_nop 1
	v_mfma_f32_16x16x16f16 v[204:207], v[208:209], v[84:85], v[204:207]
	s_nop 7
	s_nop 2
	v_cvt_f16_f32_e32 v195, v204
	v_cvt_f16_f32_e32 v196, v205
	v_cvt_f16_f32_e32 v203, v206
	v_cvt_f16_f32_e32 v204, v207
	v_cvt_f32_f16_sdwa v205, v198 dst_sel:DWORD dst_unused:UNUSED_PAD src0_sel:WORD_1
	v_pack_b32_f16 v196, v195, v196
	v_cvt_f32_f16_e32 v206, v197
	v_pack_b32_f16 v195, v203, v204
	ds_read_u16 v203, v88 offset:160
	ds_read_u16 v208, v162 offset:272
	ds_read_u16 v209, v162 offset:544
	ds_read_u16 v210, v90 offset:160
	v_cvt_f32_f16_e32 v204, v198
	v_cvt_f32_f16_sdwa v207, v197 dst_sel:DWORD dst_unused:UNUSED_PAD src0_sel:WORD_1
	s_waitcnt lgkmcnt(2)
	v_perm_b32 v208, v208, v203, s95
	s_waitcnt lgkmcnt(0)
	v_perm_b32 v209, v210, v209, s95
	s_nop 1
	v_mfma_f32_16x16x16f16 v[204:207], v[208:209], v[84:85], v[204:207]
	s_nop 7
	s_nop 2
	v_cvt_f16_f32_e32 v197, v204
	v_cvt_f16_f32_e32 v198, v205
	v_cvt_f16_f32_e32 v203, v206
	v_cvt_f16_f32_e32 v204, v207
	v_cvt_f32_f16_sdwa v205, v200 dst_sel:DWORD dst_unused:UNUSED_PAD src0_sel:WORD_1
	v_pack_b32_f16 v198, v197, v198
	v_cvt_f32_f16_e32 v206, v199
	v_pack_b32_f16 v197, v203, v204
	ds_read_u16 v203, v88 offset:192
	ds_read_u16 v208, v163 offset:272
	ds_read_u16 v209, v163 offset:544
	ds_read_u16 v210, v90 offset:192
	v_cvt_f32_f16_e32 v204, v200
	v_cvt_f32_f16_sdwa v207, v199 dst_sel:DWORD dst_unused:UNUSED_PAD src0_sel:WORD_1
	s_waitcnt lgkmcnt(2)
	v_perm_b32 v208, v208, v203, s95
	s_waitcnt lgkmcnt(0)
	;; [unrolled: 22-line block ×3, first 2 shown]
	v_perm_b32 v203, v210, v203, s95
	s_barrier
	s_nop 0
	v_mfma_f32_16x16x16f16 v[202:205], v[202:203], v[84:85], v[204:207]
	s_nop 7
	s_nop 2
	v_cvt_f16_f32_e32 v84, v202
	v_cvt_f16_f32_e32 v85, v203
	;; [unrolled: 1-line block ×4, first 2 shown]
	v_pack_b32_f16 v85, v84, v85
	v_pack_b32_f16 v84, v201, v202
	v_mov_b32_e32 v201, s67
	v_addc_co_u32_e32 v1, vcc, v1, v201, vcc
	v_add_co_u32_e32 v70, vcc, s66, v70
	v_addc_co_u32_e32 v19, vcc, v19, v201, vcc
	v_add_co_u32_e32 v72, vcc, s66, v72
	v_addc_co_u32_e32 v21, vcc, v21, v201, vcc
	v_add_co_u32_e32 v74, vcc, s66, v74
	v_addc_co_u32_e32 v41, vcc, v41, v201, vcc
	v_add_co_u32_e32 v76, vcc, s68, v76
	v_mov_b32_e32 v201, s69
	v_addc_co_u32_e32 v43, vcc, v43, v201, vcc
	v_add_co_u32_e32 v78, vcc, s68, v78
	v_addc_co_u32_e32 v45, vcc, v45, v201, vcc
	v_add_co_u32_e32 v80, vcc, s68, v80
	;; [unrolled: 2-line block ×3, first 2 shown]
	v_addc_co_u32_e32 v49, vcc, v49, v201, vcc
	s_cbranch_scc1 .LBB24_150
.LBB24_151:                             ;   in Loop: Header=BB24_14 Depth=1
	v_mad_i64_i32 v[64:65], s[8:9], v184, s40, 0
	s_lshl_b32 s58, s10, 6
	s_lshl_b64 s[8:9], s[58:59], 1
	v_mov_b32_e32 v1, s9
	v_add_co_u32_e32 v19, vcc, s8, v61
	v_addc_co_u32_e32 v1, vcc, v180, v1, vcc
	v_lshlrev_b64 v[64:65], 1, v[64:65]
	s_mul_i32 s8, s35, s58
	s_mul_hi_u32 s9, s34, s58
	v_add_co_u32_e32 v19, vcc, v19, v64
	s_add_i32 s9, s9, s8
	s_mul_i32 s8, s34, s58
	v_addc_co_u32_e32 v1, vcc, v1, v65, vcc
	v_lshlrev_b32_e32 v21, 1, v20
	s_lshl_b64 s[8:9], s[8:9], 2
	v_add_co_u32_e32 v64, vcc, v19, v21
	s_add_u32 s8, s49, s8
	v_addc_co_u32_e32 v65, vcc, 0, v1, vcc
	s_addc_u32 s9, s54, s9
	v_mov_b32_e32 v19, s9
	v_add_co_u32_e32 v21, vcc, s8, v32
	v_addc_co_u32_e32 v19, vcc, v19, v33, vcc
	global_load_dword v1, v[64:65], off
	v_add_co_u32_e32 v64, vcc, v21, v92
	v_addc_co_u32_e32 v65, vcc, 0, v19, vcc
	v_mov_b32_e32 v19, s9
	v_add_co_u32_e32 v21, vcc, s8, v34
	v_addc_co_u32_e32 v19, vcc, v19, v35, vcc
	v_add_co_u32_e32 v184, vcc, v21, v92
	v_addc_co_u32_e32 v185, vcc, 0, v19, vcc
	v_mov_b32_e32 v19, s9
	v_add_co_u32_e32 v21, vcc, s8, v36
	v_addc_co_u32_e32 v19, vcc, v19, v37, vcc
	global_load_dwordx4 v[202:205], v[64:65], off
	global_load_dwordx4 v[206:209], v[184:185], off
	v_add_co_u32_e32 v64, vcc, v21, v92
	v_addc_co_u32_e32 v65, vcc, 0, v19, vcc
	v_mov_b32_e32 v19, s9
	v_add_co_u32_e32 v21, vcc, s8, v38
	v_addc_co_u32_e32 v19, vcc, v19, v39, vcc
	v_add_co_u32_e32 v184, vcc, v21, v92
	v_addc_co_u32_e32 v185, vcc, 0, v19, vcc
	global_load_dwordx4 v[210:213], v[64:65], off
	global_load_dwordx4 v[214:217], v[184:185], off
	v_cmp_lt_i32_e32 vcc, v181, v71
	v_cndmask_b32_e32 v19, v69, v181, vcc
	v_cmp_lt_i32_e32 vcc, v182, v71
	v_lshlrev_b32_e32 v21, 2, v19
	s_mul_i32 s9, s31, s58
	s_mul_hi_u32 s10, s30, s58
	s_mul_i32 s8, s30, s58
	s_add_i32 s9, s10, s9
	s_lshl_b64 s[8:9], s[8:9], 2
	s_add_u32 s6, s6, s8
	s_addc_u32 s8, s85, s9
	v_mov_b32_e32 v41, s8
	v_mov_b32_e32 v43, s8
	;; [unrolled: 1-line block ×4, first 2 shown]
	s_cmp_eq_u64 s[70:71], 0
	s_cselect_b64 s[8:9], -1, 0
	s_xor_b64 s[10:11], s[0:1], -1
	s_or_b64 s[8:9], s[10:11], s[8:9]
	s_waitcnt vmcnt(4)
	ds_write_b32 v81, v1 offset:17408
	s_waitcnt vmcnt(3)
	ds_write_b128 v83, v[202:205]
	s_waitcnt vmcnt(2)
	ds_write_b128 v155, v[206:209]
	;; [unrolled: 2-line block ×4, first 2 shown]
	s_waitcnt lgkmcnt(0)
	s_barrier
	ds_read2_b64 v[202:205], v86 offset1:4
	s_waitcnt lgkmcnt(0)
	v_mfma_f32_16x16x16f16 v[206:209], v[202:203], v[14:15], 0
	v_cndmask_b32_e32 v14, v69, v182, vcc
	ds_read2_b64 v[68:71], v86 offset0:8 offset1:12
	v_lshlrev_b32_e32 v19, 2, v14
	v_add_co_u32_e32 v49, vcc, s6, v24
	v_addc_co_u32_e32 v41, vcc, v41, v25, vcc
	v_mfma_f32_16x16x16f16 v[14:17], v[204:205], v[16:17], v[206:209]
	ds_read2_b64 v[202:205], v86 offset0:16 offset1:20
	v_add_co_u32_e32 v61, vcc, s6, v26
	v_addc_co_u32_e32 v43, vcc, v43, v27, vcc
	v_add_u32_e32 v1, 0x4400, v87
	s_waitcnt lgkmcnt(1)
	v_mfma_f32_16x16x16f16 v[14:17], v[68:69], v[10:11], v[14:17]
	v_add_co_u32_e32 v68, vcc, s6, v28
	v_addc_co_u32_e32 v45, vcc, v45, v29, vcc
	v_mfma_f32_16x16x16f16 v[10:13], v[70:71], v[12:13], v[14:17]
	v_add_co_u32_e32 v70, vcc, s6, v30
	v_addc_co_u32_e32 v47, vcc, v47, v31, vcc
	v_add_co_u32_e32 v64, vcc, v49, v92
	s_nop 4
	ds_read2_b64 v[14:17], v86 offset0:24 offset1:28
	s_waitcnt lgkmcnt(1)
	v_mfma_f32_16x16x16f16 v[10:13], v[202:203], v[6:7], v[10:13]
	s_waitcnt lgkmcnt(0)
	s_barrier
	v_addc_co_u32_e32 v65, vcc, 0, v41, vcc
	v_mfma_f32_16x16x16f16 v[6:9], v[204:205], v[8:9], v[10:13]
	v_mfma_f32_16x16x16f16 v[6:9], v[14:15], v[2:3], v[6:9]
	s_nop 5
	ds_read2_b32 v[12:13], v1 offset1:1
	v_add_co_u32_e32 v10, vcc, v61, v92
	v_addc_co_u32_e32 v11, vcc, 0, v43, vcc
	v_add_co_u32_e32 v14, vcc, v68, v92
	v_mfma_f32_16x16x16f16 v[2:5], v[16:17], v[4:5], v[6:9]
	s_waitcnt lgkmcnt(0)
	v_cvt_f32_f16_e32 v68, v12
	v_cvt_f32_f16_sdwa v69, v12 dst_sel:DWORD dst_unused:UNUSED_PAD src0_sel:WORD_1
	v_cvt_f32_f16_e32 v12, v13
	v_cvt_f32_f16_sdwa v13, v13 dst_sel:DWORD dst_unused:UNUSED_PAD src0_sel:WORD_1
	v_addc_co_u32_e32 v15, vcc, 0, v45, vcc
	s_nop 4
	v_pk_add_f32 v[16:17], v[2:3], v[68:69]
	v_pk_add_f32 v[180:181], v[4:5], v[12:13]
	v_add_f32_e32 v1, 0x40051340, v16
	v_add_f32_e32 v2, 0x40051340, v17
	;; [unrolled: 1-line block ×4, first 2 shown]
	v_max3_f32 v1, v66, v1, v2
	v_max3_f32 v1, v1, v3, v4
	ds_bpermute_b32 v4, v21, v1
	v_add_co_u32_e32 v2, vcc, v70, v92
	v_addc_co_u32_e32 v3, vcc, 0, v47, vcc
	s_waitcnt lgkmcnt(0)
	v_max_f32_e32 v4, v4, v4
	v_max_f32_e32 v1, v1, v4
	global_load_dwordx4 v[4:7], v[64:65], off
	s_nop 0
	global_load_dwordx4 v[8:11], v[10:11], off
	s_nop 0
	;; [unrolled: 2-line block ×3, first 2 shown]
	global_load_dwordx4 v[68:71], v[2:3], off
	ds_bpermute_b32 v41, v19, v1
	s_waitcnt vmcnt(3)
	ds_write_b128 v83, v[4:7]
	s_waitcnt vmcnt(2)
	ds_write_b128 v155, v[8:11]
	;; [unrolled: 2-line block ×4, first 2 shown]
	s_waitcnt lgkmcnt(4)
	v_max_f32_e32 v2, v41, v41
	v_max_f32_e32 v2, v1, v2
	v_pk_add_f32 v[16:17], v[16:17], v[2:3] op_sel_hi:[1,0] neg_lo:[0,1] neg_hi:[0,1]
	v_mul_f32_e32 v1, 0x3fb8aa3b, v17
	v_fma_f32 v43, v17, s41, -v1
	v_rndne_f32_e32 v45, v1
	v_fmac_f32_e32 v43, 0x32a5705f, v17
	v_sub_f32_e32 v1, v1, v45
	v_add_f32_e32 v1, v1, v43
	v_cvt_i32_f32_e32 v45, v45
	v_exp_f32_e32 v1, v1
	v_pk_add_f32 v[64:65], v[180:181], v[2:3] op_sel_hi:[1,0] neg_lo:[0,1] neg_hi:[0,1]
	v_mul_f32_e32 v3, 0x3fb8aa3b, v16
	v_mul_f32_e32 v41, 0x3fb8aa3b, v65
	v_fma_f32 v47, v16, s41, -v3
	v_rndne_f32_e32 v49, v3
	v_fma_f32 v61, v65, s41, -v41
	v_rndne_f32_e32 v72, v41
	v_fmac_f32_e32 v47, 0x32a5705f, v16
	v_sub_f32_e32 v3, v3, v49
	v_add_f32_e32 v3, v3, v47
	v_fmac_f32_e32 v61, 0x32a5705f, v65
	v_sub_f32_e32 v41, v41, v72
	v_ldexp_f32 v1, v1, v45
	v_cmp_ngt_f32_e32 vcc, s65, v17
	v_cvt_i32_f32_e32 v49, v49
	v_exp_f32_e32 v3, v3
	v_cndmask_b32_e32 v1, 0, v1, vcc
	v_cmp_nlt_f32_e32 vcc, s93, v17
	v_add_f32_e32 v17, v41, v61
	v_exp_f32_e32 v17, v17
	v_cvt_i32_f32_e32 v41, v72
	v_ldexp_f32 v3, v3, v49
	v_cndmask_b32_e32 v1, v179, v1, vcc
	v_cmp_ngt_f32_e32 vcc, s65, v16
	v_cndmask_b32_e32 v3, 0, v3, vcc
	v_cmp_nlt_f32_e32 vcc, s93, v16
	v_ldexp_f32 v16, v17, v41
	v_mul_f32_e32 v17, 0x3fb8aa3b, v64
	v_fma_f32 v41, v64, s41, -v17
	v_rndne_f32_e32 v43, v17
	v_fmac_f32_e32 v41, 0x32a5705f, v64
	v_sub_f32_e32 v17, v17, v43
	v_add_f32_e32 v17, v17, v41
	v_exp_f32_e32 v17, v17
	v_cvt_i32_f32_e32 v41, v43
	v_cndmask_b32_e32 v3, v179, v3, vcc
	v_cmp_ngt_f32_e32 vcc, s65, v65
	v_cndmask_b32_e32 v16, 0, v16, vcc
	v_ldexp_f32 v17, v17, v41
	v_sub_f32_e32 v41, v66, v2
	v_mul_f32_e32 v43, 0x3fb8aa3b, v41
	v_fma_f32 v45, v41, s41, -v43
	v_rndne_f32_e32 v47, v43
	v_fmac_f32_e32 v45, 0x32a5705f, v41
	v_sub_f32_e32 v43, v43, v47
	v_add_f32_e32 v43, v43, v45
	v_exp_f32_e32 v43, v43
	v_cvt_i32_f32_e32 v45, v47
	v_cmp_nlt_f32_e32 vcc, s93, v65
	v_cndmask_b32_e32 v16, v179, v16, vcc
	v_cmp_ngt_f32_e32 vcc, s65, v64
	v_cndmask_b32_e32 v17, 0, v17, vcc
	v_cmp_nlt_f32_e32 vcc, s93, v64
	v_cndmask_b32_e32 v17, v179, v17, vcc
	v_ldexp_f32 v43, v43, v45
	v_cmp_ngt_f32_e32 vcc, s65, v41
	v_cndmask_b32_e32 v43, 0, v43, vcc
	v_cmp_nlt_f32_e32 vcc, s93, v41
	v_cndmask_b32_e32 v43, v179, v43, vcc
	v_cmp_le_f32_e32 vcc, s94, v41
	v_cndmask_b32_e32 v41, 0, v43, vcc
	v_cvt_f16_f32_e32 v43, v41
	v_add_f32_e32 v47, v3, v1
	v_add_f32_e32 v45, v17, v47
	;; [unrolled: 1-line block ×3, first 2 shown]
	v_fmac_f32_e32 v45, v183, v41
	v_pk_mul_f16 v41, v43, v188 op_sel_hi:[0,1]
	s_waitcnt lgkmcnt(0)
	s_barrier
	v_cvt_f32_f16_e32 v4, v41
	v_cvt_f32_f16_sdwa v5, v41 dst_sel:DWORD dst_unused:UNUSED_PAD src0_sel:WORD_1
	ds_read_u16 v7, v89 offset:272
	ds_read_u16 v8, v89 offset:544
	ds_read_u16 v9, v90
	ds_read_u16 v11, v90 offset:32
	ds_read_u16 v14, v90 offset:64
	;; [unrolled: 1-line block ×5, first 2 shown]
	s_waitcnt lgkmcnt(5)
	v_perm_b32 v9, v9, v8, s95
	ds_read_u16 v8, v88
	ds_read_u16 v12, v88 offset:32
	ds_read_u16 v68, v88 offset:64
	;; [unrolled: 1-line block ×7, first 2 shown]
	v_pk_mul_f16 v47, v43, v187 op_sel_hi:[0,1]
	v_cvt_f16_f32_e32 v3, v3
	v_cvt_f16_f32_e32 v1, v1
	;; [unrolled: 1-line block ×4, first 2 shown]
	s_waitcnt lgkmcnt(7)
	v_perm_b32 v8, v7, v8, s95
	v_cvt_f32_f16_e32 v6, v47
	v_cvt_f32_f16_sdwa v7, v47 dst_sel:DWORD dst_unused:UNUSED_PAD src0_sel:WORD_1
	v_pack_b32_f16 v64, v3, v1
	v_pack_b32_f16 v65, v17, v16
	v_pk_mul_f16 v49, v43, v190 op_sel_hi:[0,1]
	v_pk_mul_f16 v61, v43, v189 op_sel_hi:[0,1]
	v_mfma_f32_16x16x16f16 v[4:7], v[8:9], v[64:65], v[4:7]
	v_cvt_f32_f16_e32 v8, v49
	v_cvt_f32_f16_sdwa v9, v49 dst_sel:DWORD dst_unused:UNUSED_PAD src0_sel:WORD_1
	v_cvt_f32_f16_e32 v10, v61
	v_pk_mul_f16 v66, v43, v192 op_sel_hi:[0,1]
	v_pk_mul_f16 v72, v43, v191 op_sel_hi:[0,1]
	;; [unrolled: 1-line block ×4, first 2 shown]
	s_nop 3
	v_cvt_f16_f32_e32 v1, v4
	v_cvt_f16_f32_e32 v3, v5
	ds_read_u16 v4, v158 offset:272
	ds_read_u16 v5, v158 offset:544
	ds_read_u16 v16, v159 offset:272
	ds_read_u16 v17, v159 offset:544
	ds_read_u16 v47, v160 offset:272
	ds_read_u16 v49, v160 offset:544
	s_waitcnt lgkmcnt(4)
	v_perm_b32 v13, v11, v5, s95
	v_perm_b32 v12, v4, v12, s95
	v_cvt_f32_f16_sdwa v11, v61 dst_sel:DWORD dst_unused:UNUSED_PAD src0_sel:WORD_1
	v_cvt_f16_f32_e32 v5, v6
	v_cvt_f16_f32_e32 v61, v7
	v_mfma_f32_16x16x16f16 v[6:9], v[12:13], v[64:65], v[8:11]
	s_waitcnt lgkmcnt(2)
	v_perm_b32 v13, v14, v17, s95
	v_perm_b32 v12, v16, v68, s95
	v_pack_b32_f16 v4, v1, v3
	s_waitcnt lgkmcnt(0)
	v_perm_b32 v17, v15, v49, s95
	s_nop 0
	v_cvt_f32_f16_e32 v10, v72
	v_cvt_f32_f16_sdwa v11, v72 dst_sel:DWORD dst_unused:UNUSED_PAD src0_sel:WORD_1
	v_perm_b32 v16, v47, v69, s95
	s_nop 0
	v_cvt_f16_f32_e32 v3, v6
	v_cvt_f16_f32_e32 v6, v7
	;; [unrolled: 1-line block ×4, first 2 shown]
	v_cvt_f32_f16_e32 v8, v66
	v_cvt_f32_f16_sdwa v9, v66 dst_sel:DWORD dst_unused:UNUSED_PAD src0_sel:WORD_1
	v_cvt_f32_f16_e32 v14, v76
	v_cvt_f32_f16_sdwa v15, v76 dst_sel:DWORD dst_unused:UNUSED_PAD src0_sel:WORD_1
	v_mfma_f32_16x16x16f16 v[8:11], v[12:13], v[64:65], v[8:11]
	v_cvt_f32_f16_e32 v12, v74
	v_cvt_f32_f16_sdwa v13, v74 dst_sel:DWORD dst_unused:UNUSED_PAD src0_sel:WORD_1
	v_pack_b32_f16 v1, v5, v61
	v_pack_b32_f16 v5, v7, v187
	;; [unrolled: 1-line block ×3, first 2 shown]
	v_pk_mul_f16 v78, v43, v196 op_sel_hi:[0,1]
	v_pk_mul_f16 v80, v43, v195 op_sel_hi:[0,1]
	s_nop 3
	v_cvt_f16_f32_e32 v7, v9
	v_cvt_f16_f32_e32 v9, v10
	;; [unrolled: 1-line block ×3, first 2 shown]
	v_mfma_f32_16x16x16f16 v[10:13], v[16:17], v[64:65], v[12:15]
	v_cvt_f16_f32_e32 v3, v8
	v_pk_mul_f16 v82, v43, v198 op_sel_hi:[0,1]
	v_pk_mul_f16 v180, v43, v197 op_sel_hi:[0,1]
	;; [unrolled: 1-line block ×6, first 2 shown]
	ds_read_u16 v84, v90 offset:192
	ds_read_u16 v186, v90 offset:224
	v_pack_b32_f16 v8, v3, v7
	s_nop 0
	v_cvt_f16_f32_e32 v3, v10
	v_cvt_f16_f32_e32 v10, v11
	;; [unrolled: 1-line block ×4, first 2 shown]
	v_cvt_f32_f16_e32 v12, v78
	v_cvt_f32_f16_sdwa v13, v78 dst_sel:DWORD dst_unused:UNUSED_PAD src0_sel:WORD_1
	ds_read_u16 v7, v161 offset:272
	ds_read_u16 v15, v161 offset:544
	;; [unrolled: 1-line block ×8, first 2 shown]
	s_waitcnt lgkmcnt(6)
	v_perm_b32 v17, v41, v15, s95
	v_perm_b32 v16, v7, v70, s95
	v_cvt_f32_f16_e32 v14, v80
	v_cvt_f32_f16_sdwa v15, v80 dst_sel:DWORD dst_unused:UNUSED_PAD src0_sel:WORD_1
	v_cvt_f32_f16_e32 v68, v82
	v_cvt_f32_f16_sdwa v69, v82 dst_sel:DWORD dst_unused:UNUSED_PAD src0_sel:WORD_1
	v_mfma_f32_16x16x16f16 v[12:15], v[16:17], v[64:65], v[12:15]
	s_waitcnt lgkmcnt(4)
	v_perm_b32 v17, v71, v66, s95
	v_perm_b32 v16, v61, v183, s95
	v_cvt_f32_f16_e32 v70, v180
	v_cvt_f32_f16_sdwa v71, v180 dst_sel:DWORD dst_unused:UNUSED_PAD src0_sel:WORD_1
	v_pack_b32_f16 v7, v9, v47
	v_pack_b32_f16 v9, v11, v49
	;; [unrolled: 1-line block ×3, first 2 shown]
	s_nop 2
	v_cvt_f16_f32_e32 v11, v13
	v_cvt_f16_f32_e32 v13, v14
	v_cvt_f16_f32_e32 v41, v15
	v_mfma_f32_16x16x16f16 v[14:17], v[16:17], v[64:65], v[68:71]
	v_cvt_f16_f32_e32 v3, v12
	v_cvt_f32_f16_e32 v180, v85
	v_cvt_f32_f16_sdwa v183, v43 dst_sel:DWORD dst_unused:UNUSED_PAD src0_sel:WORD_1
	s_waitcnt lgkmcnt(0)
	v_pack_b32_f16 v12, v3, v11
	s_nop 1
	v_cvt_f32_f16_e32 v68, v181
	v_cvt_f32_f16_sdwa v69, v181 dst_sel:DWORD dst_unused:UNUSED_PAD src0_sel:WORD_1
	s_nop 1
	v_cvt_f16_f32_e32 v3, v14
	v_cvt_f16_f32_e32 v14, v15
	;; [unrolled: 1-line block ×4, first 2 shown]
	v_perm_b32 v17, v84, v74, s95
	v_perm_b32 v16, v72, v184, s95
	v_cvt_f32_f16_e32 v70, v182
	v_cvt_f32_f16_sdwa v71, v182 dst_sel:DWORD dst_unused:UNUSED_PAD src0_sel:WORD_1
	v_pack_b32_f16 v11, v13, v41
	v_pack_b32_f16 v14, v3, v14
	v_mfma_f32_16x16x16f16 v[68:71], v[16:17], v[64:65], v[68:71]
	v_pack_b32_f16 v13, v15, v47
	v_cvt_f32_f16_sdwa v181, v85 dst_sel:DWORD dst_unused:UNUSED_PAD src0_sel:WORD_1
	v_cvt_f32_f16_e32 v182, v43
	ds_bpermute_b32 v47, v21, v45
	s_barrier
	s_waitcnt lgkmcnt(0)
	s_nop 4
	v_cvt_f16_f32_e32 v3, v68
	v_cvt_f16_f32_e32 v15, v69
	v_perm_b32 v69, v186, v78, s95
	v_perm_b32 v68, v76, v185, s95
	v_cvt_f16_f32_e32 v17, v70
	v_cvt_f16_f32_e32 v41, v71
	v_mfma_f32_16x16x16f16 v[68:71], v[68:69], v[64:65], v[180:183]
	v_pack_b32_f16 v16, v3, v15
	v_pack_b32_f16 v15, v17, v41
	s_nop 7
	s_nop 0
	v_cvt_f16_f32_e32 v3, v68
	v_cvt_f16_f32_e32 v43, v69
	;; [unrolled: 1-line block ×4, first 2 shown]
	v_pack_b32_f16 v64, v3, v43
	v_add_f32_e32 v3, v45, v47
	ds_bpermute_b32 v43, v19, v3
	v_pack_b32_f16 v17, v17, v41
	s_waitcnt lgkmcnt(0)
	v_add_f32_e32 v3, v3, v43
	s_and_saveexec_b64 s[10:11], s[8:9]
	s_xor_b64 s[8:9], exec, s[10:11]
	s_andn2_saveexec_b64 s[8:9], s[8:9]
	s_cbranch_execz .LBB24_153
; %bb.152:                              ;   in Loop: Header=BB24_14 Depth=1
	v_lshlrev_b32_e32 v41, 2, v58
	global_load_dword v41, v41, s[70:71]
	v_max_f32_e32 v43, v2, v2
	s_waitcnt vmcnt(0)
	v_max_f32_e32 v45, v41, v41
	v_max_f32_e32 v68, v43, v45
	v_sub_f32_e32 v2, v2, v68
	v_sub_f32_e32 v41, v41, v68
	v_mul_f32_e32 v43, 0x3fb8aa3b, v2
	v_mul_f32_e32 v45, 0x3fb8aa3b, v41
	v_fma_f32 v47, v2, s41, -v43
	v_rndne_f32_e32 v49, v43
	v_fma_f32 v61, v41, s41, -v45
	v_rndne_f32_e32 v65, v45
	v_fmac_f32_e32 v47, 0x32a5705f, v2
	v_sub_f32_e32 v43, v43, v49
	v_fmac_f32_e32 v61, 0x32a5705f, v41
	v_sub_f32_e32 v45, v45, v65
	v_add_f32_e32 v43, v43, v47
	v_cvt_i32_f32_e32 v49, v49
	v_add_f32_e32 v45, v45, v61
	v_exp_f32_e32 v43, v43
	v_cvt_i32_f32_e32 v65, v65
	v_exp_f32_e32 v45, v45
	v_cmp_ngt_f32_e32 vcc, s65, v2
	v_ldexp_f32 v43, v43, v49
	v_cndmask_b32_e32 v43, 0, v43, vcc
	v_ldexp_f32 v45, v45, v65
	v_cmp_ngt_f32_e32 vcc, s65, v41
	v_cndmask_b32_e32 v45, 0, v45, vcc
	v_cmp_nlt_f32_e32 vcc, s93, v2
	v_cndmask_b32_e32 v43, v179, v43, vcc
	v_cmp_le_f32_e32 vcc, s94, v2
	v_cndmask_b32_e32 v2, 0, v43, vcc
	v_cvt_f16_f32_e32 v43, v2
	v_cmp_nlt_f32_e32 vcc, s93, v41
	v_cndmask_b32_e32 v69, v179, v45, vcc
	v_fmac_f32_e32 v69, v3, v2
	v_pk_mul_f16 v4, v43, v4 op_sel_hi:[0,1]
	v_pk_mul_f16 v1, v43, v1 op_sel_hi:[0,1]
	;; [unrolled: 1-line block ×16, first 2 shown]
	v_pk_mov_b32 v[2:3], v[68:69], v[68:69] op_sel:[0,1]
.LBB24_153:                             ;   in Loop: Header=BB24_14 Depth=1
	s_or_b64 exec, exec, s[8:9]
	s_and_saveexec_b64 s[8:9], s[4:5]
	s_cbranch_execz .LBB24_155
; %bb.154:                              ;   in Loop: Header=BB24_14 Depth=1
	v_add_u32_e32 v41, 0, v94
	ds_write2_b32 v41, v2, v3 offset0:64 offset1:65
.LBB24_155:                             ;   in Loop: Header=BB24_14 Depth=1
	s_or_b64 exec, exec, s[8:9]
	s_waitcnt lgkmcnt(0)
	s_barrier
	s_and_saveexec_b64 s[8:9], s[2:3]
	s_xor_b64 s[8:9], exec, s[8:9]
	s_cbranch_execz .LBB24_157
; %bb.156:                              ;   in Loop: Header=BB24_14 Depth=1
	s_barrier
	s_waitcnt lgkmcnt(0)
                                        ; implicit-def: $vgpr21
                                        ; implicit-def: $vgpr19
.LBB24_157:                             ;   in Loop: Header=BB24_14 Depth=1
	s_andn2_saveexec_b64 s[8:9], s[8:9]
	s_cbranch_execz .LBB24_159
; %bb.158:                              ;   in Loop: Header=BB24_14 Depth=1
	v_add_u32_e32 v41, 0, v95
	ds_read_b64 v[2:3], v41 offset:256
	s_waitcnt lgkmcnt(0)
	s_barrier
	ds_bpermute_b32 v43, v21, v2
	v_max_f32_e32 v45, v2, v2
	s_waitcnt lgkmcnt(0)
	v_max_f32_e32 v43, v43, v43
	v_max_f32_e32 v43, v45, v43
	ds_bpermute_b32 v45, v19, v43
	s_waitcnt lgkmcnt(0)
	v_max_f32_e32 v45, v45, v45
	v_max_f32_e32 v43, v43, v45
	v_sub_f32_e32 v2, v2, v43
	v_mul_f32_e32 v43, 0x3fb8aa3b, v2
	v_fma_f32 v45, v2, s41, -v43
	v_rndne_f32_e32 v47, v43
	v_fmac_f32_e32 v45, 0x32a5705f, v2
	v_sub_f32_e32 v43, v43, v47
	v_add_f32_e32 v43, v43, v45
	v_cvt_i32_f32_e32 v47, v47
	v_exp_f32_e32 v43, v43
	v_cmp_ngt_f32_e32 vcc, s65, v2
	v_ldexp_f32 v43, v43, v47
	v_cndmask_b32_e32 v43, 0, v43, vcc
	v_cmp_nlt_f32_e32 vcc, s93, v2
	v_cndmask_b32_e32 v2, v179, v43, vcc
	v_mul_f32_e32 v43, v3, v2
	ds_bpermute_b32 v21, v21, v43
	s_waitcnt lgkmcnt(0)
	v_fmac_f32_e32 v21, v3, v2
	ds_bpermute_b32 v3, v19, v21
	s_waitcnt lgkmcnt(0)
	v_add_f32_e32 v3, v21, v3
	ds_write_b64 v41, v[2:3] offset:256
.LBB24_159:                             ;   in Loop: Header=BB24_14 Depth=1
	s_or_b64 exec, exec, s[8:9]
	ds_write2_b32 v96, v4, v1 offset1:1
	ds_write2_b32 v96, v6, v5 offset0:8 offset1:9
	ds_write2_b32 v96, v8, v7 offset0:16 offset1:17
	;; [unrolled: 1-line block ×7, first 2 shown]
	s_waitcnt lgkmcnt(0)
	s_barrier
	s_and_saveexec_b64 s[70:71], s[0:1]
	s_cbranch_execz .LBB24_12
; %bb.160:                              ;   in Loop: Header=BB24_14 Depth=1
	v_add_u32_e32 v2, s74, v168
	v_or_b32_e32 v1, s64, v62
	v_cmp_gt_i32_e32 vcc, s28, v2
	v_cmp_gt_i32_e64 s[8:9], s33, v1
	s_and_b64 s[50:51], vcc, s[8:9]
	v_mov_b32_e32 v1, 0x47
	s_and_saveexec_b64 s[10:11], s[50:51]
	s_cbranch_execz .LBB24_162
; %bb.161:                              ;   in Loop: Header=BB24_14 Depth=1
	v_add_u32_e32 v1, 0, v97
	ds_read2st64_b32 v[4:5], v98 offset1:17
	ds_read2st64_b32 v[6:7], v1 offset0:18 offset1:35
	ds_read2st64_b32 v[8:9], v98 offset0:34 offset1:51
	ds_read2_b32 v[10:11], v1 offset0:64 offset1:65
	ds_read_b32 v12, v1 offset:13312
	s_waitcnt lgkmcnt(4)
	v_cvt_f32_f16_sdwa v15, v4 dst_sel:DWORD dst_unused:UNUSED_PAD src0_sel:WORD_1
	v_cvt_f32_f16_e32 v14, v4
	v_cvt_f32_f16_sdwa v17, v5 dst_sel:DWORD dst_unused:UNUSED_PAD src0_sel:WORD_1
	v_cvt_f32_f16_e32 v16, v5
	s_waitcnt lgkmcnt(2)
	v_cvt_f32_f16_sdwa v5, v8 dst_sel:DWORD dst_unused:UNUSED_PAD src0_sel:WORD_1
	v_cvt_f32_f16_e32 v4, v8
	v_cvt_f32_f16_sdwa v65, v9 dst_sel:DWORD dst_unused:UNUSED_PAD src0_sel:WORD_1
	v_cvt_f32_f16_e32 v64, v9
	s_waitcnt lgkmcnt(1)
	v_pk_fma_f32 v[14:15], v[10:11], v[14:15], 0 op_sel_hi:[0,1,0]
	v_pk_fma_f32 v[8:9], v[6:7], v[16:17], v[14:15] op_sel_hi:[0,1,1]
	v_mov_b32_e32 v6, v7
	v_pk_fma_f32 v[4:5], v[6:7], v[4:5], v[8:9] op_sel_hi:[0,1,1]
	s_waitcnt lgkmcnt(0)
	v_pk_fma_f32 v[4:5], v[12:13], v[64:65], v[4:5] op_sel_hi:[0,1,1]
	v_mad_u64_u32 v[2:3], s[50:51], v2, s29, v[62:63]
	v_div_scale_f32 v6, s[50:51], v11, v11, v5
	v_lshl_add_u32 v2, v2, 6, v18
	v_rcp_f32_e32 v7, v6
	v_ashrrev_i32_e32 v3, 31, v2
	v_lshlrev_b64 v[2:3], 3, v[2:3]
	v_mov_b32_e32 v1, s7
	v_add_co_u32_e32 v2, vcc, s57, v2
	v_addc_co_u32_e32 v3, vcc, v1, v3, vcc
	v_fma_f32 v1, -v6, v7, 1.0
	v_fmac_f32_e32 v7, v1, v7
	v_div_scale_f32 v1, vcc, v5, v11, v5
	v_mul_f32_e32 v8, v1, v7
	v_fma_f32 v9, -v6, v8, v1
	v_fmac_f32_e32 v8, v9, v7
	v_fma_f32 v1, -v6, v8, v1
	v_div_scale_f32 v6, s[50:51], v11, v11, v4
	v_rcp_f32_e32 v9, v6
	v_div_fmas_f32 v1, v1, v7, v8
	v_div_fixup_f32 v5, v1, v11, v5
	v_fma_f32 v1, -v6, v9, 1.0
	v_fmac_f32_e32 v9, v1, v9
	v_div_scale_f32 v1, vcc, v4, v11, v4
	v_mul_f32_e32 v7, v1, v9
	v_fma_f32 v8, -v6, v7, v1
	v_fmac_f32_e32 v7, v8, v9
	v_fma_f32 v1, -v6, v7, v1
	v_div_fmas_f32 v1, v1, v9, v7
	v_div_fixup_f32 v4, v1, v11, v4
	v_mov_b32_e32 v1, 0
	global_store_dwordx2 v[2:3], v[4:5], off
.LBB24_162:                             ;   in Loop: Header=BB24_14 Depth=1
	s_or_b64 exec, exec, s[10:11]
	s_movk_i32 s6, 0x47
	v_cmp_gt_i32_e32 vcc, s6, v1
	s_mov_b64 s[10:11], -1
	s_and_saveexec_b64 s[72:73], vcc
; %bb.163:                              ;   in Loop: Header=BB24_14 Depth=1
	v_cmp_eq_u32_e32 vcc, 0, v1
	s_orn2_b64 s[10:11], vcc, exec
; %bb.164:                              ;   in Loop: Header=BB24_14 Depth=1
	s_or_b64 exec, exec, s[72:73]
	s_and_b64 exec, exec, s[10:11]
	s_cbranch_execz .LBB24_12
; %bb.165:                              ;   in Loop: Header=BB24_14 Depth=1
	v_add_u32_e32 v2, s74, v169
	v_or_b32_e32 v1, s64, v40
	v_cmp_gt_i32_e32 vcc, s28, v2
	v_cmp_gt_i32_e64 s[10:11], s33, v1
	s_and_b64 s[50:51], vcc, s[10:11]
	v_mov_b32_e32 v1, 0x47
	s_and_saveexec_b64 s[10:11], s[50:51]
	s_cbranch_execz .LBB24_167
; %bb.166:                              ;   in Loop: Header=BB24_14 Depth=1
	v_add_u32_e32 v1, 0, v99
	ds_read2st64_b32 v[4:5], v100 offset1:17
	ds_read2st64_b32 v[6:7], v1 offset0:18 offset1:35
	ds_read2st64_b32 v[8:9], v100 offset0:34 offset1:51
	ds_read2_b32 v[10:11], v1 offset0:64 offset1:65
	ds_read_b32 v12, v1 offset:13312
	s_waitcnt lgkmcnt(4)
	v_cvt_f32_f16_sdwa v15, v4 dst_sel:DWORD dst_unused:UNUSED_PAD src0_sel:WORD_1
	v_cvt_f32_f16_e32 v14, v4
	v_cvt_f32_f16_sdwa v17, v5 dst_sel:DWORD dst_unused:UNUSED_PAD src0_sel:WORD_1
	v_cvt_f32_f16_e32 v16, v5
	s_waitcnt lgkmcnt(2)
	v_cvt_f32_f16_sdwa v5, v8 dst_sel:DWORD dst_unused:UNUSED_PAD src0_sel:WORD_1
	v_cvt_f32_f16_e32 v4, v8
	v_cvt_f32_f16_sdwa v65, v9 dst_sel:DWORD dst_unused:UNUSED_PAD src0_sel:WORD_1
	v_cvt_f32_f16_e32 v64, v9
	s_waitcnt lgkmcnt(1)
	v_pk_fma_f32 v[14:15], v[10:11], v[14:15], 0 op_sel_hi:[0,1,0]
	v_pk_fma_f32 v[8:9], v[6:7], v[16:17], v[14:15] op_sel_hi:[0,1,1]
	v_mov_b32_e32 v6, v7
	v_pk_fma_f32 v[4:5], v[6:7], v[4:5], v[8:9] op_sel_hi:[0,1,1]
	s_waitcnt lgkmcnt(0)
	v_pk_fma_f32 v[4:5], v[12:13], v[64:65], v[4:5] op_sel_hi:[0,1,1]
	v_mad_u64_u32 v[2:3], s[50:51], v2, s29, v[40:41]
	v_div_scale_f32 v6, s[50:51], v11, v11, v5
	v_lshl_add_u32 v2, v2, 6, v18
	v_rcp_f32_e32 v7, v6
	v_ashrrev_i32_e32 v3, 31, v2
	v_lshlrev_b64 v[2:3], 3, v[2:3]
	v_mov_b32_e32 v1, s7
	v_add_co_u32_e32 v2, vcc, s57, v2
	v_addc_co_u32_e32 v3, vcc, v1, v3, vcc
	v_fma_f32 v1, -v6, v7, 1.0
	v_fmac_f32_e32 v7, v1, v7
	v_div_scale_f32 v1, vcc, v5, v11, v5
	v_mul_f32_e32 v8, v1, v7
	v_fma_f32 v9, -v6, v8, v1
	v_fmac_f32_e32 v8, v9, v7
	v_fma_f32 v1, -v6, v8, v1
	v_div_scale_f32 v6, s[50:51], v11, v11, v4
	v_rcp_f32_e32 v9, v6
	v_div_fmas_f32 v1, v1, v7, v8
	v_div_fixup_f32 v5, v1, v11, v5
	v_fma_f32 v1, -v6, v9, 1.0
	v_fmac_f32_e32 v9, v1, v9
	v_div_scale_f32 v1, vcc, v4, v11, v4
	v_mul_f32_e32 v7, v1, v9
	v_fma_f32 v8, -v6, v7, v1
	v_fmac_f32_e32 v7, v8, v9
	v_fma_f32 v1, -v6, v7, v1
	v_div_fmas_f32 v1, v1, v9, v7
	v_div_fixup_f32 v4, v1, v11, v4
	v_mov_b32_e32 v1, 0
	global_store_dwordx2 v[2:3], v[4:5], off
.LBB24_167:                             ;   in Loop: Header=BB24_14 Depth=1
	s_or_b64 exec, exec, s[10:11]
	v_cmp_gt_i32_e32 vcc, s6, v1
	s_mov_b64 s[10:11], -1
	s_and_saveexec_b64 s[72:73], vcc
; %bb.168:                              ;   in Loop: Header=BB24_14 Depth=1
	v_cmp_eq_u32_e32 vcc, 0, v1
	s_orn2_b64 s[10:11], vcc, exec
; %bb.169:                              ;   in Loop: Header=BB24_14 Depth=1
	s_or_b64 exec, exec, s[72:73]
	s_and_b64 exec, exec, s[10:11]
	s_cbranch_execz .LBB24_12
; %bb.170:                              ;   in Loop: Header=BB24_14 Depth=1
	v_add_u32_e32 v2, s74, v101
	v_cmp_gt_i32_e32 vcc, s28, v2
	s_and_b64 s[50:51], vcc, s[8:9]
	v_mov_b32_e32 v1, 0x47
	s_and_saveexec_b64 s[10:11], s[50:51]
	s_cbranch_execz .LBB24_172
; %bb.171:                              ;   in Loop: Header=BB24_14 Depth=1
	v_add_u32_e32 v1, 0, v102
	ds_read2st64_b32 v[4:5], v103 offset1:17
	ds_read2st64_b32 v[6:7], v1 offset0:18 offset1:35
	ds_read2st64_b32 v[8:9], v103 offset0:34 offset1:51
	ds_read2_b32 v[10:11], v1 offset0:64 offset1:65
	ds_read_b32 v12, v1 offset:13312
	s_waitcnt lgkmcnt(4)
	v_cvt_f32_f16_sdwa v15, v4 dst_sel:DWORD dst_unused:UNUSED_PAD src0_sel:WORD_1
	v_cvt_f32_f16_e32 v14, v4
	v_cvt_f32_f16_sdwa v17, v5 dst_sel:DWORD dst_unused:UNUSED_PAD src0_sel:WORD_1
	v_cvt_f32_f16_e32 v16, v5
	s_waitcnt lgkmcnt(2)
	v_cvt_f32_f16_sdwa v5, v8 dst_sel:DWORD dst_unused:UNUSED_PAD src0_sel:WORD_1
	v_cvt_f32_f16_e32 v4, v8
	v_cvt_f32_f16_sdwa v65, v9 dst_sel:DWORD dst_unused:UNUSED_PAD src0_sel:WORD_1
	v_cvt_f32_f16_e32 v64, v9
	s_waitcnt lgkmcnt(1)
	v_pk_fma_f32 v[14:15], v[10:11], v[14:15], 0 op_sel_hi:[0,1,0]
	v_pk_fma_f32 v[8:9], v[6:7], v[16:17], v[14:15] op_sel_hi:[0,1,1]
	v_mov_b32_e32 v6, v7
	v_pk_fma_f32 v[4:5], v[6:7], v[4:5], v[8:9] op_sel_hi:[0,1,1]
	s_waitcnt lgkmcnt(0)
	v_pk_fma_f32 v[4:5], v[12:13], v[64:65], v[4:5] op_sel_hi:[0,1,1]
	v_mad_u64_u32 v[2:3], s[50:51], v2, s29, v[62:63]
	v_div_scale_f32 v6, s[50:51], v11, v11, v5
	v_lshl_add_u32 v2, v2, 6, v18
	v_rcp_f32_e32 v7, v6
	v_ashrrev_i32_e32 v3, 31, v2
	v_lshlrev_b64 v[2:3], 3, v[2:3]
	v_mov_b32_e32 v1, s7
	v_add_co_u32_e32 v2, vcc, s57, v2
	v_addc_co_u32_e32 v3, vcc, v1, v3, vcc
	v_fma_f32 v1, -v6, v7, 1.0
	v_fmac_f32_e32 v7, v1, v7
	v_div_scale_f32 v1, vcc, v5, v11, v5
	v_mul_f32_e32 v8, v1, v7
	v_fma_f32 v9, -v6, v8, v1
	v_fmac_f32_e32 v8, v9, v7
	v_fma_f32 v1, -v6, v8, v1
	v_div_scale_f32 v6, s[50:51], v11, v11, v4
	v_rcp_f32_e32 v9, v6
	v_div_fmas_f32 v1, v1, v7, v8
	v_div_fixup_f32 v5, v1, v11, v5
	v_fma_f32 v1, -v6, v9, 1.0
	v_fmac_f32_e32 v9, v1, v9
	v_div_scale_f32 v1, vcc, v4, v11, v4
	v_mul_f32_e32 v7, v1, v9
	v_fma_f32 v8, -v6, v7, v1
	v_fmac_f32_e32 v7, v8, v9
	v_fma_f32 v1, -v6, v7, v1
	v_div_fmas_f32 v1, v1, v9, v7
	v_div_fixup_f32 v4, v1, v11, v4
	v_mov_b32_e32 v1, 0
	global_store_dwordx2 v[2:3], v[4:5], off
.LBB24_172:                             ;   in Loop: Header=BB24_14 Depth=1
	s_or_b64 exec, exec, s[10:11]
	v_cmp_gt_i32_e32 vcc, s6, v1
	s_mov_b64 s[10:11], -1
	s_and_saveexec_b64 s[72:73], vcc
; %bb.173:                              ;   in Loop: Header=BB24_14 Depth=1
	v_cmp_eq_u32_e32 vcc, 0, v1
	s_orn2_b64 s[10:11], vcc, exec
; %bb.174:                              ;   in Loop: Header=BB24_14 Depth=1
	s_or_b64 exec, exec, s[72:73]
	s_and_b64 exec, exec, s[10:11]
	s_cbranch_execz .LBB24_12
; %bb.175:                              ;   in Loop: Header=BB24_14 Depth=1
	v_add_u32_e32 v2, s74, v170
	v_or_b32_e32 v1, s64, v42
	v_cmp_gt_i32_e32 vcc, s28, v2
	v_cmp_gt_i32_e64 s[10:11], s33, v1
	s_and_b64 s[50:51], vcc, s[10:11]
	v_mov_b32_e32 v1, 0x47
	s_and_saveexec_b64 s[10:11], s[50:51]
	s_cbranch_execz .LBB24_177
; %bb.176:                              ;   in Loop: Header=BB24_14 Depth=1
	v_add_u32_e32 v1, 0, v104
	ds_read2st64_b32 v[4:5], v105 offset1:17
	ds_read2st64_b32 v[6:7], v1 offset0:18 offset1:35
	ds_read2st64_b32 v[8:9], v105 offset0:34 offset1:51
	ds_read2_b32 v[10:11], v1 offset0:64 offset1:65
	ds_read_b32 v12, v1 offset:13312
	s_waitcnt lgkmcnt(4)
	v_cvt_f32_f16_sdwa v15, v4 dst_sel:DWORD dst_unused:UNUSED_PAD src0_sel:WORD_1
	v_cvt_f32_f16_e32 v14, v4
	v_cvt_f32_f16_sdwa v17, v5 dst_sel:DWORD dst_unused:UNUSED_PAD src0_sel:WORD_1
	v_cvt_f32_f16_e32 v16, v5
	s_waitcnt lgkmcnt(2)
	v_cvt_f32_f16_sdwa v5, v8 dst_sel:DWORD dst_unused:UNUSED_PAD src0_sel:WORD_1
	v_cvt_f32_f16_e32 v4, v8
	v_cvt_f32_f16_sdwa v65, v9 dst_sel:DWORD dst_unused:UNUSED_PAD src0_sel:WORD_1
	v_cvt_f32_f16_e32 v64, v9
	s_waitcnt lgkmcnt(1)
	v_pk_fma_f32 v[14:15], v[10:11], v[14:15], 0 op_sel_hi:[0,1,0]
	v_pk_fma_f32 v[8:9], v[6:7], v[16:17], v[14:15] op_sel_hi:[0,1,1]
	v_mov_b32_e32 v6, v7
	v_pk_fma_f32 v[4:5], v[6:7], v[4:5], v[8:9] op_sel_hi:[0,1,1]
	s_waitcnt lgkmcnt(0)
	v_pk_fma_f32 v[4:5], v[12:13], v[64:65], v[4:5] op_sel_hi:[0,1,1]
	v_mad_u64_u32 v[2:3], s[50:51], v2, s29, v[42:43]
	v_div_scale_f32 v6, s[50:51], v11, v11, v5
	v_lshl_add_u32 v2, v2, 6, v18
	v_rcp_f32_e32 v7, v6
	v_ashrrev_i32_e32 v3, 31, v2
	v_lshlrev_b64 v[2:3], 3, v[2:3]
	v_mov_b32_e32 v1, s7
	v_add_co_u32_e32 v2, vcc, s57, v2
	v_addc_co_u32_e32 v3, vcc, v1, v3, vcc
	v_fma_f32 v1, -v6, v7, 1.0
	v_fmac_f32_e32 v7, v1, v7
	v_div_scale_f32 v1, vcc, v5, v11, v5
	v_mul_f32_e32 v8, v1, v7
	v_fma_f32 v9, -v6, v8, v1
	v_fmac_f32_e32 v8, v9, v7
	v_fma_f32 v1, -v6, v8, v1
	v_div_scale_f32 v6, s[50:51], v11, v11, v4
	v_rcp_f32_e32 v9, v6
	v_div_fmas_f32 v1, v1, v7, v8
	v_div_fixup_f32 v5, v1, v11, v5
	v_fma_f32 v1, -v6, v9, 1.0
	v_fmac_f32_e32 v9, v1, v9
	v_div_scale_f32 v1, vcc, v4, v11, v4
	v_mul_f32_e32 v7, v1, v9
	v_fma_f32 v8, -v6, v7, v1
	v_fmac_f32_e32 v7, v8, v9
	v_fma_f32 v1, -v6, v7, v1
	v_div_fmas_f32 v1, v1, v9, v7
	v_div_fixup_f32 v4, v1, v11, v4
	v_mov_b32_e32 v1, 0
	global_store_dwordx2 v[2:3], v[4:5], off
.LBB24_177:                             ;   in Loop: Header=BB24_14 Depth=1
	s_or_b64 exec, exec, s[10:11]
	v_cmp_gt_i32_e32 vcc, s6, v1
	s_mov_b64 s[10:11], -1
	s_and_saveexec_b64 s[72:73], vcc
; %bb.178:                              ;   in Loop: Header=BB24_14 Depth=1
	v_cmp_eq_u32_e32 vcc, 0, v1
	s_orn2_b64 s[10:11], vcc, exec
; %bb.179:                              ;   in Loop: Header=BB24_14 Depth=1
	s_or_b64 exec, exec, s[72:73]
	s_and_b64 exec, exec, s[10:11]
	s_cbranch_execz .LBB24_12
; %bb.180:                              ;   in Loop: Header=BB24_14 Depth=1
	v_add_u32_e32 v2, s74, v106
	v_cmp_gt_i32_e32 vcc, s28, v2
	s_and_b64 s[50:51], vcc, s[8:9]
	v_mov_b32_e32 v1, 0x47
	s_and_saveexec_b64 s[10:11], s[50:51]
	s_cbranch_execz .LBB24_182
; %bb.181:                              ;   in Loop: Header=BB24_14 Depth=1
	v_add_u32_e32 v1, 0, v107
	ds_read2st64_b32 v[4:5], v108 offset1:17
	ds_read2st64_b32 v[6:7], v1 offset0:18 offset1:35
	ds_read2st64_b32 v[8:9], v108 offset0:34 offset1:51
	ds_read2_b32 v[10:11], v1 offset0:64 offset1:65
	ds_read_b32 v12, v1 offset:13312
	s_waitcnt lgkmcnt(4)
	v_cvt_f32_f16_sdwa v15, v4 dst_sel:DWORD dst_unused:UNUSED_PAD src0_sel:WORD_1
	v_cvt_f32_f16_e32 v14, v4
	v_cvt_f32_f16_sdwa v17, v5 dst_sel:DWORD dst_unused:UNUSED_PAD src0_sel:WORD_1
	v_cvt_f32_f16_e32 v16, v5
	s_waitcnt lgkmcnt(2)
	v_cvt_f32_f16_sdwa v5, v8 dst_sel:DWORD dst_unused:UNUSED_PAD src0_sel:WORD_1
	v_cvt_f32_f16_e32 v4, v8
	v_cvt_f32_f16_sdwa v65, v9 dst_sel:DWORD dst_unused:UNUSED_PAD src0_sel:WORD_1
	v_cvt_f32_f16_e32 v64, v9
	s_waitcnt lgkmcnt(1)
	v_pk_fma_f32 v[14:15], v[10:11], v[14:15], 0 op_sel_hi:[0,1,0]
	v_pk_fma_f32 v[8:9], v[6:7], v[16:17], v[14:15] op_sel_hi:[0,1,1]
	v_mov_b32_e32 v6, v7
	v_pk_fma_f32 v[4:5], v[6:7], v[4:5], v[8:9] op_sel_hi:[0,1,1]
	s_waitcnt lgkmcnt(0)
	v_pk_fma_f32 v[4:5], v[12:13], v[64:65], v[4:5] op_sel_hi:[0,1,1]
	v_mad_u64_u32 v[2:3], s[50:51], v2, s29, v[62:63]
	v_div_scale_f32 v6, s[50:51], v11, v11, v5
	v_lshl_add_u32 v2, v2, 6, v18
	v_rcp_f32_e32 v7, v6
	v_ashrrev_i32_e32 v3, 31, v2
	v_lshlrev_b64 v[2:3], 3, v[2:3]
	v_mov_b32_e32 v1, s7
	v_add_co_u32_e32 v2, vcc, s57, v2
	v_addc_co_u32_e32 v3, vcc, v1, v3, vcc
	v_fma_f32 v1, -v6, v7, 1.0
	v_fmac_f32_e32 v7, v1, v7
	v_div_scale_f32 v1, vcc, v5, v11, v5
	v_mul_f32_e32 v8, v1, v7
	v_fma_f32 v9, -v6, v8, v1
	v_fmac_f32_e32 v8, v9, v7
	v_fma_f32 v1, -v6, v8, v1
	v_div_scale_f32 v6, s[50:51], v11, v11, v4
	v_rcp_f32_e32 v9, v6
	v_div_fmas_f32 v1, v1, v7, v8
	v_div_fixup_f32 v5, v1, v11, v5
	v_fma_f32 v1, -v6, v9, 1.0
	v_fmac_f32_e32 v9, v1, v9
	v_div_scale_f32 v1, vcc, v4, v11, v4
	v_mul_f32_e32 v7, v1, v9
	v_fma_f32 v8, -v6, v7, v1
	v_fmac_f32_e32 v7, v8, v9
	v_fma_f32 v1, -v6, v7, v1
	v_div_fmas_f32 v1, v1, v9, v7
	v_div_fixup_f32 v4, v1, v11, v4
	v_mov_b32_e32 v1, 0
	global_store_dwordx2 v[2:3], v[4:5], off
.LBB24_182:                             ;   in Loop: Header=BB24_14 Depth=1
	s_or_b64 exec, exec, s[10:11]
	v_cmp_gt_i32_e32 vcc, s6, v1
	s_mov_b64 s[10:11], -1
	s_and_saveexec_b64 s[72:73], vcc
; %bb.183:                              ;   in Loop: Header=BB24_14 Depth=1
	v_cmp_eq_u32_e32 vcc, 0, v1
	s_orn2_b64 s[10:11], vcc, exec
; %bb.184:                              ;   in Loop: Header=BB24_14 Depth=1
	s_or_b64 exec, exec, s[72:73]
	s_and_b64 exec, exec, s[10:11]
	s_cbranch_execz .LBB24_12
; %bb.185:                              ;   in Loop: Header=BB24_14 Depth=1
	v_add_u32_e32 v2, s74, v171
	v_or_b32_e32 v1, s64, v44
	v_cmp_gt_i32_e32 vcc, s28, v2
	v_cmp_gt_i32_e64 s[10:11], s33, v1
	s_and_b64 s[50:51], vcc, s[10:11]
	v_mov_b32_e32 v1, 0x47
	s_and_saveexec_b64 s[10:11], s[50:51]
	s_cbranch_execz .LBB24_187
; %bb.186:                              ;   in Loop: Header=BB24_14 Depth=1
	v_add_u32_e32 v1, 0, v109
	ds_read2st64_b32 v[4:5], v110 offset1:17
	ds_read2st64_b32 v[6:7], v1 offset0:18 offset1:35
	ds_read2st64_b32 v[8:9], v110 offset0:34 offset1:51
	ds_read2_b32 v[10:11], v1 offset0:64 offset1:65
	ds_read_b32 v12, v1 offset:13312
	s_waitcnt lgkmcnt(4)
	v_cvt_f32_f16_sdwa v15, v4 dst_sel:DWORD dst_unused:UNUSED_PAD src0_sel:WORD_1
	v_cvt_f32_f16_e32 v14, v4
	v_cvt_f32_f16_sdwa v17, v5 dst_sel:DWORD dst_unused:UNUSED_PAD src0_sel:WORD_1
	v_cvt_f32_f16_e32 v16, v5
	s_waitcnt lgkmcnt(2)
	v_cvt_f32_f16_sdwa v5, v8 dst_sel:DWORD dst_unused:UNUSED_PAD src0_sel:WORD_1
	v_cvt_f32_f16_e32 v4, v8
	v_cvt_f32_f16_sdwa v65, v9 dst_sel:DWORD dst_unused:UNUSED_PAD src0_sel:WORD_1
	v_cvt_f32_f16_e32 v64, v9
	s_waitcnt lgkmcnt(1)
	v_pk_fma_f32 v[14:15], v[10:11], v[14:15], 0 op_sel_hi:[0,1,0]
	v_pk_fma_f32 v[8:9], v[6:7], v[16:17], v[14:15] op_sel_hi:[0,1,1]
	v_mov_b32_e32 v6, v7
	v_pk_fma_f32 v[4:5], v[6:7], v[4:5], v[8:9] op_sel_hi:[0,1,1]
	s_waitcnt lgkmcnt(0)
	v_pk_fma_f32 v[4:5], v[12:13], v[64:65], v[4:5] op_sel_hi:[0,1,1]
	v_mad_u64_u32 v[2:3], s[50:51], v2, s29, v[44:45]
	v_div_scale_f32 v6, s[50:51], v11, v11, v5
	v_lshl_add_u32 v2, v2, 6, v18
	v_rcp_f32_e32 v7, v6
	v_ashrrev_i32_e32 v3, 31, v2
	v_lshlrev_b64 v[2:3], 3, v[2:3]
	v_mov_b32_e32 v1, s7
	v_add_co_u32_e32 v2, vcc, s57, v2
	v_addc_co_u32_e32 v3, vcc, v1, v3, vcc
	v_fma_f32 v1, -v6, v7, 1.0
	v_fmac_f32_e32 v7, v1, v7
	v_div_scale_f32 v1, vcc, v5, v11, v5
	v_mul_f32_e32 v8, v1, v7
	v_fma_f32 v9, -v6, v8, v1
	v_fmac_f32_e32 v8, v9, v7
	v_fma_f32 v1, -v6, v8, v1
	v_div_scale_f32 v6, s[50:51], v11, v11, v4
	v_rcp_f32_e32 v9, v6
	v_div_fmas_f32 v1, v1, v7, v8
	v_div_fixup_f32 v5, v1, v11, v5
	v_fma_f32 v1, -v6, v9, 1.0
	v_fmac_f32_e32 v9, v1, v9
	v_div_scale_f32 v1, vcc, v4, v11, v4
	v_mul_f32_e32 v7, v1, v9
	v_fma_f32 v8, -v6, v7, v1
	v_fmac_f32_e32 v7, v8, v9
	v_fma_f32 v1, -v6, v7, v1
	v_div_fmas_f32 v1, v1, v9, v7
	v_div_fixup_f32 v4, v1, v11, v4
	v_mov_b32_e32 v1, 0
	global_store_dwordx2 v[2:3], v[4:5], off
.LBB24_187:                             ;   in Loop: Header=BB24_14 Depth=1
	s_or_b64 exec, exec, s[10:11]
	v_cmp_gt_i32_e32 vcc, s6, v1
	s_mov_b64 s[10:11], -1
	s_and_saveexec_b64 s[72:73], vcc
; %bb.188:                              ;   in Loop: Header=BB24_14 Depth=1
	v_cmp_eq_u32_e32 vcc, 0, v1
	s_orn2_b64 s[10:11], vcc, exec
; %bb.189:                              ;   in Loop: Header=BB24_14 Depth=1
	s_or_b64 exec, exec, s[72:73]
	s_and_b64 exec, exec, s[10:11]
	s_cbranch_execz .LBB24_12
; %bb.190:                              ;   in Loop: Header=BB24_14 Depth=1
	v_add_u32_e32 v2, s74, v111
	v_cmp_gt_i32_e32 vcc, s28, v2
	s_and_b64 s[50:51], vcc, s[8:9]
	v_mov_b32_e32 v1, 0x47
	s_and_saveexec_b64 s[10:11], s[50:51]
	s_cbranch_execz .LBB24_192
; %bb.191:                              ;   in Loop: Header=BB24_14 Depth=1
	v_add_u32_e32 v1, 0, v112
	ds_read2st64_b32 v[4:5], v113 offset1:17
	ds_read2st64_b32 v[6:7], v1 offset0:18 offset1:35
	ds_read2st64_b32 v[8:9], v113 offset0:34 offset1:51
	ds_read2_b32 v[10:11], v1 offset0:64 offset1:65
	ds_read_b32 v12, v1 offset:13312
	s_waitcnt lgkmcnt(4)
	v_cvt_f32_f16_sdwa v15, v4 dst_sel:DWORD dst_unused:UNUSED_PAD src0_sel:WORD_1
	v_cvt_f32_f16_e32 v14, v4
	v_cvt_f32_f16_sdwa v17, v5 dst_sel:DWORD dst_unused:UNUSED_PAD src0_sel:WORD_1
	v_cvt_f32_f16_e32 v16, v5
	s_waitcnt lgkmcnt(2)
	v_cvt_f32_f16_sdwa v5, v8 dst_sel:DWORD dst_unused:UNUSED_PAD src0_sel:WORD_1
	v_cvt_f32_f16_e32 v4, v8
	v_cvt_f32_f16_sdwa v65, v9 dst_sel:DWORD dst_unused:UNUSED_PAD src0_sel:WORD_1
	v_cvt_f32_f16_e32 v64, v9
	s_waitcnt lgkmcnt(1)
	v_pk_fma_f32 v[14:15], v[10:11], v[14:15], 0 op_sel_hi:[0,1,0]
	v_pk_fma_f32 v[8:9], v[6:7], v[16:17], v[14:15] op_sel_hi:[0,1,1]
	v_mov_b32_e32 v6, v7
	v_pk_fma_f32 v[4:5], v[6:7], v[4:5], v[8:9] op_sel_hi:[0,1,1]
	s_waitcnt lgkmcnt(0)
	v_pk_fma_f32 v[4:5], v[12:13], v[64:65], v[4:5] op_sel_hi:[0,1,1]
	v_mad_u64_u32 v[2:3], s[50:51], v2, s29, v[62:63]
	v_div_scale_f32 v6, s[50:51], v11, v11, v5
	v_lshl_add_u32 v2, v2, 6, v18
	v_rcp_f32_e32 v7, v6
	v_ashrrev_i32_e32 v3, 31, v2
	v_lshlrev_b64 v[2:3], 3, v[2:3]
	v_mov_b32_e32 v1, s7
	v_add_co_u32_e32 v2, vcc, s57, v2
	v_addc_co_u32_e32 v3, vcc, v1, v3, vcc
	v_fma_f32 v1, -v6, v7, 1.0
	v_fmac_f32_e32 v7, v1, v7
	v_div_scale_f32 v1, vcc, v5, v11, v5
	v_mul_f32_e32 v8, v1, v7
	v_fma_f32 v9, -v6, v8, v1
	v_fmac_f32_e32 v8, v9, v7
	v_fma_f32 v1, -v6, v8, v1
	v_div_scale_f32 v6, s[50:51], v11, v11, v4
	v_rcp_f32_e32 v9, v6
	v_div_fmas_f32 v1, v1, v7, v8
	v_div_fixup_f32 v5, v1, v11, v5
	v_fma_f32 v1, -v6, v9, 1.0
	v_fmac_f32_e32 v9, v1, v9
	v_div_scale_f32 v1, vcc, v4, v11, v4
	v_mul_f32_e32 v7, v1, v9
	v_fma_f32 v8, -v6, v7, v1
	v_fmac_f32_e32 v7, v8, v9
	v_fma_f32 v1, -v6, v7, v1
	v_div_fmas_f32 v1, v1, v9, v7
	v_div_fixup_f32 v4, v1, v11, v4
	v_mov_b32_e32 v1, 0
	global_store_dwordx2 v[2:3], v[4:5], off
.LBB24_192:                             ;   in Loop: Header=BB24_14 Depth=1
	s_or_b64 exec, exec, s[10:11]
	v_cmp_gt_i32_e32 vcc, s6, v1
	s_mov_b64 s[10:11], -1
	s_and_saveexec_b64 s[72:73], vcc
; %bb.193:                              ;   in Loop: Header=BB24_14 Depth=1
	v_cmp_eq_u32_e32 vcc, 0, v1
	s_orn2_b64 s[10:11], vcc, exec
; %bb.194:                              ;   in Loop: Header=BB24_14 Depth=1
	s_or_b64 exec, exec, s[72:73]
	s_and_b64 exec, exec, s[10:11]
	s_cbranch_execz .LBB24_12
; %bb.195:                              ;   in Loop: Header=BB24_14 Depth=1
	v_add_u32_e32 v2, s74, v172
	v_or_b32_e32 v1, s64, v46
	v_cmp_gt_i32_e32 vcc, s28, v2
	v_cmp_gt_i32_e64 s[10:11], s33, v1
	s_and_b64 s[50:51], vcc, s[10:11]
	v_mov_b32_e32 v1, 0x47
	s_and_saveexec_b64 s[10:11], s[50:51]
	s_cbranch_execz .LBB24_197
; %bb.196:                              ;   in Loop: Header=BB24_14 Depth=1
	v_add_u32_e32 v1, 0, v114
	ds_read2st64_b32 v[4:5], v115 offset1:17
	ds_read2st64_b32 v[6:7], v1 offset0:18 offset1:35
	ds_read2st64_b32 v[8:9], v115 offset0:34 offset1:51
	ds_read2_b32 v[10:11], v1 offset0:64 offset1:65
	ds_read_b32 v12, v1 offset:13312
	s_waitcnt lgkmcnt(4)
	v_cvt_f32_f16_sdwa v15, v4 dst_sel:DWORD dst_unused:UNUSED_PAD src0_sel:WORD_1
	v_cvt_f32_f16_e32 v14, v4
	v_cvt_f32_f16_sdwa v17, v5 dst_sel:DWORD dst_unused:UNUSED_PAD src0_sel:WORD_1
	v_cvt_f32_f16_e32 v16, v5
	s_waitcnt lgkmcnt(2)
	v_cvt_f32_f16_sdwa v5, v8 dst_sel:DWORD dst_unused:UNUSED_PAD src0_sel:WORD_1
	v_cvt_f32_f16_e32 v4, v8
	v_cvt_f32_f16_sdwa v65, v9 dst_sel:DWORD dst_unused:UNUSED_PAD src0_sel:WORD_1
	v_cvt_f32_f16_e32 v64, v9
	s_waitcnt lgkmcnt(1)
	v_pk_fma_f32 v[14:15], v[10:11], v[14:15], 0 op_sel_hi:[0,1,0]
	v_pk_fma_f32 v[8:9], v[6:7], v[16:17], v[14:15] op_sel_hi:[0,1,1]
	v_mov_b32_e32 v6, v7
	v_pk_fma_f32 v[4:5], v[6:7], v[4:5], v[8:9] op_sel_hi:[0,1,1]
	s_waitcnt lgkmcnt(0)
	v_pk_fma_f32 v[4:5], v[12:13], v[64:65], v[4:5] op_sel_hi:[0,1,1]
	v_mad_u64_u32 v[2:3], s[50:51], v2, s29, v[46:47]
	v_div_scale_f32 v6, s[50:51], v11, v11, v5
	v_lshl_add_u32 v2, v2, 6, v18
	v_rcp_f32_e32 v7, v6
	v_ashrrev_i32_e32 v3, 31, v2
	v_lshlrev_b64 v[2:3], 3, v[2:3]
	v_mov_b32_e32 v1, s7
	v_add_co_u32_e32 v2, vcc, s57, v2
	v_addc_co_u32_e32 v3, vcc, v1, v3, vcc
	v_fma_f32 v1, -v6, v7, 1.0
	v_fmac_f32_e32 v7, v1, v7
	v_div_scale_f32 v1, vcc, v5, v11, v5
	v_mul_f32_e32 v8, v1, v7
	v_fma_f32 v9, -v6, v8, v1
	v_fmac_f32_e32 v8, v9, v7
	v_fma_f32 v1, -v6, v8, v1
	v_div_scale_f32 v6, s[50:51], v11, v11, v4
	v_rcp_f32_e32 v9, v6
	v_div_fmas_f32 v1, v1, v7, v8
	v_div_fixup_f32 v5, v1, v11, v5
	v_fma_f32 v1, -v6, v9, 1.0
	v_fmac_f32_e32 v9, v1, v9
	v_div_scale_f32 v1, vcc, v4, v11, v4
	v_mul_f32_e32 v7, v1, v9
	v_fma_f32 v8, -v6, v7, v1
	v_fmac_f32_e32 v7, v8, v9
	v_fma_f32 v1, -v6, v7, v1
	v_div_fmas_f32 v1, v1, v9, v7
	v_div_fixup_f32 v4, v1, v11, v4
	v_mov_b32_e32 v1, 0
	global_store_dwordx2 v[2:3], v[4:5], off
.LBB24_197:                             ;   in Loop: Header=BB24_14 Depth=1
	s_or_b64 exec, exec, s[10:11]
	v_cmp_gt_i32_e32 vcc, s6, v1
	s_mov_b64 s[10:11], -1
	s_and_saveexec_b64 s[72:73], vcc
; %bb.198:                              ;   in Loop: Header=BB24_14 Depth=1
	v_cmp_eq_u32_e32 vcc, 0, v1
	s_orn2_b64 s[10:11], vcc, exec
; %bb.199:                              ;   in Loop: Header=BB24_14 Depth=1
	s_or_b64 exec, exec, s[72:73]
	s_and_b64 exec, exec, s[10:11]
	s_cbranch_execz .LBB24_12
; %bb.200:                              ;   in Loop: Header=BB24_14 Depth=1
	v_add_u32_e32 v2, s74, v116
	v_cmp_gt_i32_e32 vcc, s28, v2
	s_and_b64 s[50:51], vcc, s[8:9]
	v_mov_b32_e32 v1, 0x47
	s_and_saveexec_b64 s[10:11], s[50:51]
	s_cbranch_execz .LBB24_202
; %bb.201:                              ;   in Loop: Header=BB24_14 Depth=1
	v_add_u32_e32 v1, 0, v117
	ds_read2st64_b32 v[4:5], v118 offset1:17
	ds_read2st64_b32 v[6:7], v1 offset0:18 offset1:35
	ds_read2st64_b32 v[8:9], v118 offset0:34 offset1:51
	ds_read2_b32 v[10:11], v1 offset0:64 offset1:65
	ds_read_b32 v12, v1 offset:13312
	s_waitcnt lgkmcnt(4)
	v_cvt_f32_f16_sdwa v15, v4 dst_sel:DWORD dst_unused:UNUSED_PAD src0_sel:WORD_1
	v_cvt_f32_f16_e32 v14, v4
	v_cvt_f32_f16_sdwa v17, v5 dst_sel:DWORD dst_unused:UNUSED_PAD src0_sel:WORD_1
	v_cvt_f32_f16_e32 v16, v5
	s_waitcnt lgkmcnt(2)
	v_cvt_f32_f16_sdwa v5, v8 dst_sel:DWORD dst_unused:UNUSED_PAD src0_sel:WORD_1
	v_cvt_f32_f16_e32 v4, v8
	v_cvt_f32_f16_sdwa v65, v9 dst_sel:DWORD dst_unused:UNUSED_PAD src0_sel:WORD_1
	v_cvt_f32_f16_e32 v64, v9
	s_waitcnt lgkmcnt(1)
	v_pk_fma_f32 v[14:15], v[10:11], v[14:15], 0 op_sel_hi:[0,1,0]
	v_pk_fma_f32 v[8:9], v[6:7], v[16:17], v[14:15] op_sel_hi:[0,1,1]
	v_mov_b32_e32 v6, v7
	v_pk_fma_f32 v[4:5], v[6:7], v[4:5], v[8:9] op_sel_hi:[0,1,1]
	s_waitcnt lgkmcnt(0)
	v_pk_fma_f32 v[4:5], v[12:13], v[64:65], v[4:5] op_sel_hi:[0,1,1]
	v_mad_u64_u32 v[2:3], s[50:51], v2, s29, v[62:63]
	v_div_scale_f32 v6, s[50:51], v11, v11, v5
	v_lshl_add_u32 v2, v2, 6, v18
	v_rcp_f32_e32 v7, v6
	v_ashrrev_i32_e32 v3, 31, v2
	v_lshlrev_b64 v[2:3], 3, v[2:3]
	v_mov_b32_e32 v1, s7
	v_add_co_u32_e32 v2, vcc, s57, v2
	v_addc_co_u32_e32 v3, vcc, v1, v3, vcc
	v_fma_f32 v1, -v6, v7, 1.0
	v_fmac_f32_e32 v7, v1, v7
	v_div_scale_f32 v1, vcc, v5, v11, v5
	v_mul_f32_e32 v8, v1, v7
	v_fma_f32 v9, -v6, v8, v1
	v_fmac_f32_e32 v8, v9, v7
	v_fma_f32 v1, -v6, v8, v1
	v_div_scale_f32 v6, s[50:51], v11, v11, v4
	v_rcp_f32_e32 v9, v6
	v_div_fmas_f32 v1, v1, v7, v8
	v_div_fixup_f32 v5, v1, v11, v5
	v_fma_f32 v1, -v6, v9, 1.0
	v_fmac_f32_e32 v9, v1, v9
	v_div_scale_f32 v1, vcc, v4, v11, v4
	v_mul_f32_e32 v7, v1, v9
	v_fma_f32 v8, -v6, v7, v1
	v_fmac_f32_e32 v7, v8, v9
	v_fma_f32 v1, -v6, v7, v1
	v_div_fmas_f32 v1, v1, v9, v7
	v_div_fixup_f32 v4, v1, v11, v4
	v_mov_b32_e32 v1, 0
	global_store_dwordx2 v[2:3], v[4:5], off
.LBB24_202:                             ;   in Loop: Header=BB24_14 Depth=1
	s_or_b64 exec, exec, s[10:11]
	v_cmp_gt_i32_e32 vcc, s6, v1
	s_mov_b64 s[10:11], -1
	s_and_saveexec_b64 s[72:73], vcc
; %bb.203:                              ;   in Loop: Header=BB24_14 Depth=1
	v_cmp_eq_u32_e32 vcc, 0, v1
	s_orn2_b64 s[10:11], vcc, exec
; %bb.204:                              ;   in Loop: Header=BB24_14 Depth=1
	s_or_b64 exec, exec, s[72:73]
	s_and_b64 exec, exec, s[10:11]
	s_cbranch_execz .LBB24_12
; %bb.205:                              ;   in Loop: Header=BB24_14 Depth=1
	v_add_u32_e32 v2, s74, v173
	v_or_b32_e32 v1, s64, v48
	v_cmp_gt_i32_e32 vcc, s28, v2
	v_cmp_gt_i32_e64 s[10:11], s33, v1
	s_and_b64 s[50:51], vcc, s[10:11]
	v_mov_b32_e32 v1, 0x47
	s_and_saveexec_b64 s[10:11], s[50:51]
	s_cbranch_execz .LBB24_207
; %bb.206:                              ;   in Loop: Header=BB24_14 Depth=1
	v_add_u32_e32 v1, 0, v119
	ds_read2st64_b32 v[4:5], v120 offset1:17
	ds_read2st64_b32 v[6:7], v1 offset0:18 offset1:35
	ds_read2st64_b32 v[8:9], v120 offset0:34 offset1:51
	ds_read2_b32 v[10:11], v1 offset0:64 offset1:65
	ds_read_b32 v12, v1 offset:13312
	s_waitcnt lgkmcnt(4)
	v_cvt_f32_f16_sdwa v15, v4 dst_sel:DWORD dst_unused:UNUSED_PAD src0_sel:WORD_1
	v_cvt_f32_f16_e32 v14, v4
	v_cvt_f32_f16_sdwa v17, v5 dst_sel:DWORD dst_unused:UNUSED_PAD src0_sel:WORD_1
	v_cvt_f32_f16_e32 v16, v5
	s_waitcnt lgkmcnt(2)
	v_cvt_f32_f16_sdwa v5, v8 dst_sel:DWORD dst_unused:UNUSED_PAD src0_sel:WORD_1
	v_cvt_f32_f16_e32 v4, v8
	v_cvt_f32_f16_sdwa v65, v9 dst_sel:DWORD dst_unused:UNUSED_PAD src0_sel:WORD_1
	v_cvt_f32_f16_e32 v64, v9
	s_waitcnt lgkmcnt(1)
	v_pk_fma_f32 v[14:15], v[10:11], v[14:15], 0 op_sel_hi:[0,1,0]
	v_pk_fma_f32 v[8:9], v[6:7], v[16:17], v[14:15] op_sel_hi:[0,1,1]
	v_mov_b32_e32 v6, v7
	v_pk_fma_f32 v[4:5], v[6:7], v[4:5], v[8:9] op_sel_hi:[0,1,1]
	s_waitcnt lgkmcnt(0)
	v_pk_fma_f32 v[4:5], v[12:13], v[64:65], v[4:5] op_sel_hi:[0,1,1]
	v_mad_u64_u32 v[2:3], s[50:51], v2, s29, v[48:49]
	v_div_scale_f32 v6, s[50:51], v11, v11, v5
	v_lshl_add_u32 v2, v2, 6, v18
	v_rcp_f32_e32 v7, v6
	v_ashrrev_i32_e32 v3, 31, v2
	v_lshlrev_b64 v[2:3], 3, v[2:3]
	v_mov_b32_e32 v1, s7
	v_add_co_u32_e32 v2, vcc, s57, v2
	v_addc_co_u32_e32 v3, vcc, v1, v3, vcc
	v_fma_f32 v1, -v6, v7, 1.0
	v_fmac_f32_e32 v7, v1, v7
	v_div_scale_f32 v1, vcc, v5, v11, v5
	v_mul_f32_e32 v8, v1, v7
	v_fma_f32 v9, -v6, v8, v1
	v_fmac_f32_e32 v8, v9, v7
	v_fma_f32 v1, -v6, v8, v1
	v_div_scale_f32 v6, s[50:51], v11, v11, v4
	v_rcp_f32_e32 v9, v6
	v_div_fmas_f32 v1, v1, v7, v8
	v_div_fixup_f32 v5, v1, v11, v5
	v_fma_f32 v1, -v6, v9, 1.0
	v_fmac_f32_e32 v9, v1, v9
	v_div_scale_f32 v1, vcc, v4, v11, v4
	v_mul_f32_e32 v7, v1, v9
	v_fma_f32 v8, -v6, v7, v1
	v_fmac_f32_e32 v7, v8, v9
	v_fma_f32 v1, -v6, v7, v1
	v_div_fmas_f32 v1, v1, v9, v7
	v_div_fixup_f32 v4, v1, v11, v4
	v_mov_b32_e32 v1, 0
	global_store_dwordx2 v[2:3], v[4:5], off
.LBB24_207:                             ;   in Loop: Header=BB24_14 Depth=1
	s_or_b64 exec, exec, s[10:11]
	v_cmp_gt_i32_e32 vcc, s6, v1
	s_mov_b64 s[10:11], -1
	s_and_saveexec_b64 s[72:73], vcc
; %bb.208:                              ;   in Loop: Header=BB24_14 Depth=1
	v_cmp_eq_u32_e32 vcc, 0, v1
	s_orn2_b64 s[10:11], vcc, exec
; %bb.209:                              ;   in Loop: Header=BB24_14 Depth=1
	s_or_b64 exec, exec, s[72:73]
	s_and_b64 exec, exec, s[10:11]
	s_cbranch_execz .LBB24_12
; %bb.210:                              ;   in Loop: Header=BB24_14 Depth=1
	v_add_u32_e32 v2, s74, v121
	v_cmp_gt_i32_e32 vcc, s28, v2
	s_and_b64 s[50:51], vcc, s[8:9]
	v_mov_b32_e32 v1, 0x47
	s_and_saveexec_b64 s[10:11], s[50:51]
	s_cbranch_execz .LBB24_212
; %bb.211:                              ;   in Loop: Header=BB24_14 Depth=1
	v_add_u32_e32 v1, 0, v122
	ds_read2st64_b32 v[4:5], v123 offset1:17
	ds_read2st64_b32 v[6:7], v1 offset0:18 offset1:35
	ds_read2st64_b32 v[8:9], v123 offset0:34 offset1:51
	ds_read2_b32 v[10:11], v1 offset0:64 offset1:65
	ds_read_b32 v12, v1 offset:13312
	s_waitcnt lgkmcnt(4)
	v_cvt_f32_f16_sdwa v15, v4 dst_sel:DWORD dst_unused:UNUSED_PAD src0_sel:WORD_1
	v_cvt_f32_f16_e32 v14, v4
	v_cvt_f32_f16_sdwa v17, v5 dst_sel:DWORD dst_unused:UNUSED_PAD src0_sel:WORD_1
	v_cvt_f32_f16_e32 v16, v5
	s_waitcnt lgkmcnt(2)
	v_cvt_f32_f16_sdwa v5, v8 dst_sel:DWORD dst_unused:UNUSED_PAD src0_sel:WORD_1
	v_cvt_f32_f16_e32 v4, v8
	v_cvt_f32_f16_sdwa v65, v9 dst_sel:DWORD dst_unused:UNUSED_PAD src0_sel:WORD_1
	v_cvt_f32_f16_e32 v64, v9
	s_waitcnt lgkmcnt(1)
	v_pk_fma_f32 v[14:15], v[10:11], v[14:15], 0 op_sel_hi:[0,1,0]
	v_pk_fma_f32 v[8:9], v[6:7], v[16:17], v[14:15] op_sel_hi:[0,1,1]
	v_mov_b32_e32 v6, v7
	v_pk_fma_f32 v[4:5], v[6:7], v[4:5], v[8:9] op_sel_hi:[0,1,1]
	s_waitcnt lgkmcnt(0)
	v_pk_fma_f32 v[4:5], v[12:13], v[64:65], v[4:5] op_sel_hi:[0,1,1]
	v_mad_u64_u32 v[2:3], s[50:51], v2, s29, v[62:63]
	v_div_scale_f32 v6, s[50:51], v11, v11, v5
	v_lshl_add_u32 v2, v2, 6, v18
	v_rcp_f32_e32 v7, v6
	v_ashrrev_i32_e32 v3, 31, v2
	v_lshlrev_b64 v[2:3], 3, v[2:3]
	v_mov_b32_e32 v1, s7
	v_add_co_u32_e32 v2, vcc, s57, v2
	v_addc_co_u32_e32 v3, vcc, v1, v3, vcc
	v_fma_f32 v1, -v6, v7, 1.0
	v_fmac_f32_e32 v7, v1, v7
	v_div_scale_f32 v1, vcc, v5, v11, v5
	v_mul_f32_e32 v8, v1, v7
	v_fma_f32 v9, -v6, v8, v1
	v_fmac_f32_e32 v8, v9, v7
	v_fma_f32 v1, -v6, v8, v1
	v_div_scale_f32 v6, s[50:51], v11, v11, v4
	v_rcp_f32_e32 v9, v6
	v_div_fmas_f32 v1, v1, v7, v8
	v_div_fixup_f32 v5, v1, v11, v5
	v_fma_f32 v1, -v6, v9, 1.0
	v_fmac_f32_e32 v9, v1, v9
	v_div_scale_f32 v1, vcc, v4, v11, v4
	v_mul_f32_e32 v7, v1, v9
	v_fma_f32 v8, -v6, v7, v1
	v_fmac_f32_e32 v7, v8, v9
	v_fma_f32 v1, -v6, v7, v1
	v_div_fmas_f32 v1, v1, v9, v7
	v_div_fixup_f32 v4, v1, v11, v4
	v_mov_b32_e32 v1, 0
	global_store_dwordx2 v[2:3], v[4:5], off
.LBB24_212:                             ;   in Loop: Header=BB24_14 Depth=1
	s_or_b64 exec, exec, s[10:11]
	v_cmp_gt_i32_e32 vcc, s6, v1
	s_mov_b64 s[10:11], -1
	s_and_saveexec_b64 s[72:73], vcc
; %bb.213:                              ;   in Loop: Header=BB24_14 Depth=1
	v_cmp_eq_u32_e32 vcc, 0, v1
	s_orn2_b64 s[10:11], vcc, exec
; %bb.214:                              ;   in Loop: Header=BB24_14 Depth=1
	s_or_b64 exec, exec, s[72:73]
	s_and_b64 exec, exec, s[10:11]
	s_cbranch_execz .LBB24_12
; %bb.215:                              ;   in Loop: Header=BB24_14 Depth=1
	v_add_u32_e32 v2, s74, v174
	v_or_b32_e32 v1, s64, v50
	v_cmp_gt_i32_e32 vcc, s28, v2
	v_cmp_gt_i32_e64 s[10:11], s33, v1
	s_and_b64 s[50:51], vcc, s[10:11]
	v_mov_b32_e32 v1, 0x47
	s_and_saveexec_b64 s[10:11], s[50:51]
	s_cbranch_execz .LBB24_217
; %bb.216:                              ;   in Loop: Header=BB24_14 Depth=1
	v_add_u32_e32 v1, 0, v124
	ds_read2st64_b32 v[4:5], v125 offset1:17
	ds_read2st64_b32 v[6:7], v1 offset0:18 offset1:35
	ds_read2st64_b32 v[8:9], v125 offset0:34 offset1:51
	ds_read2_b32 v[10:11], v1 offset0:64 offset1:65
	ds_read_b32 v12, v1 offset:13312
	s_waitcnt lgkmcnt(4)
	v_cvt_f32_f16_sdwa v15, v4 dst_sel:DWORD dst_unused:UNUSED_PAD src0_sel:WORD_1
	v_cvt_f32_f16_e32 v14, v4
	v_cvt_f32_f16_sdwa v17, v5 dst_sel:DWORD dst_unused:UNUSED_PAD src0_sel:WORD_1
	v_cvt_f32_f16_e32 v16, v5
	s_waitcnt lgkmcnt(2)
	v_cvt_f32_f16_sdwa v5, v8 dst_sel:DWORD dst_unused:UNUSED_PAD src0_sel:WORD_1
	v_cvt_f32_f16_e32 v4, v8
	v_cvt_f32_f16_sdwa v65, v9 dst_sel:DWORD dst_unused:UNUSED_PAD src0_sel:WORD_1
	v_cvt_f32_f16_e32 v64, v9
	s_waitcnt lgkmcnt(1)
	v_pk_fma_f32 v[14:15], v[10:11], v[14:15], 0 op_sel_hi:[0,1,0]
	v_pk_fma_f32 v[8:9], v[6:7], v[16:17], v[14:15] op_sel_hi:[0,1,1]
	v_mov_b32_e32 v6, v7
	v_pk_fma_f32 v[4:5], v[6:7], v[4:5], v[8:9] op_sel_hi:[0,1,1]
	s_waitcnt lgkmcnt(0)
	v_pk_fma_f32 v[4:5], v[12:13], v[64:65], v[4:5] op_sel_hi:[0,1,1]
	v_mad_u64_u32 v[2:3], s[50:51], v2, s29, v[50:51]
	v_div_scale_f32 v6, s[50:51], v11, v11, v5
	v_lshl_add_u32 v2, v2, 6, v18
	v_rcp_f32_e32 v7, v6
	v_ashrrev_i32_e32 v3, 31, v2
	v_lshlrev_b64 v[2:3], 3, v[2:3]
	v_mov_b32_e32 v1, s7
	v_add_co_u32_e32 v2, vcc, s57, v2
	v_addc_co_u32_e32 v3, vcc, v1, v3, vcc
	v_fma_f32 v1, -v6, v7, 1.0
	v_fmac_f32_e32 v7, v1, v7
	v_div_scale_f32 v1, vcc, v5, v11, v5
	v_mul_f32_e32 v8, v1, v7
	v_fma_f32 v9, -v6, v8, v1
	v_fmac_f32_e32 v8, v9, v7
	v_fma_f32 v1, -v6, v8, v1
	v_div_scale_f32 v6, s[50:51], v11, v11, v4
	v_rcp_f32_e32 v9, v6
	v_div_fmas_f32 v1, v1, v7, v8
	v_div_fixup_f32 v5, v1, v11, v5
	v_fma_f32 v1, -v6, v9, 1.0
	v_fmac_f32_e32 v9, v1, v9
	v_div_scale_f32 v1, vcc, v4, v11, v4
	v_mul_f32_e32 v7, v1, v9
	v_fma_f32 v8, -v6, v7, v1
	v_fmac_f32_e32 v7, v8, v9
	v_fma_f32 v1, -v6, v7, v1
	v_div_fmas_f32 v1, v1, v9, v7
	v_div_fixup_f32 v4, v1, v11, v4
	v_mov_b32_e32 v1, 0
	global_store_dwordx2 v[2:3], v[4:5], off
.LBB24_217:                             ;   in Loop: Header=BB24_14 Depth=1
	s_or_b64 exec, exec, s[10:11]
	v_cmp_gt_i32_e32 vcc, s6, v1
	s_mov_b64 s[10:11], -1
	s_and_saveexec_b64 s[72:73], vcc
; %bb.218:                              ;   in Loop: Header=BB24_14 Depth=1
	v_cmp_eq_u32_e32 vcc, 0, v1
	s_orn2_b64 s[10:11], vcc, exec
; %bb.219:                              ;   in Loop: Header=BB24_14 Depth=1
	s_or_b64 exec, exec, s[72:73]
	s_and_b64 exec, exec, s[10:11]
	s_cbranch_execz .LBB24_12
; %bb.220:                              ;   in Loop: Header=BB24_14 Depth=1
	v_add_u32_e32 v2, s74, v126
	v_cmp_gt_i32_e32 vcc, s28, v2
	s_and_b64 s[50:51], vcc, s[8:9]
	v_mov_b32_e32 v1, 0x47
	s_and_saveexec_b64 s[10:11], s[50:51]
	s_cbranch_execz .LBB24_222
; %bb.221:                              ;   in Loop: Header=BB24_14 Depth=1
	v_add_u32_e32 v1, 0, v127
	ds_read2st64_b32 v[4:5], v128 offset1:17
	ds_read2st64_b32 v[6:7], v1 offset0:18 offset1:35
	ds_read2st64_b32 v[8:9], v128 offset0:34 offset1:51
	ds_read2_b32 v[10:11], v1 offset0:64 offset1:65
	ds_read_b32 v12, v1 offset:13312
	s_waitcnt lgkmcnt(4)
	v_cvt_f32_f16_sdwa v15, v4 dst_sel:DWORD dst_unused:UNUSED_PAD src0_sel:WORD_1
	v_cvt_f32_f16_e32 v14, v4
	v_cvt_f32_f16_sdwa v17, v5 dst_sel:DWORD dst_unused:UNUSED_PAD src0_sel:WORD_1
	v_cvt_f32_f16_e32 v16, v5
	s_waitcnt lgkmcnt(2)
	v_cvt_f32_f16_sdwa v5, v8 dst_sel:DWORD dst_unused:UNUSED_PAD src0_sel:WORD_1
	v_cvt_f32_f16_e32 v4, v8
	v_cvt_f32_f16_sdwa v65, v9 dst_sel:DWORD dst_unused:UNUSED_PAD src0_sel:WORD_1
	v_cvt_f32_f16_e32 v64, v9
	s_waitcnt lgkmcnt(1)
	v_pk_fma_f32 v[14:15], v[10:11], v[14:15], 0 op_sel_hi:[0,1,0]
	v_pk_fma_f32 v[8:9], v[6:7], v[16:17], v[14:15] op_sel_hi:[0,1,1]
	v_mov_b32_e32 v6, v7
	v_pk_fma_f32 v[4:5], v[6:7], v[4:5], v[8:9] op_sel_hi:[0,1,1]
	s_waitcnt lgkmcnt(0)
	v_pk_fma_f32 v[4:5], v[12:13], v[64:65], v[4:5] op_sel_hi:[0,1,1]
	v_mad_u64_u32 v[2:3], s[50:51], v2, s29, v[62:63]
	v_div_scale_f32 v6, s[50:51], v11, v11, v5
	v_lshl_add_u32 v2, v2, 6, v18
	v_rcp_f32_e32 v7, v6
	v_ashrrev_i32_e32 v3, 31, v2
	v_lshlrev_b64 v[2:3], 3, v[2:3]
	v_mov_b32_e32 v1, s7
	v_add_co_u32_e32 v2, vcc, s57, v2
	v_addc_co_u32_e32 v3, vcc, v1, v3, vcc
	v_fma_f32 v1, -v6, v7, 1.0
	v_fmac_f32_e32 v7, v1, v7
	v_div_scale_f32 v1, vcc, v5, v11, v5
	v_mul_f32_e32 v8, v1, v7
	v_fma_f32 v9, -v6, v8, v1
	v_fmac_f32_e32 v8, v9, v7
	v_fma_f32 v1, -v6, v8, v1
	v_div_scale_f32 v6, s[50:51], v11, v11, v4
	v_rcp_f32_e32 v9, v6
	v_div_fmas_f32 v1, v1, v7, v8
	v_div_fixup_f32 v5, v1, v11, v5
	v_fma_f32 v1, -v6, v9, 1.0
	v_fmac_f32_e32 v9, v1, v9
	v_div_scale_f32 v1, vcc, v4, v11, v4
	v_mul_f32_e32 v7, v1, v9
	v_fma_f32 v8, -v6, v7, v1
	v_fmac_f32_e32 v7, v8, v9
	v_fma_f32 v1, -v6, v7, v1
	v_div_fmas_f32 v1, v1, v9, v7
	v_div_fixup_f32 v4, v1, v11, v4
	v_mov_b32_e32 v1, 0
	global_store_dwordx2 v[2:3], v[4:5], off
.LBB24_222:                             ;   in Loop: Header=BB24_14 Depth=1
	s_or_b64 exec, exec, s[10:11]
	v_cmp_gt_i32_e32 vcc, s6, v1
	s_mov_b64 s[10:11], -1
	s_and_saveexec_b64 s[72:73], vcc
; %bb.223:                              ;   in Loop: Header=BB24_14 Depth=1
	v_cmp_eq_u32_e32 vcc, 0, v1
	s_orn2_b64 s[10:11], vcc, exec
; %bb.224:                              ;   in Loop: Header=BB24_14 Depth=1
	s_or_b64 exec, exec, s[72:73]
	s_and_b64 exec, exec, s[10:11]
	s_cbranch_execz .LBB24_12
; %bb.225:                              ;   in Loop: Header=BB24_14 Depth=1
	v_add_u32_e32 v2, s74, v175
	v_or_b32_e32 v1, s64, v52
	v_cmp_gt_i32_e32 vcc, s28, v2
	v_cmp_gt_i32_e64 s[10:11], s33, v1
	s_and_b64 s[50:51], vcc, s[10:11]
	v_mov_b32_e32 v1, 0x47
	s_and_saveexec_b64 s[10:11], s[50:51]
	s_cbranch_execz .LBB24_227
; %bb.226:                              ;   in Loop: Header=BB24_14 Depth=1
	v_add_u32_e32 v1, 0, v129
	ds_read2st64_b32 v[4:5], v130 offset1:17
	ds_read2st64_b32 v[6:7], v1 offset0:18 offset1:35
	ds_read2st64_b32 v[8:9], v130 offset0:34 offset1:51
	ds_read2_b32 v[10:11], v1 offset0:64 offset1:65
	ds_read_b32 v12, v1 offset:13312
	s_waitcnt lgkmcnt(4)
	v_cvt_f32_f16_sdwa v15, v4 dst_sel:DWORD dst_unused:UNUSED_PAD src0_sel:WORD_1
	v_cvt_f32_f16_e32 v14, v4
	v_cvt_f32_f16_sdwa v17, v5 dst_sel:DWORD dst_unused:UNUSED_PAD src0_sel:WORD_1
	v_cvt_f32_f16_e32 v16, v5
	s_waitcnt lgkmcnt(2)
	v_cvt_f32_f16_sdwa v5, v8 dst_sel:DWORD dst_unused:UNUSED_PAD src0_sel:WORD_1
	v_cvt_f32_f16_e32 v4, v8
	v_cvt_f32_f16_sdwa v65, v9 dst_sel:DWORD dst_unused:UNUSED_PAD src0_sel:WORD_1
	v_cvt_f32_f16_e32 v64, v9
	s_waitcnt lgkmcnt(1)
	v_pk_fma_f32 v[14:15], v[10:11], v[14:15], 0 op_sel_hi:[0,1,0]
	v_pk_fma_f32 v[8:9], v[6:7], v[16:17], v[14:15] op_sel_hi:[0,1,1]
	v_mov_b32_e32 v6, v7
	v_pk_fma_f32 v[4:5], v[6:7], v[4:5], v[8:9] op_sel_hi:[0,1,1]
	s_waitcnt lgkmcnt(0)
	v_pk_fma_f32 v[4:5], v[12:13], v[64:65], v[4:5] op_sel_hi:[0,1,1]
	v_mad_u64_u32 v[2:3], s[50:51], v2, s29, v[52:53]
	v_div_scale_f32 v6, s[50:51], v11, v11, v5
	v_lshl_add_u32 v2, v2, 6, v18
	v_rcp_f32_e32 v7, v6
	v_ashrrev_i32_e32 v3, 31, v2
	v_lshlrev_b64 v[2:3], 3, v[2:3]
	v_mov_b32_e32 v1, s7
	v_add_co_u32_e32 v2, vcc, s57, v2
	v_addc_co_u32_e32 v3, vcc, v1, v3, vcc
	v_fma_f32 v1, -v6, v7, 1.0
	v_fmac_f32_e32 v7, v1, v7
	v_div_scale_f32 v1, vcc, v5, v11, v5
	v_mul_f32_e32 v8, v1, v7
	v_fma_f32 v9, -v6, v8, v1
	v_fmac_f32_e32 v8, v9, v7
	v_fma_f32 v1, -v6, v8, v1
	v_div_scale_f32 v6, s[50:51], v11, v11, v4
	v_rcp_f32_e32 v9, v6
	v_div_fmas_f32 v1, v1, v7, v8
	v_div_fixup_f32 v5, v1, v11, v5
	v_fma_f32 v1, -v6, v9, 1.0
	v_fmac_f32_e32 v9, v1, v9
	v_div_scale_f32 v1, vcc, v4, v11, v4
	v_mul_f32_e32 v7, v1, v9
	v_fma_f32 v8, -v6, v7, v1
	v_fmac_f32_e32 v7, v8, v9
	v_fma_f32 v1, -v6, v7, v1
	v_div_fmas_f32 v1, v1, v9, v7
	v_div_fixup_f32 v4, v1, v11, v4
	v_mov_b32_e32 v1, 0
	global_store_dwordx2 v[2:3], v[4:5], off
.LBB24_227:                             ;   in Loop: Header=BB24_14 Depth=1
	s_or_b64 exec, exec, s[10:11]
	v_cmp_gt_i32_e32 vcc, s6, v1
	s_mov_b64 s[10:11], -1
	s_and_saveexec_b64 s[72:73], vcc
; %bb.228:                              ;   in Loop: Header=BB24_14 Depth=1
	v_cmp_eq_u32_e32 vcc, 0, v1
	s_orn2_b64 s[10:11], vcc, exec
; %bb.229:                              ;   in Loop: Header=BB24_14 Depth=1
	s_or_b64 exec, exec, s[72:73]
	s_and_b64 exec, exec, s[10:11]
	s_cbranch_execz .LBB24_12
; %bb.230:                              ;   in Loop: Header=BB24_14 Depth=1
	v_add_u32_e32 v2, s74, v131
	v_cmp_gt_i32_e32 vcc, s28, v2
	s_and_b64 s[10:11], vcc, s[8:9]
	v_mov_b32_e32 v1, 0x47
	s_and_saveexec_b64 s[8:9], s[10:11]
	s_cbranch_execz .LBB24_232
; %bb.231:                              ;   in Loop: Header=BB24_14 Depth=1
	v_add_u32_e32 v1, 0, v132
	ds_read2st64_b32 v[4:5], v133 offset1:17
	ds_read2st64_b32 v[6:7], v1 offset0:18 offset1:35
	ds_read2st64_b32 v[8:9], v133 offset0:34 offset1:51
	ds_read2_b32 v[10:11], v1 offset0:64 offset1:65
	ds_read_b32 v12, v1 offset:13312
	s_waitcnt lgkmcnt(4)
	v_cvt_f32_f16_sdwa v15, v4 dst_sel:DWORD dst_unused:UNUSED_PAD src0_sel:WORD_1
	v_cvt_f32_f16_e32 v14, v4
	v_cvt_f32_f16_sdwa v17, v5 dst_sel:DWORD dst_unused:UNUSED_PAD src0_sel:WORD_1
	v_cvt_f32_f16_e32 v16, v5
	s_waitcnt lgkmcnt(2)
	v_cvt_f32_f16_sdwa v5, v8 dst_sel:DWORD dst_unused:UNUSED_PAD src0_sel:WORD_1
	v_cvt_f32_f16_e32 v4, v8
	v_cvt_f32_f16_sdwa v65, v9 dst_sel:DWORD dst_unused:UNUSED_PAD src0_sel:WORD_1
	v_cvt_f32_f16_e32 v64, v9
	s_waitcnt lgkmcnt(1)
	v_pk_fma_f32 v[14:15], v[10:11], v[14:15], 0 op_sel_hi:[0,1,0]
	v_pk_fma_f32 v[8:9], v[6:7], v[16:17], v[14:15] op_sel_hi:[0,1,1]
	v_mov_b32_e32 v6, v7
	v_pk_fma_f32 v[4:5], v[6:7], v[4:5], v[8:9] op_sel_hi:[0,1,1]
	s_waitcnt lgkmcnt(0)
	v_pk_fma_f32 v[4:5], v[12:13], v[64:65], v[4:5] op_sel_hi:[0,1,1]
	v_mad_u64_u32 v[2:3], s[10:11], v2, s29, v[62:63]
	v_div_scale_f32 v6, s[10:11], v11, v11, v5
	v_lshl_add_u32 v2, v2, 6, v18
	v_rcp_f32_e32 v7, v6
	v_ashrrev_i32_e32 v3, 31, v2
	v_lshlrev_b64 v[2:3], 3, v[2:3]
	v_mov_b32_e32 v1, s7
	v_add_co_u32_e32 v2, vcc, s57, v2
	v_addc_co_u32_e32 v3, vcc, v1, v3, vcc
	v_fma_f32 v1, -v6, v7, 1.0
	v_fmac_f32_e32 v7, v1, v7
	v_div_scale_f32 v1, vcc, v5, v11, v5
	v_mul_f32_e32 v8, v1, v7
	v_fma_f32 v9, -v6, v8, v1
	v_fmac_f32_e32 v8, v9, v7
	v_fma_f32 v1, -v6, v8, v1
	v_div_scale_f32 v6, s[10:11], v11, v11, v4
	v_rcp_f32_e32 v9, v6
	v_div_fmas_f32 v1, v1, v7, v8
	v_div_fixup_f32 v5, v1, v11, v5
	v_fma_f32 v1, -v6, v9, 1.0
	v_fmac_f32_e32 v9, v1, v9
	v_div_scale_f32 v1, vcc, v4, v11, v4
	v_mul_f32_e32 v7, v1, v9
	v_fma_f32 v8, -v6, v7, v1
	v_fmac_f32_e32 v7, v8, v9
	v_fma_f32 v1, -v6, v7, v1
	v_div_fmas_f32 v1, v1, v9, v7
	v_div_fixup_f32 v4, v1, v11, v4
	v_mov_b32_e32 v1, 0
	global_store_dwordx2 v[2:3], v[4:5], off
.LBB24_232:                             ;   in Loop: Header=BB24_14 Depth=1
	s_or_b64 exec, exec, s[8:9]
	v_cmp_gt_i32_e32 vcc, s6, v1
	s_mov_b64 s[8:9], -1
	s_and_saveexec_b64 s[10:11], vcc
; %bb.233:                              ;   in Loop: Header=BB24_14 Depth=1
	v_cmp_eq_u32_e32 vcc, 0, v1
	s_orn2_b64 s[8:9], vcc, exec
; %bb.234:                              ;   in Loop: Header=BB24_14 Depth=1
	s_or_b64 exec, exec, s[10:11]
	s_and_b64 exec, exec, s[8:9]
	s_cbranch_execz .LBB24_12
; %bb.235:                              ;   in Loop: Header=BB24_14 Depth=1
	v_add_u32_e32 v1, s74, v176
	v_or_b32_e32 v2, s64, v54
	v_cmp_gt_i32_e32 vcc, s28, v1
	v_cmp_gt_i32_e64 s[8:9], s33, v2
	s_and_b64 s[8:9], vcc, s[8:9]
	s_and_b64 exec, exec, s[8:9]
	s_cbranch_execz .LBB24_12
; %bb.236:                              ;   in Loop: Header=BB24_14 Depth=1
	v_add_u32_e32 v12, 0, v134
	ds_read2st64_b32 v[4:5], v135 offset1:17
	ds_read2st64_b32 v[6:7], v12 offset0:18 offset1:35
	ds_read2st64_b32 v[8:9], v135 offset0:34 offset1:51
	ds_read2_b32 v[10:11], v12 offset0:64 offset1:65
	ds_read_b32 v12, v12 offset:13312
	s_waitcnt lgkmcnt(4)
	v_cvt_f32_f16_sdwa v15, v4 dst_sel:DWORD dst_unused:UNUSED_PAD src0_sel:WORD_1
	v_cvt_f32_f16_e32 v14, v4
	v_cvt_f32_f16_sdwa v17, v5 dst_sel:DWORD dst_unused:UNUSED_PAD src0_sel:WORD_1
	v_cvt_f32_f16_e32 v16, v5
	s_waitcnt lgkmcnt(2)
	v_cvt_f32_f16_sdwa v5, v8 dst_sel:DWORD dst_unused:UNUSED_PAD src0_sel:WORD_1
	v_cvt_f32_f16_e32 v4, v8
	v_cvt_f32_f16_sdwa v65, v9 dst_sel:DWORD dst_unused:UNUSED_PAD src0_sel:WORD_1
	v_cvt_f32_f16_e32 v64, v9
	s_waitcnt lgkmcnt(1)
	v_pk_fma_f32 v[14:15], v[10:11], v[14:15], 0 op_sel_hi:[0,1,0]
	v_pk_fma_f32 v[8:9], v[6:7], v[16:17], v[14:15] op_sel_hi:[0,1,1]
	v_mov_b32_e32 v6, v7
	v_pk_fma_f32 v[4:5], v[6:7], v[4:5], v[8:9] op_sel_hi:[0,1,1]
	s_waitcnt lgkmcnt(0)
	v_pk_fma_f32 v[4:5], v[12:13], v[64:65], v[4:5] op_sel_hi:[0,1,1]
	v_mad_u64_u32 v[2:3], s[8:9], v1, s29, v[54:55]
	v_mov_b32_e32 v1, s7
	v_div_scale_f32 v6, s[6:7], v11, v11, v5
	v_lshl_add_u32 v2, v2, 6, v18
	v_rcp_f32_e32 v7, v6
	v_ashrrev_i32_e32 v3, 31, v2
	v_lshlrev_b64 v[2:3], 3, v[2:3]
	v_add_co_u32_e32 v2, vcc, s57, v2
	v_addc_co_u32_e32 v3, vcc, v1, v3, vcc
	v_fma_f32 v1, -v6, v7, 1.0
	v_fmac_f32_e32 v7, v1, v7
	v_div_scale_f32 v1, vcc, v5, v11, v5
	v_mul_f32_e32 v8, v1, v7
	v_fma_f32 v9, -v6, v8, v1
	v_fmac_f32_e32 v8, v9, v7
	v_fma_f32 v1, -v6, v8, v1
	v_div_scale_f32 v6, s[6:7], v11, v11, v4
	v_rcp_f32_e32 v9, v6
	v_div_fmas_f32 v1, v1, v7, v8
	v_div_fixup_f32 v5, v1, v11, v5
	v_fma_f32 v1, -v6, v9, 1.0
	v_fmac_f32_e32 v9, v1, v9
	v_div_scale_f32 v1, vcc, v4, v11, v4
	v_mul_f32_e32 v7, v1, v9
	v_fma_f32 v8, -v6, v7, v1
	v_fmac_f32_e32 v7, v8, v9
	v_fma_f32 v1, -v6, v7, v1
	v_div_fmas_f32 v1, v1, v9, v7
	v_div_fixup_f32 v4, v1, v11, v4
	global_store_dwordx2 v[2:3], v[4:5], off
	s_branch .LBB24_12
.LBB24_237:
	v_readlane_b32 s49, v218, 13
	v_readlane_b32 s35, v218, 8
	;; [unrolled: 1-line block ×5, first 2 shown]
	s_andn2_b64 vcc, exec, s[8:9]
	s_cbranch_vccnz .LBB24_10
.LBB24_238:
	v_readlane_b32 s6, v218, 3
	s_abs_i32 s0, s6
	v_cvt_f32_u32_e32 v1, s0
	s_sub_i32 s3, 0, s0
	s_abs_i32 s2, s52
	s_xor_b32 s1, s52, s6
	v_rcp_iflag_f32_e32 v1, v1
	s_ashr_i32 s1, s1, 31
	v_readlane_b32 s8, v218, 2
	v_readlane_b32 s9, v218, 1
	v_mul_f32_e32 v1, 0x4f7ffffe, v1
	v_cvt_u32_f32_e32 v1, v1
	v_mov_b32_e32 v16, s77
	v_readfirstlane_b32 s4, v1
	s_mul_i32 s3, s3, s4
	s_mul_hi_u32 s3, s4, s3
	s_add_i32 s4, s4, s3
	s_mul_hi_u32 s3, s2, s4
	s_mul_i32 s4, s3, s0
	s_sub_i32 s2, s2, s4
	s_add_i32 s5, s3, 1
	s_sub_i32 s4, s2, s0
	s_cmp_ge_u32 s2, s0
	s_cselect_b32 s3, s5, s3
	s_cselect_b32 s2, s4, s2
	s_add_i32 s4, s3, 1
	s_cmp_ge_u32 s2, s0
	s_cselect_b32 s0, s4, s3
	s_abs_i32 s2, s8
	v_cvt_f32_u32_e32 v1, s2
	s_xor_b32 s0, s0, s1
	s_sub_i32 s4, s0, s1
	s_sub_i32 s3, 0, s2
	v_rcp_iflag_f32_e32 v1, v1
	s_mul_i32 s0, s4, s6
	s_sub_i32 s0, s52, s0
	s_abs_i32 s5, s0
	v_mul_f32_e32 v1, 0x4f7ffffe, v1
	v_cvt_u32_f32_e32 v1, v1
	s_xor_b32 s1, s0, s8
	s_ashr_i32 s1, s1, 31
	v_readfirstlane_b32 s6, v1
	s_mul_i32 s3, s3, s6
	s_mul_hi_u32 s3, s6, s3
	s_add_i32 s6, s6, s3
	s_mul_hi_u32 s3, s5, s6
	s_mul_i32 s6, s3, s2
	s_sub_i32 s5, s5, s6
	s_add_i32 s7, s3, 1
	s_sub_i32 s6, s5, s2
	s_cmp_ge_u32 s5, s2
	s_cselect_b32 s3, s7, s3
	s_cselect_b32 s5, s6, s5
	s_add_i32 s6, s3, 1
	s_cmp_ge_u32 s5, s2
	s_cselect_b32 s2, s6, s3
	s_abs_i32 s3, s9
	v_cvt_f32_u32_e32 v1, s3
	s_xor_b32 s2, s2, s1
	s_sub_i32 s6, 0, s3
	s_sub_i32 s5, s2, s1
	v_rcp_iflag_f32_e32 v1, v1
	s_mul_i32 s1, s5, s8
	s_sub_i32 s1, s0, s1
	s_abs_i32 s2, s1
	v_mul_f32_e32 v1, 0x4f7ffffe, v1
	v_cvt_u32_f32_e32 v1, v1
	s_xor_b32 s0, s1, s9
	s_ashr_i32 s0, s0, 31
	v_readfirstlane_b32 s7, v1
	s_mul_i32 s6, s6, s7
	s_mul_hi_u32 s6, s7, s6
	s_add_i32 s7, s7, s6
	s_mul_hi_u32 s6, s2, s7
	s_mul_i32 s7, s6, s3
	s_sub_i32 s2, s2, s7
	s_add_i32 s8, s6, 1
	s_sub_i32 s7, s2, s3
	s_cmp_ge_u32 s2, s3
	s_cselect_b32 s6, s8, s6
	s_cselect_b32 s2, s7, s2
	s_add_i32 s7, s6, 1
	s_cmp_ge_u32 s2, s3
	s_cselect_b32 s2, s7, s6
	s_xor_b32 s2, s2, s0
	s_sub_i32 s0, s2, s0
	s_mul_i32 s2, s0, s9
	s_sub_i32 s1, s1, s2
	s_ashr_i32 s2, s1, 31
	s_abs_i32 s1, s1
	s_mul_hi_u32 s3, s1, s48
	s_mul_i32 s6, s3, s81
	s_sub_i32 s1, s1, s6
	s_xor_b32 s2, s2, s38
	s_add_i32 s6, s3, 1
	s_sub_i32 s7, s1, s81
	s_cmp_ge_u32 s1, s81
	s_cselect_b32 s3, s6, s3
	s_cselect_b32 s1, s7, s1
	s_add_i32 s6, s3, 1
	s_cmp_ge_u32 s1, s81
	s_cselect_b32 s1, s6, s3
	s_abs_i32 s6, s10
	v_cvt_f32_u32_e32 v1, s6
	s_xor_b32 s1, s1, s2
	s_sub_i32 s1, s1, s2
	s_cmp_eq_u64 s[22:23], 0
	v_rcp_iflag_f32_e32 v1, v1
	v_mul_f32_e32 v1, 0x4f7ffffe, v1
	v_cvt_u32_f32_e32 v1, v1
	v_readfirstlane_b32 s10, v1
	s_cbranch_scc1 .LBB24_240
; %bb.239:
	v_readlane_b32 s2, v218, 0
	s_mul_i32 s2, s4, s2
	s_add_i32 s2, s1, s2
	s_ashr_i32 s3, s2, 31
	s_lshl_b64 s[2:3], s[2:3], 2
	s_add_u32 s2, s22, s2
	s_addc_u32 s3, s23, s3
	v_mov_b32_e32 v1, 0
	global_load_dword v1, v1, s[2:3]
	s_waitcnt vmcnt(0)
	v_ashrrev_i32_e32 v2, 31, v1
	v_lshrrev_b32_e32 v2, 26, v2
	v_add_u32_e32 v1, v1, v2
	v_ashrrev_i32_e32 v1, 6, v1
	v_min_i32_e32 v16, s77, v1
.LBB24_240:
	v_readlane_b32 s20, v218, 4
	v_readlane_b32 s21, v218, 5
	s_mul_i32 s2, s5, s33
	s_lshl_b32 s0, s0, 1
	s_mul_i32 s3, s4, s21
	s_add_i32 s2, s0, s2
	s_ashr_i32 s7, s3, 31
	s_add_u32 s3, s12, s3
	s_mul_i32 s2, s2, s20
	s_addc_u32 s8, s13, s7
	s_ashr_i32 s9, s2, 31
	s_add_u32 s7, s3, s2
	s_addc_u32 s9, s8, s9
	s_lshl_b32 s8, s1, 3
	v_or_b32_e32 v1, s0, v63
	v_and_b32_e32 v46, 0x3ff, v0
	v_add_u32_e32 v0, s8, v75
	v_cmp_gt_i32_e64 s[0:1], s33, v1
	v_cmp_le_i32_e32 vcc, s28, v0
	s_xor_b64 s[0:1], s[0:1], -1
	s_or_b64 s[2:3], vcc, s[0:1]
	s_and_saveexec_b64 s[12:13], s[2:3]
	s_xor_b64 s[2:3], exec, s[12:13]
	s_cbranch_execz .LBB24_242
; %bb.241:
	s_movk_i32 s11, 0x44
	v_mad_u32_u24 v0, v51, s11, v46
	v_lshl_add_u32 v0, v0, 2, 0
	v_mov_b32_e32 v1, 0
	ds_write_b32 v0, v1
                                        ; implicit-def: $vgpr0
.LBB24_242:
	s_andn2_saveexec_b64 s[2:3], s[2:3]
	s_cbranch_execz .LBB24_244
; %bb.243:
	v_mul_lo_u32 v0, v0, s53
	v_mul_lo_u32 v1, v63, s51
	v_add3_u32 v0, v1, v46, v0
	v_ashrrev_i32_e32 v1, 31, v0
	v_lshlrev_b64 v[0:1], 3, v[0:1]
	v_mov_b32_e32 v2, s9
	v_add_co_u32_e32 v0, vcc, s7, v0
	v_addc_co_u32_e32 v1, vcc, v2, v1, vcc
	global_load_dwordx2 v[0:1], v[0:1], off
	s_movk_i32 s11, 0x44
	v_mad_u32_u24 v2, v51, s11, v46
	s_waitcnt vmcnt(0)
	v_cvt_f16_f32_e32 v0, v0
	v_cvt_f16_f32_e32 v1, v1
	v_pack_b32_f16 v0, v0, v1
	v_pk_mul_f16 v0, v57, v0
	v_lshl_add_u32 v1, v2, 2, 0
	ds_write_b32 v1, v0
.LBB24_244:
	s_or_b64 exec, exec, s[2:3]
	v_lshrrev_b32_e32 v0, 1, v73
	v_add_u32_e32 v0, s8, v0
	v_cmp_le_i32_e32 vcc, s28, v0
	s_sub_i32 s11, 0, s6
	s_or_b64 s[2:3], vcc, s[0:1]
	s_and_saveexec_b64 s[12:13], s[2:3]
	s_xor_b64 s[2:3], exec, s[12:13]
	s_cbranch_execz .LBB24_246
; %bb.245:
	s_movk_i32 s12, 0x44
	v_mad_u32_u24 v0, v73, s12, v46
	v_lshl_add_u32 v0, v0, 2, 0
	v_mov_b32_e32 v1, 0
	ds_write_b32 v0, v1
                                        ; implicit-def: $vgpr0
                                        ; implicit-def: $vgpr73
.LBB24_246:
	s_or_saveexec_b64 s[2:3], s[2:3]
	s_mul_i32 s11, s11, s10
	s_xor_b64 exec, exec, s[2:3]
	s_cbranch_execz .LBB24_248
; %bb.247:
	v_mul_lo_u32 v0, v0, s53
	v_mul_lo_u32 v1, v63, s51
	v_add3_u32 v0, v1, v46, v0
	v_ashrrev_i32_e32 v1, 31, v0
	v_lshlrev_b64 v[0:1], 3, v[0:1]
	v_mov_b32_e32 v2, s9
	v_add_co_u32_e32 v0, vcc, s7, v0
	v_addc_co_u32_e32 v1, vcc, v2, v1, vcc
	global_load_dwordx2 v[0:1], v[0:1], off
	s_movk_i32 s12, 0x44
	v_mad_u32_u24 v2, v73, s12, v46
	s_waitcnt vmcnt(0)
	v_cvt_f16_f32_e32 v0, v0
	v_cvt_f16_f32_e32 v1, v1
	v_pack_b32_f16 v0, v0, v1
	v_pk_mul_f16 v0, v57, v0
	v_lshl_add_u32 v1, v2, 2, 0
	ds_write_b32 v1, v0
.LBB24_248:
	s_or_b64 exec, exec, s[2:3]
	v_lshrrev_b32_e32 v0, 1, v67
	v_add_u32_e32 v0, s8, v0
	v_cmp_le_i32_e32 vcc, s28, v0
	s_mul_hi_u32 s12, s10, s11
	s_or_b64 s[2:3], vcc, s[0:1]
	s_and_saveexec_b64 s[20:21], s[2:3]
	s_xor_b64 s[2:3], exec, s[20:21]
	s_cbranch_execz .LBB24_250
; %bb.249:
	s_movk_i32 s11, 0x44
	v_mad_u32_u24 v0, v67, s11, v46
	v_lshl_add_u32 v0, v0, 2, 0
	v_mov_b32_e32 v1, 0
	ds_write_b32 v0, v1
                                        ; implicit-def: $vgpr0
                                        ; implicit-def: $vgpr67
.LBB24_250:
	s_or_saveexec_b64 s[2:3], s[2:3]
	s_abs_i32 s11, s4
	s_add_i32 s10, s10, s12
	s_xor_b64 exec, exec, s[2:3]
	s_cbranch_execz .LBB24_252
; %bb.251:
	v_mul_lo_u32 v0, v0, s53
	v_mul_lo_u32 v1, v63, s51
	v_add3_u32 v0, v1, v46, v0
	v_ashrrev_i32_e32 v1, 31, v0
	v_lshlrev_b64 v[0:1], 3, v[0:1]
	v_mov_b32_e32 v2, s9
	v_add_co_u32_e32 v0, vcc, s7, v0
	v_addc_co_u32_e32 v1, vcc, v2, v1, vcc
	global_load_dwordx2 v[0:1], v[0:1], off
	s_movk_i32 s12, 0x44
	v_mad_u32_u24 v2, v67, s12, v46
	s_waitcnt vmcnt(0)
	v_cvt_f16_f32_e32 v0, v0
	v_cvt_f16_f32_e32 v1, v1
	v_pack_b32_f16 v0, v0, v1
	v_pk_mul_f16 v0, v57, v0
	v_lshl_add_u32 v1, v2, 2, 0
	ds_write_b32 v1, v0
.LBB24_252:
	s_or_b64 exec, exec, s[2:3]
	v_lshrrev_b32_e32 v0, 1, v59
	v_add_u32_e32 v0, s8, v0
	v_cmp_le_i32_e32 vcc, s28, v0
	s_mul_hi_u32 s2, s11, s10
	s_or_b64 s[0:1], vcc, s[0:1]
	s_and_saveexec_b64 s[12:13], s[0:1]
	s_xor_b64 s[0:1], exec, s[12:13]
	s_cbranch_execz .LBB24_254
; %bb.253:
	s_movk_i32 s3, 0x44
	v_mad_u32_u24 v0, v59, s3, v46
	v_lshl_add_u32 v0, v0, 2, 0
	v_mov_b32_e32 v1, 0
	ds_write_b32 v0, v1
                                        ; implicit-def: $vgpr0
                                        ; implicit-def: $vgpr63
                                        ; implicit-def: $vgpr57
                                        ; implicit-def: $vgpr59
.LBB24_254:
	s_or_saveexec_b64 s[0:1], s[0:1]
	s_ashr_i32 s3, s4, 31
	s_xor_b64 exec, exec, s[0:1]
	s_cbranch_execz .LBB24_256
; %bb.255:
	v_mul_lo_u32 v0, v0, s53
	v_mul_lo_u32 v1, v63, s51
	v_add3_u32 v0, v1, v46, v0
	v_ashrrev_i32_e32 v1, 31, v0
	v_lshlrev_b64 v[0:1], 3, v[0:1]
	v_mov_b32_e32 v2, s9
	v_add_co_u32_e32 v0, vcc, s7, v0
	v_addc_co_u32_e32 v1, vcc, v2, v1, vcc
	global_load_dwordx2 v[0:1], v[0:1], off
	s_movk_i32 s7, 0x44
	v_mad_u32_u24 v2, v59, s7, v46
	s_waitcnt vmcnt(0)
	v_cvt_f16_f32_e32 v0, v0
	v_cvt_f16_f32_e32 v1, v1
	v_pack_b32_f16 v0, v0, v1
	v_pk_mul_f16 v0, v57, v0
	v_lshl_add_u32 v1, v2, 2, 0
	ds_write_b32 v1, v0
.LBB24_256:
	s_or_b64 exec, exec, s[0:1]
	s_mul_i32 s0, s4, s37
	s_mul_hi_u32 s1, s4, s36
	s_add_i32 s0, s1, s0
	s_mul_i32 s1, s3, s36
	v_readlane_b32 s12, v218, 6
	s_add_i32 s0, s0, s1
	s_mul_i32 s1, s4, s36
	v_readlane_b32 s13, v218, 7
	s_add_u32 s1, s14, s1
	s_mul_i32 s7, s5, s13
	s_addc_u32 s0, s15, s0
	s_ashr_i32 s9, s7, 31
	s_add_u32 s20, s1, s7
	s_mul_i32 s2, s2, s6
	s_addc_u32 s21, s0, s9
	s_sub_i32 s0, s11, s2
	s_sub_i32 s1, s0, s6
	s_cmp_ge_u32 s0, s6
	s_cselect_b32 s0, s1, s0
	s_sub_i32 s1, s0, s6
	s_cmp_ge_u32 s0, s6
	s_cselect_b32 s0, s1, s0
	s_xor_b32 s0, s0, s3
	s_sub_i32 s0, s0, s3
	s_ashr_i32 s1, s0, 31
	s_mul_i32 s2, s0, s47
	s_mul_hi_u32 s6, s0, s46
	s_add_i32 s2, s6, s2
	s_mul_i32 s1, s1, s46
	s_add_i32 s2, s2, s1
	s_mul_i32 s0, s0, s46
	s_add_u32 s18, s18, s0
	s_mul_i32 s0, s4, s45
	s_mul_hi_u32 s1, s4, s44
	s_addc_u32 s19, s19, s2
	s_add_i32 s0, s1, s0
	s_mul_i32 s3, s3, s44
	s_add_i32 s0, s0, s3
	s_mul_i32 s4, s4, s44
	s_add_u32 s1, s16, s4
	s_mul_i32 s5, s5, s39
	s_addc_u32 s0, s17, s0
	s_ashr_i32 s2, s5, 31
	s_add_u32 s6, s1, s5
	v_lshrrev_b32_e32 v1, 3, v46
	s_addc_u32 s7, s0, s2
	v_and_b32_e32 v40, 0xff0, v53
	s_movk_i32 s0, 0x110
	v_and_b32_e32 v47, 15, v46
	v_and_b32_e32 v48, 0x7e, v1
	v_mad_u32_u24 v0, v40, s0, 0
	v_mul_u32_u24_e32 v72, 0x110, v47
	v_lshlrev_b32_e32 v73, 2, v48
	v_add3_u32 v0, v0, v72, v73
	v_add_u32_e32 v88, -1, v16
	v_lshrrev_b32_e32 v16, 5, v46
	s_waitcnt lgkmcnt(0)
	s_barrier
	ds_read2_b64 v[12:15], v0 offset1:4
	ds_read2_b64 v[8:11], v0 offset0:8 offset1:12
	ds_read2_b64 v[4:7], v0 offset0:16 offset1:20
	;; [unrolled: 1-line block ×3, first 2 shown]
	v_lshl_add_u32 v38, v51, 1, v16
	v_add_u32_e32 v16, s8, v38
	v_mul_hi_u32 v17, s42, v16
	v_add_u32_e32 v17, v16, v17
	v_lshrrev_b32_e32 v17, s43, v17
	v_cmp_lt_i32_e32 vcc, s72, v88
	v_mul_lo_u32 v17, v17, s28
	v_sub_u32_e32 v41, v16, v17
	s_waitcnt lgkmcnt(0)
	s_barrier
	s_cbranch_vccnz .LBB24_259
; %bb.257:
	v_lshrrev_b32_e32 v18, 4, v46
	v_lshlrev_b32_e32 v19, 2, v46
	v_add_u32_e32 v18, v18, v53
	v_and_b32_e32 v26, 60, v19
	v_mov_b32_e32 v19, 0x1100
	v_mad_u32_u24 v76, v18, s0, v19
	v_mov_b32_e32 v19, 0x2200
	v_mad_u32_u24 v77, v18, s0, v19
	v_mov_b32_e32 v19, 0x3300
	v_lshlrev_b32_e32 v49, 4, v51
	v_lshrrev_b32_e32 v39, 2, v46
	v_mad_u32_u24 v78, v18, s0, v19
	v_and_b32_e32 v19, 48, v49
	v_and_b32_e32 v42, 0xfc, v39
	v_and_or_b32 v20, v46, 14, v40
	v_mul_u32_u24_e32 v75, 0x110, v18
	v_mul_lo_u32 v30, s34, v18
	s_lshl_b32 s1, s34, 4
	v_mul_u32_u24_e32 v82, 0x110, v19
	v_lshrrev_b32_e32 v20, 1, v20
	v_add_u16_e32 v19, v19, v42
	v_mul_lo_u32 v18, s30, v18
	s_lshl_b32 s0, s30, 4
	v_add_u32_e32 v32, s1, v30
	v_mul_u32_u24_e32 v80, 0x90, v20
	v_lshrrev_b16_e32 v66, 1, v19
	v_mbcnt_lo_u32_b32 v19, -1, 0
	v_add_u32_e32 v20, s0, v18
	v_add_u32_e32 v34, s1, v32
	v_mbcnt_hi_u32_b32 v84, -1, v19
	v_add_u32_e32 v22, s0, v20
	v_mul_u32_u24_e32 v43, 0x88, v42
	v_lshlrev_b32_e32 v16, 1, v46
	v_mov_b32_e32 v17, 0
	v_add_u32_e32 v36, s1, v34
	v_and_b32_e32 v19, 64, v84
	v_add_u32_e32 v24, s0, v22
	v_or_b32_e32 v52, v43, v47
	v_or_b32_e32 v39, 3, v39
	v_and_b32_e32 v16, 62, v16
	s_mov_b32 s2, 0
	v_mad_i64_i32 v[28:29], s[4:5], v41, s40, 0
	s_ashr_i32 s15, s34, 31
	v_mov_b32_e32 v27, v17
	v_ashrrev_i32_e32 v31, 31, v30
	v_ashrrev_i32_e32 v33, 31, v32
	;; [unrolled: 1-line block ×4, first 2 shown]
	v_or_b32_e32 v69, 1, v66
	v_add_u32_e32 v85, 64, v19
	v_xor_b32_e32 v86, 32, v84
	v_xor_b32_e32 v87, 16, v84
	s_ashr_i32 s13, s30, 31
	v_ashrrev_i32_e32 v19, 31, v18
	v_ashrrev_i32_e32 v21, 31, v20
	;; [unrolled: 1-line block ×4, first 2 shown]
	v_mul_u32_u24_e32 v54, 0x110, v42
	v_add_u32_e32 v56, 0x110, v52
	v_mul_u32_u24_e32 v57, 0x110, v39
	s_mov_b64 s[0:1], 0
	s_mov_b32 s3, 0xfeffffff
	s_branch .LBB24_260
.LBB24_258:
                                        ; implicit-def: $sgpr56_sgpr57
	s_load_dwordx2 s[42:43], s[4:5], 0x5c
	s_branch .LBB24_7
.LBB24_259:
	s_mov_b64 s[0:1], -1
                                        ; implicit-def: $sgpr2
                                        ; implicit-def: $sgpr3
                                        ; implicit-def: $vgpr16
                                        ; implicit-def: $vgpr28_vgpr29
                                        ; implicit-def: $vgpr75
                                        ; implicit-def: $vgpr26
                                        ; implicit-def: $vgpr30_vgpr31
                                        ; implicit-def: $vgpr76
                                        ; implicit-def: $vgpr32_vgpr33
                                        ; implicit-def: $vgpr77
                                        ; implicit-def: $vgpr34_vgpr35
                                        ; implicit-def: $vgpr78
                                        ; implicit-def: $vgpr36_vgpr37
                                        ; implicit-def: $vgpr49
                                        ; implicit-def: $vgpr82
                                        ; implicit-def: $vgpr80
                                        ; implicit-def: $vgpr66
                                        ; implicit-def: $vgpr69
                                        ; implicit-def: $vgpr84
                                        ; implicit-def: $vgpr85
                                        ; implicit-def: $vgpr86
                                        ; implicit-def: $vgpr87
                                        ; implicit-def: $vgpr18_vgpr19
                                        ; implicit-def: $vgpr20_vgpr21
                                        ; implicit-def: $vgpr22_vgpr23
                                        ; implicit-def: $vgpr24_vgpr25
                                        ; implicit-def: $vgpr52
                                        ; implicit-def: $vgpr54
                                        ; implicit-def: $vgpr56
                                        ; implicit-def: $vgpr57
                                        ; implicit-def: $sgpr14_sgpr15
                                        ; implicit-def: $sgpr12_sgpr13
.LBB24_260:
	v_mul_u32_u24_e32 v89, 0x90, v38
	s_andn2_b64 vcc, exec, s[0:1]
	v_mov_b32_e32 v79, s2
	v_mov_b32_e32 v39, s2
	;; [unrolled: 1-line block ×3, first 2 shown]
	v_lshlrev_b32_e32 v50, 1, v47
	v_mov_b32_e32 v83, s2
	v_mov_b32_e32 v74, s2
	;; [unrolled: 1-line block ×15, first 2 shown]
	s_cbranch_vccnz .LBB24_263
; %bb.261:
	v_mad_i64_i32 v[28:29], s[0:1], v41, s40, 0
	v_lshlrev_b32_e32 v16, 1, v46
	v_lshlrev_b64 v[18:19], 1, v[28:29]
	v_and_b32_e32 v16, 62, v16
	v_mov_b32_e32 v21, s19
	v_add_co_u32_e32 v18, vcc, s18, v18
	v_lshlrev_b32_e32 v20, 1, v16
	v_addc_co_u32_e32 v19, vcc, v21, v19, vcc
	v_add_co_u32_e32 v91, vcc, v18, v20
	v_addc_co_u32_e32 v92, vcc, 0, v19, vcc
	v_lshrrev_b32_e32 v18, 4, v46
	v_lshlrev_b32_e32 v19, 2, v46
	v_add_u32_e32 v18, v18, v53
	v_and_b32_e32 v26, 60, v19
	v_mul_u32_u24_e32 v75, 0x110, v18
	v_lshlrev_b32_e32 v19, 2, v26
	s_movk_i32 s0, 0x110
	v_add3_u32 v93, 0, v75, v19
	v_mov_b32_e32 v19, 0x1100
	v_mad_u32_u24 v76, v18, s0, v19
	v_mov_b32_e32 v19, 0x2200
	v_mad_u32_u24 v77, v18, s0, v19
	v_mov_b32_e32 v19, 0x3300
	v_lshlrev_b32_e32 v49, 4, v51
	v_lshrrev_b32_e32 v39, 2, v46
	v_mad_u32_u24 v78, v18, s0, v19
	v_and_b32_e32 v19, 48, v49
	v_and_b32_e32 v41, 0xfc, v39
	v_add3_u32 v90, 0, v89, v20
	v_mul_u32_u24_e32 v82, 0x110, v19
	v_mad_u32_u24 v38, v19, s0, 0
	v_and_or_b32 v20, v46, 14, v40
	v_add_u16_e32 v19, v19, v41
	v_lshrrev_b32_e32 v20, 1, v20
	v_lshrrev_b16_e32 v66, 1, v19
	v_mul_u32_u24_e32 v80, 0x90, v20
	v_lshlrev_b32_e32 v19, 2, v66
	v_add3_u32 v40, 0, v80, v19
	v_mbcnt_lo_u32_b32 v19, -1, 0
	v_mbcnt_hi_u32_b32 v84, -1, v19
	v_and_b32_e32 v19, 64, v84
	v_mul_lo_u32 v30, s34, v18
	s_lshl_b32 s1, s34, 4
	v_add_u32_e32 v85, 64, v19
	v_xor_b32_e32 v86, 32, v84
	v_mul_lo_u32 v18, s30, v18
	s_lshl_b32 s0, s30, 4
	v_add_u32_e32 v32, s1, v30
	v_cmp_lt_i32_e32 vcc, v86, v85
	v_xor_b32_e32 v87, 16, v84
	v_add_u32_e32 v20, s0, v18
	v_add_u32_e32 v34, s1, v32
	v_cndmask_b32_e32 v19, v84, v86, vcc
	v_cmp_lt_i32_e32 vcc, v87, v85
	v_add_u32_e32 v22, s0, v20
	v_mul_u32_u24_e32 v42, 0x88, v41
	v_mul_u32_u24_e32 v54, 0x110, v41
	v_or_b32_e32 v39, 3, v39
	v_mov_b32_e32 v17, 0
	v_add_u32_e32 v36, s1, v34
	v_lshlrev_b32_e32 v98, 2, v19
	v_cndmask_b32_e32 v19, v84, v87, vcc
	v_add_u32_e32 v24, s0, v22
	v_or_b32_e32 v52, v42, v47
	v_mul_u32_u24_e32 v57, 0x110, v39
	v_add3_u32 v101, v38, v54, v50
	s_ashr_i32 s15, s34, 31
	v_mov_b32_e32 v27, v17
	v_ashrrev_i32_e32 v31, 31, v30
	v_add_u32_e32 v94, 0x1100, v93
	v_ashrrev_i32_e32 v33, 31, v32
	v_add_u32_e32 v95, 0x2200, v93
	;; [unrolled: 2-line block ×3, first 2 shown]
	v_ashrrev_i32_e32 v37, 31, v36
	v_add3_u32 v97, v38, v72, v73
	v_or_b32_e32 v69, 1, v66
	v_lshlrev_b32_e32 v99, 2, v19
	s_ashr_i32 s13, s30, 31
	v_ashrrev_i32_e32 v19, 31, v18
	v_ashrrev_i32_e32 v21, 31, v20
	v_ashrrev_i32_e32 v23, 31, v22
	v_ashrrev_i32_e32 v25, 31, v24
	v_add_u32_e32 v56, 0x110, v52
	v_lshl_add_u32 v100, v52, 1, v38
	v_add3_u32 v102, v38, v57, v50
	v_add_u32_e32 v103, 32, v101
	v_add_u32_e32 v104, 64, v101
	;; [unrolled: 1-line block ×7, first 2 shown]
	s_lshl_b32 s16, s72, 6
	v_mov_b32_e32 v38, 0xfeffffff
	v_lshlrev_b32_e32 v110, 2, v26
	v_add_u32_e32 v111, 0x4400, v40
	s_mov_b32 s12, 0x3fb8aa3b
	s_mov_b32 s14, 0xc2ce8ed0
	;; [unrolled: 1-line block ×5, first 2 shown]
	v_mov_b32_e32 v112, 0x7f800000
	v_mov_b32_e32 v39, v17
	;; [unrolled: 1-line block ×18, first 2 shown]
.LBB24_262:                             ; =>This Inner Loop Header: Depth=1
	s_ashr_i32 s17, s16, 31
	s_mul_hi_i32 s1, s16, s34
	s_mul_i32 s0, s16, s34
	s_lshl_b64 s[4:5], s[16:17], 1
	s_lshl_b64 s[0:1], s[0:1], 2
	v_mov_b32_e32 v115, s5
	s_add_u32 s5, s20, s0
	v_add_co_u32_e32 v124, vcc, s4, v91
	v_lshlrev_b64 v[118:119], 2, v[32:33]
	v_addc_co_u32_e32 v125, vcc, v92, v115, vcc
	s_addc_u32 s4, s21, s1
	v_lshlrev_b64 v[116:117], 2, v[30:31]
	v_lshlrev_b64 v[120:121], 2, v[34:35]
	;; [unrolled: 1-line block ×3, first 2 shown]
	s_mul_hi_i32 s3, s16, s30
	s_mul_i32 s2, s16, s30
	global_load_dword v115, v[124:125], off
	v_mov_b32_e32 v125, s4
	v_add_co_u32_e32 v118, vcc, s5, v118
	s_lshl_b64 s[8:9], s[2:3], 2
	v_mov_b32_e32 v124, s4
	v_mov_b32_e32 v126, s4
	v_add_co_u32_e64 v127, s[0:1], s5, v120
	v_mov_b32_e32 v128, s4
	v_add_co_u32_e64 v122, s[2:3], s5, v122
	v_add_co_u32_e64 v116, s[4:5], s5, v116
	v_addc_co_u32_e32 v119, vcc, v125, v119, vcc
	v_addc_co_u32_e64 v117, s[4:5], v124, v117, s[4:5]
	v_add_co_u32_e32 v120, vcc, v118, v110
	v_addc_co_u32_e64 v118, s[0:1], v126, v121, s[0:1]
	v_addc_co_u32_e64 v123, s[2:3], v128, v123, s[2:3]
	v_add_co_u32_e64 v124, s[0:1], v127, v110
	v_add_co_u32_e64 v128, s[2:3], v122, v110
	;; [unrolled: 1-line block ×3, first 2 shown]
	v_addc_co_u32_e64 v117, s[4:5], 0, v117, s[4:5]
	v_addc_co_u32_e32 v121, vcc, 0, v119, vcc
	v_addc_co_u32_e64 v125, vcc, 0, v118, s[0:1]
	v_addc_co_u32_e64 v129, vcc, 0, v123, s[2:3]
	global_load_dwordx4 v[116:119], v[116:117], off
	s_nop 0
	global_load_dwordx4 v[120:123], v[120:121], off
	s_nop 0
	;; [unrolled: 2-line block ×3, first 2 shown]
	global_load_dwordx4 v[128:131], v[128:129], off
	s_add_u32 s8, s6, s8
	v_mov_b32_e32 v114, v38
	v_mov_b32_e32 v113, v39
	v_lshlrev_b64 v[38:39], 2, v[18:19]
	v_lshlrev_b64 v[40:41], 2, v[20:21]
	s_addc_u32 s9, s7, s9
	v_mov_b32_e32 v132, s9
	v_add_co_u32_e32 v133, vcc, s8, v38
	v_mov_b32_e32 v38, s9
	v_add_co_u32_e64 v40, s[0:1], s8, v40
	v_addc_co_u32_e32 v137, vcc, v132, v39, vcc
	v_addc_co_u32_e64 v138, vcc, v38, v41, s[0:1]
	v_add_co_u32_e64 v132, s[0:1], v40, v110
	v_lshlrev_b64 v[44:45], 2, v[22:23]
	v_lshlrev_b64 v[42:43], 2, v[24:25]
	v_mov_b32_e32 v134, s9
	v_add_co_u32_e64 v44, s[2:3], s8, v44
	v_mov_b32_e32 v135, s9
	v_add_co_u32_e64 v42, s[4:5], s8, v42
	v_addc_co_u32_e64 v139, vcc, v134, v45, s[2:3]
	v_add_co_u32_e64 v134, s[2:3], v44, v110
	s_add_i32 s72, s72, 1
	v_cmp_lt_i32_e64 s[8:9], s72, v88
	s_waitcnt vmcnt(4)
	ds_write_b32 v90, v115 offset:17408
	s_waitcnt vmcnt(3)
	ds_write_b128 v93, v[116:119]
	s_waitcnt vmcnt(2)
	ds_write_b128 v94, v[120:123]
	;; [unrolled: 2-line block ×4, first 2 shown]
	s_waitcnt lgkmcnt(0)
	s_barrier
	ds_read2_b64 v[38:41], v97 offset1:4
	s_waitcnt lgkmcnt(0)
	v_mfma_f32_16x16x16f16 v[116:119], v[38:39], v[12:13], 0
	v_addc_co_u32_e64 v115, vcc, v135, v43, s[4:5]
	v_add_co_u32_e64 v136, s[4:5], v42, v110
	ds_read2_b64 v[42:45], v97 offset0:8 offset1:12
	s_and_b64 vcc, exec, s[8:9]
	v_add_co_u32_e64 v120, s[8:9], v133, v110
	v_mfma_f32_16x16x16f16 v[38:41], v[40:41], v[14:15], v[116:119]
	v_addc_co_u32_e64 v121, s[8:9], 0, v137, s[8:9]
	v_addc_co_u32_e64 v133, s[0:1], 0, v138, s[0:1]
	;; [unrolled: 1-line block ×3, first 2 shown]
	s_nop 3
	ds_read2_b64 v[116:119], v97 offset0:24 offset1:28
	s_waitcnt lgkmcnt(1)
	v_mfma_f32_16x16x16f16 v[38:41], v[42:43], v[8:9], v[38:41]
	v_addc_co_u32_e64 v137, s[0:1], 0, v115, s[4:5]
	s_add_i32 s16, s16, 64
	v_mfma_f32_16x16x16f16 v[38:41], v[44:45], v[10:11], v[38:41]
	ds_read2_b64 v[42:45], v97 offset0:16 offset1:20
	s_waitcnt lgkmcnt(0)
	s_barrier
	global_load_dwordx4 v[120:123], v[120:121], off
	s_nop 0
	global_load_dwordx4 v[124:127], v[132:133], off
	global_load_dwordx4 v[128:131], v[134:135], off
	v_mfma_f32_16x16x16f16 v[38:41], v[42:43], v[4:5], v[38:41]
	v_mfma_f32_16x16x16f16 v[38:41], v[44:45], v[6:7], v[38:41]
	global_load_dwordx4 v[42:45], v[136:137], off
	v_mfma_f32_16x16x16f16 v[38:41], v[116:117], v[0:1], v[38:41]
	ds_read2_b32 v[116:117], v111 offset1:1
	s_waitcnt vmcnt(3)
	ds_write_b128 v93, v[120:123]
	s_waitcnt vmcnt(2)
	ds_write_b128 v94, v[124:127]
	;; [unrolled: 2-line block ×4, first 2 shown]
	v_mfma_f32_16x16x16f16 v[38:41], v[118:119], v[2:3], v[38:41]
	s_waitcnt lgkmcnt(4)
	v_cvt_f32_f16_e32 v132, v116
	v_cvt_f32_f16_sdwa v133, v116 dst_sel:DWORD dst_unused:UNUSED_PAD src0_sel:WORD_1
	v_cvt_f32_f16_e32 v116, v117
	v_cvt_f32_f16_sdwa v117, v117 dst_sel:DWORD dst_unused:UNUSED_PAD src0_sel:WORD_1
	s_waitcnt lgkmcnt(0)
	s_barrier
	s_nop 3
	v_pk_add_f32 v[118:119], v[38:39], v[132:133]
	v_pk_add_f32 v[40:41], v[40:41], v[116:117]
	v_add_f32_e32 v38, 0x40051340, v118
	v_add_f32_e32 v39, 0x40051340, v119
	;; [unrolled: 1-line block ×4, first 2 shown]
	v_max3_f32 v38, v114, v38, v39
	v_max3_f32 v38, v38, v115, v116
	ds_bpermute_b32 v39, v98, v38
	ds_read_u16 v42, v103 offset:544
	ds_read_u16 v43, v104 offset:272
	;; [unrolled: 1-line block ×7, first 2 shown]
	ds_read_u16 v116, v102
	ds_read_u16 v117, v102 offset:32
	ds_read_u16 v120, v102 offset:64
	;; [unrolled: 1-line block ×6, first 2 shown]
	ds_read_u16 v121, v100
	ds_read_u16 v127, v100 offset:32
	ds_read_u16 v129, v100 offset:64
	;; [unrolled: 1-line block ×17, first 2 shown]
	s_waitcnt lgkmcnt(14)
	v_perm_b32 v44, v44, v121, s24
	v_perm_b32 v117, v117, v42, s24
	;; [unrolled: 1-line block ×3, first 2 shown]
	v_max_f32_e32 v39, v39, v39
	v_max_f32_e32 v38, v38, v39
	ds_bpermute_b32 v39, v99, v38
	v_perm_b32 v120, v43, v129, s24
	v_perm_b32 v123, v124, v123, s24
	s_waitcnt lgkmcnt(10)
	v_perm_b32 v124, v135, v131, s24
	s_waitcnt lgkmcnt(5)
	;; [unrolled: 2-line block ×3, first 2 shown]
	v_max_f32_e32 v39, v39, v39
	v_max_f32_e32 v38, v38, v39
	v_pk_add_f32 v[42:43], v[118:119], v[38:39] op_sel_hi:[1,0] neg_lo:[0,1] neg_hi:[0,1]
	v_pk_add_f32 v[40:41], v[40:41], v[38:39] op_sel_hi:[1,0] neg_lo:[0,1] neg_hi:[0,1]
	v_sub_f32_e32 v39, v114, v38
	v_mul_f32_e32 v114, 0x3fb8aa3b, v43
	v_mul_f32_e32 v115, 0x3fb8aa3b, v42
	;; [unrolled: 1-line block ×5, first 2 shown]
	v_perm_b32 v45, v116, v45, s24
	v_perm_b32 v116, v143, v127, s24
	;; [unrolled: 1-line block ×9, first 2 shown]
	v_fma_f32 v129, v43, s12, -v114
	v_rndne_f32_e32 v132, v114
	v_fma_f32 v133, v42, s12, -v115
	v_rndne_f32_e32 v136, v115
	;; [unrolled: 2-line block ×5, first 2 shown]
	v_fmac_f32_e32 v129, 0x32a5705f, v43
	v_sub_f32_e32 v114, v114, v132
	v_fmac_f32_e32 v133, 0x32a5705f, v42
	v_sub_f32_e32 v115, v115, v136
	;; [unrolled: 2-line block ×5, first 2 shown]
	v_add_f32_e32 v114, v114, v129
	v_add_f32_e32 v115, v115, v133
	;; [unrolled: 1-line block ×5, first 2 shown]
	v_cvt_i32_f32_e32 v132, v132
	v_cvt_i32_f32_e32 v136, v136
	;; [unrolled: 1-line block ×5, first 2 shown]
	v_exp_f32_e32 v114, v114
	v_exp_f32_e32 v115, v115
	v_exp_f32_e32 v118, v118
	v_exp_f32_e32 v119, v119
	v_exp_f32_e32 v128, v128
	v_ldexp_f32 v114, v114, v132
	v_ldexp_f32 v115, v115, v136
	v_cmp_ngt_f32_e64 s[0:1], s14, v42
	v_ldexp_f32 v118, v118, v138
	v_cmp_ngt_f32_e64 s[2:3], s14, v41
	;; [unrolled: 2-line block ×4, first 2 shown]
	v_cmp_ngt_f32_e64 s[10:11], s14, v43
	v_cndmask_b32_e64 v114, 0, v114, s[10:11]
	v_cndmask_b32_e64 v115, 0, v115, s[0:1]
	v_cmp_nlt_f32_e64 s[0:1], s22, v42
	v_cndmask_b32_e64 v42, 0, v118, s[2:3]
	v_cmp_nlt_f32_e64 s[2:3], s22, v41
	;; [unrolled: 2-line block ×4, first 2 shown]
	v_cmp_nlt_f32_e64 s[10:11], s22, v43
	v_cndmask_b32_e64 v43, v112, v114, s[10:11]
	v_cndmask_b32_e64 v114, v112, v115, s[0:1]
	v_cndmask_b32_e64 v40, v112, v40, s[8:9]
	v_cmp_le_f32_e64 s[0:1], s23, v39
	v_cndmask_b32_e64 v41, v112, v41, s[4:5]
	v_add_f32_e32 v39, v114, v43
	v_cndmask_b32_e64 v40, 0, v40, s[0:1]
	v_cvt_f16_f32_e32 v114, v114
	v_cvt_f16_f32_e32 v43, v43
	;; [unrolled: 1-line block ×3, first 2 shown]
	v_add_f32_e32 v39, v41, v39
	v_cvt_f16_f32_e32 v41, v40
	v_cndmask_b32_e64 v42, v112, v42, s[2:3]
	v_cvt_f16_f32_e32 v115, v42
	v_add_f32_e32 v39, v42, v39
	v_pack_b32_f16 v136, v114, v43
	v_pk_mul_f16 v43, v41, v79 op_sel_hi:[0,1]
	v_pk_mul_f16 v79, v41, v81 op_sel_hi:[0,1]
	;; [unrolled: 1-line block ×5, first 2 shown]
	v_fmac_f32_e32 v39, v113, v40
	v_pk_mul_f16 v42, v41, v83 op_sel_hi:[0,1]
	v_pk_mul_f16 v81, v41, v65 op_sel_hi:[0,1]
	;; [unrolled: 1-line block ×9, first 2 shown]
	v_cvt_f32_f16_e32 v58, v79
	v_cvt_f32_f16_sdwa v59, v79 dst_sel:DWORD dst_unused:UNUSED_PAD src0_sel:WORD_1
	v_cvt_f32_f16_e32 v60, v74
	v_cvt_f32_f16_sdwa v61, v74 dst_sel:DWORD dst_unused:UNUSED_PAD src0_sel:WORD_1
	;; [unrolled: 2-line block ×4, first 2 shown]
	v_pack_b32_f16 v137, v118, v115
	v_pk_mul_f16 v68, v41, v68 op_sel_hi:[0,1]
	v_pk_mul_f16 v67, v41, v67 op_sel_hi:[0,1]
	v_mfma_f32_16x16x16f16 v[58:61], v[116:117], v[136:137], v[58:61]
	v_cvt_f32_f16_e32 v114, v68
	v_cvt_f32_f16_sdwa v115, v68 dst_sel:DWORD dst_unused:UNUSED_PAD src0_sel:WORD_1
	v_cvt_f32_f16_e32 v116, v67
	v_cvt_f32_f16_sdwa v117, v67 dst_sel:DWORD dst_unused:UNUSED_PAD src0_sel:WORD_1
	;; [unrolled: 2-line block ×3, first 2 shown]
	v_cvt_f32_f16_e32 v40, v42
	v_mfma_f32_16x16x16f16 v[62:65], v[120:121], v[136:137], v[62:65]
	v_cvt_f32_f16_e32 v120, v83
	v_cvt_f32_f16_sdwa v121, v83 dst_sel:DWORD dst_unused:UNUSED_PAD src0_sel:WORD_1
	v_cvt_f32_f16_sdwa v41, v42 dst_sel:DWORD dst_unused:UNUSED_PAD src0_sel:WORD_1
	v_cvt_f32_f16_e32 v42, v43
	v_cvt_f32_f16_sdwa v43, v43 dst_sel:DWORD dst_unused:UNUSED_PAD src0_sel:WORD_1
	s_barrier
	v_mfma_f32_16x16x16f16 v[114:117], v[122:123], v[136:137], v[114:117]
	v_cvt_f32_f16_e32 v122, v113
	v_cvt_f32_f16_sdwa v123, v113 dst_sel:DWORD dst_unused:UNUSED_PAD src0_sel:WORD_1
	v_mfma_f32_16x16x16f16 v[118:121], v[124:125], v[136:137], v[118:121]
	v_cvt_f32_f16_e32 v124, v128
	v_cvt_f32_f16_sdwa v125, v128 dst_sel:DWORD dst_unused:UNUSED_PAD src0_sel:WORD_1
	v_cvt_f32_f16_e32 v128, v132
	s_nop 4
	v_cvt_f16_f32_e32 v67, v116
	v_cvt_f16_f32_e32 v113, v117
	s_nop 0
	v_cvt_f16_f32_e32 v116, v120
	v_mfma_f32_16x16x16f16 v[122:125], v[126:127], v[136:137], v[122:125]
	v_cvt_f32_f16_e32 v126, v129
	v_cvt_f32_f16_sdwa v127, v129 dst_sel:DWORD dst_unused:UNUSED_PAD src0_sel:WORD_1
	v_cvt_f32_f16_sdwa v129, v132 dst_sel:DWORD dst_unused:UNUSED_PAD src0_sel:WORD_1
	v_cvt_f32_f16_e32 v132, v138
	v_cvt_f16_f32_e32 v117, v121
	v_pack_b32_f16 v67, v67, v113
	s_nop 4
	v_cvt_f16_f32_e32 v120, v124
	v_mfma_f32_16x16x16f16 v[126:129], v[130:131], v[136:137], v[126:129]
	v_cvt_f32_f16_e32 v130, v133
	v_cvt_f32_f16_sdwa v131, v133 dst_sel:DWORD dst_unused:UNUSED_PAD src0_sel:WORD_1
	v_cvt_f32_f16_sdwa v133, v138 dst_sel:DWORD dst_unused:UNUSED_PAD src0_sel:WORD_1
	v_cvt_f16_f32_e32 v121, v125
	v_mfma_f32_16x16x16f16 v[40:43], v[44:45], v[136:137], v[40:43]
	v_cvt_f16_f32_e32 v44, v58
	v_cvt_f16_f32_e32 v45, v59
	;; [unrolled: 1-line block ×7, first 2 shown]
	v_mfma_f32_16x16x16f16 v[130:133], v[134:135], v[136:137], v[130:133]
	s_nop 2
	v_cvt_f16_f32_e32 v40, v40
	v_cvt_f16_f32_e32 v41, v41
	;; [unrolled: 1-line block ×19, first 2 shown]
	v_pack_b32_f16 v83, v40, v41
	v_pack_b32_f16 v79, v42, v43
	v_pack_b32_f16 v81, v44, v45
	v_pack_b32_f16 v74, v58, v59
	v_pack_b32_f16 v71, v60, v61
	v_pack_b32_f16 v70, v62, v63
	v_pack_b32_f16 v68, v64, v65
	v_pack_b32_f16 v65, v114, v115
	v_pack_b32_f16 v64, v116, v117
	v_pack_b32_f16 v63, v118, v119
	v_pack_b32_f16 v62, v120, v121
	v_pack_b32_f16 v61, v122, v123
	v_pack_b32_f16 v60, v124, v125
	v_pack_b32_f16 v59, v126, v127
	v_pack_b32_f16 v58, v128, v129
	s_cbranch_vccnz .LBB24_262
.LBB24_263:
	s_lshl_b32 s0, s72, 6
	s_ashr_i32 s1, s0, 31
	s_lshl_b64 s[2:3], s[0:1], 1
	s_add_u32 s2, s18, s2
	s_addc_u32 s3, s19, s3
	v_lshlrev_b64 v[28:29], 1, v[28:29]
	v_mov_b32_e32 v40, s3
	v_add_co_u32_e32 v41, vcc, s2, v28
	s_mul_i32 s2, s34, s1
	s_mul_hi_u32 s3, s34, s0
	s_add_i32 s2, s3, s2
	s_mul_i32 s3, s15, s0
	v_addc_co_u32_e32 v40, vcc, v40, v29, vcc
	v_lshlrev_b64 v[28:29], 1, v[16:17]
	s_add_i32 s3, s2, s3
	s_mul_i32 s2, s34, s0
	v_add_co_u32_e32 v28, vcc, v41, v28
	s_lshl_b64 s[2:3], s[2:3], 2
	v_addc_co_u32_e32 v29, vcc, v40, v29, vcc
	s_add_u32 s2, s20, s2
	global_load_dword v17, v[28:29], off
	s_addc_u32 s3, s21, s3
	v_lshlrev_b64 v[28:29], 2, v[30:31]
	v_mov_b32_e32 v30, s3
	v_add_co_u32_e32 v31, vcc, s2, v28
	v_addc_co_u32_e32 v30, vcc, v30, v29, vcc
	v_lshlrev_b64 v[28:29], 2, v[26:27]
	v_add_co_u32_e32 v44, vcc, v31, v28
	v_addc_co_u32_e32 v45, vcc, v30, v29, vcc
	v_lshlrev_b64 v[30:31], 2, v[32:33]
	v_mov_b32_e32 v27, s3
	v_add_co_u32_e32 v30, vcc, s2, v30
	v_addc_co_u32_e32 v27, vcc, v27, v31, vcc
	v_add_co_u32_e32 v90, vcc, v30, v28
	v_addc_co_u32_e32 v91, vcc, v27, v29, vcc
	v_lshlrev_b64 v[34:35], 2, v[34:35]
	v_mov_b32_e32 v27, s3
	v_add_co_u32_e32 v34, vcc, s2, v34
	v_addc_co_u32_e32 v27, vcc, v27, v35, vcc
	global_load_dwordx4 v[30:33], v[44:45], off
	global_load_dwordx4 v[40:43], v[90:91], off
	v_add_co_u32_e32 v44, vcc, v34, v28
	v_addc_co_u32_e32 v45, vcc, v27, v29, vcc
	v_lshlrev_b64 v[34:35], 2, v[36:37]
	v_mov_b32_e32 v27, s3
	v_add_co_u32_e32 v34, vcc, s2, v34
	v_addc_co_u32_e32 v27, vcc, v27, v35, vcc
	v_add_co_u32_e32 v94, vcc, v34, v28
	v_addc_co_u32_e32 v95, vcc, v27, v29, vcc
	global_load_dwordx4 v[34:37], v[44:45], off
	global_load_dwordx4 v[90:93], v[94:95], off
	v_lshlrev_b32_e32 v16, 1, v16
	v_add_u32_e32 v44, 0, v82
	v_lshlrev_b32_e32 v26, 2, v26
	v_add3_u32 v16, 0, v89, v16
	v_add3_u32 v72, v44, v72, v73
	;; [unrolled: 1-line block ×6, first 2 shown]
	v_lshlrev_b64 v[26:27], 2, v[18:19]
	s_mul_hi_u32 s3, s30, s0
	s_mul_i32 s1, s30, s1
	s_mul_i32 s4, s13, s0
	s_add_i32 s1, s3, s1
	s_mul_i32 s0, s30, s0
	s_add_i32 s1, s1, s4
	s_lshl_b64 s[0:1], s[0:1], 2
	v_cmp_lt_i32_e32 vcc, v86, v85
	s_add_u32 s0, s6, s0
	s_addc_u32 s1, s7, s1
	v_lshlrev_b64 v[24:25], 2, v[24:25]
	s_mov_b32 s2, 0x3fb8aa3b
	s_waitcnt vmcnt(4)
	ds_write_b32 v16, v17 offset:17408
	s_waitcnt vmcnt(3)
	ds_write_b128 v45, v[30:33]
	s_waitcnt vmcnt(2)
	ds_write_b128 v75, v[40:43]
	;; [unrolled: 2-line block ×4, first 2 shown]
	s_waitcnt lgkmcnt(0)
	s_barrier
	ds_read2_b64 v[30:33], v72 offset1:4
	s_waitcnt lgkmcnt(0)
	v_mfma_f32_16x16x16f16 v[34:37], v[30:31], v[12:13], 0
	ds_read2_b64 v[16:19], v72 offset0:8 offset1:12
	v_lshlrev_b64 v[30:31], 2, v[20:21]
	v_lshlrev_b64 v[40:41], 2, v[22:23]
	ds_read2_b64 v[20:23], v72 offset0:16 offset1:20
	v_cndmask_b32_e32 v43, v84, v86, vcc
	v_cmp_lt_i32_e32 vcc, v87, v85
	v_cndmask_b32_e32 v73, v84, v87, vcc
	v_mfma_f32_16x16x16f16 v[12:15], v[32:33], v[14:15], v[34:37]
	v_add_u32_e32 v42, 0, v80
	v_lshl_add_u32 v66, v66, 2, v42
	v_lshl_add_u32 v32, v69, 2, v42
	v_lshlrev_b32_e32 v33, 2, v73
	s_waitcnt lgkmcnt(1)
	v_mfma_f32_16x16x16f16 v[12:15], v[16:17], v[8:9], v[12:15]
	v_mov_b32_e32 v16, s1
	v_mov_b32_e32 v17, s1
	v_lshlrev_b32_e32 v35, 2, v43
	v_mfma_f32_16x16x16f16 v[8:11], v[18:19], v[10:11], v[12:15]
	v_add_co_u32_e32 v18, vcc, s0, v26
	v_addc_co_u32_e32 v16, vcc, v16, v27, vcc
	v_add_co_u32_e32 v19, vcc, s0, v30
	s_nop 3
	v_mov_b32_e32 v12, s1
	s_waitcnt lgkmcnt(0)
	v_mfma_f32_16x16x16f16 v[8:11], v[20:21], v[4:5], v[8:11]
	v_addc_co_u32_e32 v20, vcc, v12, v31, vcc
	v_mov_b32_e32 v13, s1
	v_add_co_u32_e32 v21, vcc, s0, v40
	v_addc_co_u32_e32 v26, vcc, v13, v41, vcc
	ds_read2_b64 v[12:15], v72 offset0:24 offset1:28
	v_mfma_f32_16x16x16f16 v[4:7], v[22:23], v[6:7], v[8:11]
	v_add_co_u32_e32 v22, vcc, s0, v24
	v_addc_co_u32_e32 v23, vcc, v17, v25, vcc
	s_waitcnt lgkmcnt(0)
	s_barrier
	v_mfma_f32_16x16x16f16 v[4:7], v[12:13], v[0:1], v[4:7]
	ds_read_b32 v17, v66 offset:17408
	s_nop 0
	ds_read_b32 v11, v32 offset:17408
	v_add_co_u32_e32 v8, vcc, v18, v28
	v_addc_co_u32_e32 v9, vcc, v16, v29, vcc
	s_waitcnt lgkmcnt(0)
	v_cvt_f32_f16_e32 v10, v11
	v_cvt_f32_f16_sdwa v11, v11 dst_sel:DWORD dst_unused:UNUSED_PAD src0_sel:WORD_1
	v_mfma_f32_16x16x16f16 v[0:3], v[14:15], v[2:3], v[4:7]
	v_cvt_f32_f16_e32 v12, v17
	v_cvt_f32_f16_sdwa v13, v17 dst_sel:DWORD dst_unused:UNUSED_PAD src0_sel:WORD_1
	s_mov_b32 s0, 0xc2ce8ed0
	s_mov_b32 s1, 0x42b17218
	s_nop 6
	v_pk_add_f32 v[16:17], v[2:3], v[10:11]
	v_pk_add_f32 v[10:11], v[0:1], v[12:13]
	v_add_f32_e32 v2, 0x40051340, v10
	v_add_f32_e32 v3, 0x40051340, v11
	;; [unrolled: 1-line block ×4, first 2 shown]
	v_max3_f32 v2, v38, v2, v3
	v_max3_f32 v0, v2, v0, v1
	ds_bpermute_b32 v1, v35, v0
	v_add_co_u32_e32 v12, vcc, v19, v28
	v_addc_co_u32_e32 v13, vcc, v20, v29, vcc
	s_waitcnt lgkmcnt(0)
	v_max_f32_e32 v1, v1, v1
	v_max_f32_e32 v14, v0, v1
	ds_bpermute_b32 v15, v33, v14
	global_load_dwordx4 v[0:3], v[8:9], off
	global_load_dwordx4 v[4:7], v[12:13], off
	v_add_co_u32_e32 v18, vcc, v21, v28
	v_addc_co_u32_e32 v19, vcc, v26, v29, vcc
	s_waitcnt lgkmcnt(0)
	v_max_f32_e32 v8, v15, v15
	v_max_f32_e32 v32, v14, v8
	v_pk_add_f32 v[20:21], v[10:11], v[32:33] op_sel_hi:[1,0] neg_lo:[0,1] neg_hi:[0,1]
	v_mul_f32_e32 v8, 0x3fb8aa3b, v21
	v_fma_f32 v9, v21, s2, -v8
	v_rndne_f32_e32 v10, v8
	v_fmac_f32_e32 v9, 0x32a5705f, v21
	v_sub_f32_e32 v8, v8, v10
	v_add_f32_e32 v8, v8, v9
	v_add_co_u32_e32 v22, vcc, v22, v28
	v_cvt_i32_f32_e32 v24, v10
	v_exp_f32_e32 v25, v8
	v_addc_co_u32_e32 v23, vcc, v23, v29, vcc
	global_load_dwordx4 v[8:11], v[18:19], off
	global_load_dwordx4 v[12:15], v[22:23], off
	v_mul_f32_e32 v19, 0x3fb8aa3b, v20
	v_fma_f32 v22, v20, s2, -v19
	v_rndne_f32_e32 v23, v19
	v_fmac_f32_e32 v22, 0x32a5705f, v20
	v_sub_f32_e32 v19, v19, v23
	v_add_f32_e32 v19, v19, v22
	v_exp_f32_e32 v19, v19
	v_cvt_i32_f32_e32 v22, v23
	v_ldexp_f32 v18, v25, v24
	v_cmp_ngt_f32_e32 vcc, s0, v21
	v_pk_add_f32 v[16:17], v[16:17], v[32:33] op_sel_hi:[1,0] neg_lo:[0,1] neg_hi:[0,1]
	v_cndmask_b32_e32 v18, 0, v18, vcc
	v_cmp_nlt_f32_e32 vcc, s1, v21
	v_mul_f32_e32 v21, 0x3fb8aa3b, v17
	v_ldexp_f32 v19, v19, v22
	v_fma_f32 v22, v17, s2, -v21
	v_rndne_f32_e32 v24, v21
	v_fmac_f32_e32 v22, 0x32a5705f, v17
	v_sub_f32_e32 v21, v21, v24
	v_add_f32_e32 v21, v21, v22
	v_exp_f32_e32 v21, v21
	v_cvt_i32_f32_e32 v22, v24
	v_mov_b32_e32 v23, 0x7f800000
	v_cndmask_b32_e32 v18, v23, v18, vcc
	v_cmp_ngt_f32_e32 vcc, s0, v20
	v_cndmask_b32_e32 v19, 0, v19, vcc
	v_cmp_nlt_f32_e32 vcc, s1, v20
	v_ldexp_f32 v20, v21, v22
	v_mul_f32_e32 v21, 0x3fb8aa3b, v16
	v_fma_f32 v22, v16, s2, -v21
	v_rndne_f32_e32 v24, v21
	v_fmac_f32_e32 v22, 0x32a5705f, v16
	v_sub_f32_e32 v21, v21, v24
	v_add_f32_e32 v21, v21, v22
	v_cvt_i32_f32_e32 v22, v24
	v_sub_f32_e32 v24, v38, v32
	v_mul_f32_e32 v25, 0x3fb8aa3b, v24
	v_fma_f32 v26, v24, s2, -v25
	v_rndne_f32_e32 v27, v25
	v_fmac_f32_e32 v26, 0x32a5705f, v24
	v_sub_f32_e32 v25, v25, v27
	v_add_f32_e32 v25, v25, v26
	v_exp_f32_e32 v25, v25
	v_cvt_i32_f32_e32 v26, v27
	v_cndmask_b32_e32 v19, v23, v19, vcc
	v_cmp_ngt_f32_e32 vcc, s0, v17
	v_cndmask_b32_e32 v20, 0, v20, vcc
	v_cmp_nlt_f32_e32 vcc, s1, v17
	v_cndmask_b32_e32 v27, v23, v20, vcc
	v_ldexp_f32 v20, v25, v26
	v_cmp_ngt_f32_e32 vcc, s0, v24
	v_cndmask_b32_e32 v20, 0, v20, vcc
	v_cmp_nlt_f32_e32 vcc, s1, v24
	s_mov_b32 s2, 0xc1a00000
	v_cndmask_b32_e32 v20, v23, v20, vcc
	v_cmp_le_f32_e32 vcc, s2, v24
	v_exp_f32_e32 v21, v21
	v_cndmask_b32_e32 v30, 0, v20, vcc
	v_cvt_f16_f32_e32 v31, v30
	v_cmp_ngt_f32_e32 vcc, s0, v16
	v_ldexp_f32 v17, v21, v22
	v_cndmask_b32_e32 v17, 0, v17, vcc
	v_cmp_nlt_f32_e32 vcc, s1, v16
	v_pk_mul_f16 v16, v31, v83 op_sel_hi:[0,1]
	s_waitcnt vmcnt(3)
	ds_write_b128 v45, v[0:3]
	s_waitcnt vmcnt(2)
	ds_write_b128 v75, v[4:7]
	;; [unrolled: 2-line block ×4, first 2 shown]
	v_lshl_add_u32 v5, v56, 1, v44
	v_cndmask_b32_e32 v22, v23, v17, vcc
	s_waitcnt lgkmcnt(0)
	s_barrier
	v_lshl_add_u32 v3, v52, 1, v44
	v_add3_u32 v4, v44, v54, v50
	v_add3_u32 v6, v44, v57, v50
	v_cvt_f32_f16_e32 v0, v16
	v_cvt_f32_f16_sdwa v1, v16 dst_sel:DWORD dst_unused:UNUSED_PAD src0_sel:WORD_1
	s_mov_b32 s0, 0x5040100
	ds_read_u16 v7, v5
	ds_read_u16 v8, v5 offset:32
	ds_read_u16 v11, v5 offset:64
	;; [unrolled: 1-line block ×7, first 2 shown]
	ds_read_u16 v5, v6
	ds_read_u16 v9, v6 offset:32
	ds_read_u16 v12, v6 offset:64
	;; [unrolled: 1-line block ×7, first 2 shown]
	v_pk_mul_f16 v17, v31, v79 op_sel_hi:[0,1]
	v_cvt_f16_f32_e32 v21, v18
	v_cvt_f16_f32_e32 v23, v19
	;; [unrolled: 1-line block ×4, first 2 shown]
	s_waitcnt lgkmcnt(7)
	v_perm_b32 v5, v5, v7, s0
	ds_read_u16 v6, v3
	ds_read_u16 v7, v3 offset:32
	ds_read_u16 v14, v3 offset:64
	;; [unrolled: 1-line block ×15, first 2 shown]
	s_waitcnt lgkmcnt(7)
	v_perm_b32 v4, v3, v6, s0
	v_cvt_f32_f16_e32 v2, v17
	v_cvt_f32_f16_sdwa v3, v17 dst_sel:DWORD dst_unused:UNUSED_PAD src0_sel:WORD_1
	v_pk_mul_f16 v20, v31, v81 op_sel_hi:[0,1]
	v_pk_mul_f16 v13, v31, v74 op_sel_hi:[0,1]
	v_pack_b32_f16 v36, v23, v21
	v_pack_b32_f16 v37, v25, v24
	v_perm_b32 v9, v9, v8, s0
	s_waitcnt lgkmcnt(6)
	v_perm_b32 v8, v10, v7, s0
	v_mfma_f32_16x16x16f16 v[0:3], v[4:5], v[36:37], v[0:3]
	v_cvt_f32_f16_e32 v4, v20
	v_cvt_f32_f16_sdwa v5, v20 dst_sel:DWORD dst_unused:UNUSED_PAD src0_sel:WORD_1
	v_cvt_f32_f16_e32 v6, v13
	v_cvt_f32_f16_sdwa v7, v13 dst_sel:DWORD dst_unused:UNUSED_PAD src0_sel:WORD_1
	v_pk_mul_f16 v10, v31, v71 op_sel_hi:[0,1]
	v_pk_mul_f16 v17, v31, v70 op_sel_hi:[0,1]
	v_perm_b32 v13, v12, v11, s0
	s_waitcnt lgkmcnt(5)
	v_perm_b32 v12, v54, v14, s0
	v_mfma_f32_16x16x16f16 v[4:7], v[8:9], v[36:37], v[4:7]
	v_cvt_f32_f16_e32 v8, v10
	v_cvt_f32_f16_sdwa v9, v10 dst_sel:DWORD dst_unused:UNUSED_PAD src0_sel:WORD_1
	v_cvt_f32_f16_e32 v10, v17
	v_cvt_f32_f16_sdwa v11, v17 dst_sel:DWORD dst_unused:UNUSED_PAD src0_sel:WORD_1
	v_pk_mul_f16 v14, v31, v68 op_sel_hi:[0,1]
	v_pk_mul_f16 v20, v31, v67 op_sel_hi:[0,1]
	v_perm_b32 v17, v16, v15, s0
	s_waitcnt lgkmcnt(4)
	v_perm_b32 v16, v56, v43, s0
	v_mfma_f32_16x16x16f16 v[8:11], v[12:13], v[36:37], v[8:11]
	v_cvt_f32_f16_e32 v12, v14
	v_cvt_f32_f16_sdwa v13, v14 dst_sel:DWORD dst_unused:UNUSED_PAD src0_sel:WORD_1
	v_cvt_f32_f16_e32 v14, v20
	v_cvt_f32_f16_sdwa v15, v20 dst_sel:DWORD dst_unused:UNUSED_PAD src0_sel:WORD_1
	v_add_f32_e32 v23, v19, v18
	v_pk_mul_f16 v18, v31, v65 op_sel_hi:[0,1]
	v_pk_mul_f16 v19, v31, v64 op_sel_hi:[0,1]
	v_perm_b32 v21, v38, v26, s0
	s_waitcnt lgkmcnt(3)
	v_perm_b32 v20, v57, v44, s0
	v_mfma_f32_16x16x16f16 v[12:15], v[16:17], v[36:37], v[12:15]
	v_cvt_f32_f16_e32 v16, v18
	v_cvt_f32_f16_sdwa v17, v18 dst_sel:DWORD dst_unused:UNUSED_PAD src0_sel:WORD_1
	v_cvt_f32_f16_e32 v18, v19
	v_cvt_f32_f16_sdwa v19, v19 dst_sel:DWORD dst_unused:UNUSED_PAD src0_sel:WORD_1
	v_add_f32_e32 v26, v22, v23
	;; [unrolled: 11-line block ×3, first 2 shown]
	v_pk_mul_f16 v26, v31, v61 op_sel_hi:[0,1]
	v_pk_mul_f16 v27, v31, v60 op_sel_hi:[0,1]
	v_perm_b32 v29, v41, v29, s0
	s_waitcnt lgkmcnt(1)
	v_perm_b32 v28, v69, v50, s0
	v_mfma_f32_16x16x16f16 v[20:23], v[24:25], v[36:37], v[20:23]
	v_cvt_f32_f16_e32 v24, v26
	v_cvt_f32_f16_sdwa v25, v26 dst_sel:DWORD dst_unused:UNUSED_PAD src0_sel:WORD_1
	v_cvt_f32_f16_e32 v26, v27
	v_cvt_f32_f16_sdwa v27, v27 dst_sel:DWORD dst_unused:UNUSED_PAD src0_sel:WORD_1
	v_fmac_f32_e32 v40, v39, v30
	v_pk_mul_f16 v30, v31, v59 op_sel_hi:[0,1]
	v_pk_mul_f16 v31, v31, v58 op_sel_hi:[0,1]
	v_perm_b32 v39, v42, v34, s0
	s_waitcnt lgkmcnt(0)
	v_perm_b32 v38, v72, v52, s0
	v_mfma_f32_16x16x16f16 v[24:27], v[28:29], v[36:37], v[24:27]
	v_cvt_f32_f16_e32 v28, v30
	v_cvt_f32_f16_sdwa v29, v30 dst_sel:DWORD dst_unused:UNUSED_PAD src0_sel:WORD_1
	v_cvt_f32_f16_e32 v30, v31
	v_cvt_f32_f16_sdwa v31, v31 dst_sel:DWORD dst_unused:UNUSED_PAD src0_sel:WORD_1
	ds_bpermute_b32 v34, v35, v40
	v_cmp_gt_u32_e64 s[0:1], 16, v46
	s_waitcnt lgkmcnt(0)
	v_mfma_f32_16x16x16f16 v[28:31], v[38:39], v[36:37], v[28:31]
	s_barrier
	v_add_f32_e32 v34, v40, v34
	ds_bpermute_b32 v36, v33, v34
	s_waitcnt lgkmcnt(0)
	s_and_saveexec_b64 s[2:3], s[0:1]
	s_cbranch_execz .LBB24_265
; %bb.264:
	v_add_f32_e32 v34, v34, v36
	v_or_b32_e32 v36, v49, v46
	s_movk_i32 s4, 0x110
	v_mad_i32_i24 v36, v36, s4, 0
	ds_write2_b32 v36, v32, v34 offset0:64 offset1:65
.LBB24_265:
	s_or_b64 exec, exec, s[2:3]
	v_cmp_eq_u32_e32 vcc, 0, v55
	v_cmp_ne_u32_e64 s[2:3], 0, v55
	s_waitcnt lgkmcnt(0)
	s_barrier
	s_and_saveexec_b64 s[4:5], s[2:3]
	s_xor_b64 s[2:3], exec, s[4:5]
	s_cbranch_execz .LBB24_267
; %bb.266:
	s_barrier
	s_waitcnt lgkmcnt(0)
                                        ; implicit-def: $vgpr35
                                        ; implicit-def: $vgpr33
                                        ; implicit-def: $vgpr53
.LBB24_267:
	s_andn2_saveexec_b64 s[4:5], s[2:3]
	s_cbranch_execz .LBB24_271
; %bb.268:
	v_add_u32_e32 v32, v49, v46
	s_movk_i32 s2, 0x110
	v_mad_i32_i24 v38, v32, s2, 0
	ds_read_b64 v[36:37], v38 offset:256
	s_mov_b32 s2, 0x3fb8aa3b
	s_mov_b32 s6, 0x42b17218
	;; [unrolled: 1-line block ×3, first 2 shown]
	s_waitcnt lgkmcnt(0)
	ds_bpermute_b32 v32, v35, v36
	v_max_f32_e32 v34, v36, v36
	s_barrier
	s_waitcnt lgkmcnt(0)
	v_max_f32_e32 v32, v32, v32
	v_max_f32_e32 v32, v34, v32
	ds_bpermute_b32 v34, v33, v32
	s_waitcnt lgkmcnt(0)
	v_max_f32_e32 v34, v34, v34
	v_max_f32_e32 v32, v32, v34
	v_sub_f32_e32 v34, v36, v32
	v_mul_f32_e32 v36, 0x3fb8aa3b, v34
	v_fma_f32 v39, v34, s2, -v36
	v_rndne_f32_e32 v40, v36
	v_fmac_f32_e32 v39, 0x32a5705f, v34
	v_sub_f32_e32 v36, v36, v40
	v_add_f32_e32 v36, v36, v39
	v_cvt_i32_f32_e32 v40, v40
	v_exp_f32_e32 v36, v36
	s_mov_b32 s2, 0xc2ce8ed0
	v_cmp_ngt_f32_e64 s[2:3], s2, v34
	v_mov_b32_e32 v39, 0x7f800000
	v_ldexp_f32 v36, v36, v40
	v_cndmask_b32_e64 v36, 0, v36, s[2:3]
	v_cmp_nlt_f32_e64 s[2:3], s6, v34
	v_cndmask_b32_e64 v34, v39, v36, s[2:3]
	v_mul_f32_e32 v36, v37, v34
	ds_bpermute_b32 v35, v35, v36
	s_waitcnt lgkmcnt(0)
	v_fmac_f32_e32 v35, v37, v34
	ds_bpermute_b32 v33, v33, v35
	s_waitcnt lgkmcnt(0)
	v_add_f32_e32 v35, v35, v33
	ds_write_b64 v38, v[34:35] offset:256
	s_and_saveexec_b64 s[2:3], s[0:1]
	s_cbranch_execz .LBB24_270
; %bb.269:
	s_add_i32 s0, s35, s49
	s_lshl_b32 s8, s0, 4
	s_lshl_b64 s[0:1], s[8:9], 3
	s_add_u32 s0, s26, s0
	v_or_b32_e32 v33, v53, v46
	s_addc_u32 s1, s27, s1
	v_lshlrev_b32_e32 v34, 3, v33
	v_mov_b32_e32 v33, v35
	global_store_dwordx2 v34, v[32:33], s[0:1]
.LBB24_270:
	s_or_b64 exec, exec, s[2:3]
.LBB24_271:
	s_or_b64 exec, exec, s[4:5]
	v_cvt_f16_f32_e32 v0, v0
	v_cvt_f16_f32_e32 v1, v1
	v_cvt_f16_f32_e32 v2, v2
	v_cvt_f16_f32_e32 v3, v3
	v_cvt_f16_f32_e32 v4, v4
	v_cvt_f16_f32_e32 v6, v6
	v_cvt_f16_f32_e32 v7, v7
	v_cvt_f16_f32_e32 v5, v5
	v_pack_b32_f16 v2, v2, v3
	v_pack_b32_f16 v0, v0, v1
	v_pack_b32_f16 v1, v6, v7
	v_pack_b32_f16 v3, v4, v5
	v_cvt_f16_f32_e32 v4, v8
	v_cvt_f16_f32_e32 v5, v9
	v_cvt_f16_f32_e32 v6, v10
	v_cvt_f16_f32_e32 v7, v11
	v_cvt_f16_f32_e32 v8, v12
	v_cvt_f16_f32_e32 v9, v14
	v_cvt_f16_f32_e32 v10, v15
	v_cvt_f16_f32_e32 v11, v13
	v_pack_b32_f16 v6, v6, v7
	v_pack_b32_f16 v4, v4, v5
	v_pack_b32_f16 v5, v9, v10
	v_pack_b32_f16 v7, v8, v11
	;; [unrolled: 12-line block ×3, first 2 shown]
	v_cvt_f16_f32_e32 v14, v26
	v_cvt_f16_f32_e32 v15, v27
	;; [unrolled: 1-line block ×8, first 2 shown]
	v_pack_b32_f16 v14, v14, v15
	v_pack_b32_f16 v15, v16, v19
	v_or_b32_e32 v16, v49, v47
	s_movk_i32 s0, 0x44
	v_mad_i32_i24 v16, v16, s0, v48
	s_mov_b32 s3, 0
	v_lshl_add_u32 v16, v16, 2, 0
	v_pack_b32_f16 v12, v12, v13
	v_pack_b32_f16 v13, v17, v18
	ds_write2_b32 v16, v0, v2 offset1:1
	ds_write2_b32 v16, v3, v1 offset0:8 offset1:9
	ds_write2_b32 v16, v4, v6 offset0:16 offset1:17
	;; [unrolled: 1-line block ×7, first 2 shown]
	s_waitcnt lgkmcnt(0)
	s_barrier
	s_and_saveexec_b64 s[0:1], vcc
	s_cbranch_execz .LBB24_273
; %bb.272:
	s_lshl_b32 s2, s35, 5
	s_lshl_b64 s[4:5], s[2:3], 3
	s_add_u32 s4, s26, s4
	s_addc_u32 s5, s27, s5
	s_lshl_b32 s2, s49, 10
	s_lshl_b64 s[2:3], s[2:3], 3
	s_add_u32 s2, s4, s2
	v_bfe_u32 v1, v51, 2, 4
	s_movk_i32 s4, 0x3c0
	v_and_or_b32 v1, v51, s4, v1
	s_movk_i32 s4, 0x110
	v_mad_u32_u24 v6, v1, s4, 0
	v_lshlrev_b32_e32 v1, 2, v46
	v_add_u32_e32 v8, v6, v1
	ds_read2st64_b32 v[2:3], v8 offset1:17
	ds_read2st64_b32 v[4:5], v6 offset0:1 offset1:18
	ds_read2st64_b32 v[6:7], v6 offset0:35 offset1:52
	;; [unrolled: 1-line block ×3, first 2 shown]
	v_lshlrev_b32_e32 v10, 4, v51
	v_add_lshl_u32 v14, v10, v46, 3
	s_waitcnt lgkmcnt(3)
	v_cvt_f32_f16_e32 v10, v2
	v_cvt_f32_f16_sdwa v11, v2 dst_sel:DWORD dst_unused:UNUSED_PAD src0_sel:WORD_1
	v_cvt_f32_f16_e32 v2, v3
	v_cvt_f32_f16_sdwa v3, v3 dst_sel:DWORD dst_unused:UNUSED_PAD src0_sel:WORD_1
	s_waitcnt lgkmcnt(0)
	v_cvt_f32_f16_e32 v12, v8
	v_cvt_f32_f16_sdwa v13, v8 dst_sel:DWORD dst_unused:UNUSED_PAD src0_sel:WORD_1
	v_pk_fma_f32 v[10:11], v[4:5], v[10:11], 0 op_sel_hi:[0,1,0]
	v_mov_b32_e32 v4, v5
	v_lshrrev_b32_e32 v0, 2, v51
	v_pk_fma_f32 v[2:3], v[4:5], v[2:3], v[10:11] op_sel_hi:[0,1,1]
	v_pk_fma_f32 v[2:3], v[6:7], v[12:13], v[2:3] op_sel_hi:[0,1,1]
	v_mov_b32_e32 v6, v7
	v_add_u32_e32 v7, 1, v0
	s_addc_u32 s3, s5, s3
	v_cvt_f32_f16_e32 v4, v9
	v_cvt_f32_f16_sdwa v5, v9 dst_sel:DWORD dst_unused:UNUSED_PAD src0_sel:WORD_1
	v_lshlrev_b32_e32 v8, 2, v7
	v_and_b32_e32 v9, 15, v7
	s_movk_i32 s5, 0x7c0
	v_and_or_b32 v8, v8, s5, v9
	v_mad_u32_u24 v10, v8, s4, 0
	v_add_u32_e32 v11, v10, v1
	ds_read2st64_b32 v[8:9], v11 offset1:17
	v_pk_fma_f32 v[2:3], v[6:7], v[4:5], v[2:3] op_sel_hi:[0,1,1]
	global_store_dwordx2 v14, v[2:3], s[2:3]
	v_lshlrev_b32_e32 v12, 6, v7
	ds_read2st64_b32 v[2:3], v10 offset0:1 offset1:18
	ds_read2st64_b32 v[6:7], v10 offset0:35 offset1:52
	ds_read2st64_b32 v[10:11], v11 offset0:34 offset1:51
	s_waitcnt lgkmcnt(3)
	v_cvt_f32_f16_e32 v4, v8
	v_cvt_f32_f16_sdwa v5, v8 dst_sel:DWORD dst_unused:UNUSED_PAD src0_sel:WORD_1
	v_cvt_f32_f16_e32 v8, v9
	v_cvt_f32_f16_sdwa v9, v9 dst_sel:DWORD dst_unused:UNUSED_PAD src0_sel:WORD_1
	v_add_lshl_u32 v14, v12, v46, 3
	s_waitcnt lgkmcnt(0)
	v_cvt_f32_f16_e32 v12, v10
	v_cvt_f32_f16_sdwa v13, v10 dst_sel:DWORD dst_unused:UNUSED_PAD src0_sel:WORD_1
	v_cvt_f32_f16_e32 v10, v11
	v_cvt_f32_f16_sdwa v11, v11 dst_sel:DWORD dst_unused:UNUSED_PAD src0_sel:WORD_1
	v_pk_fma_f32 v[4:5], v[2:3], v[4:5], 0 op_sel_hi:[0,1,0]
	v_mov_b32_e32 v2, v3
	v_pk_fma_f32 v[2:3], v[2:3], v[8:9], v[4:5] op_sel_hi:[0,1,1]
	v_pk_fma_f32 v[2:3], v[6:7], v[12:13], v[2:3] op_sel_hi:[0,1,1]
	v_mov_b32_e32 v4, v7
	v_pk_fma_f32 v[2:3], v[4:5], v[10:11], v[2:3] op_sel_hi:[0,1,1]
	global_store_dwordx2 v14, v[2:3], s[2:3]
	v_add_u32_e32 v2, 2, v0
	v_lshlrev_b32_e32 v3, 2, v2
	v_and_b32_e32 v4, 15, v2
	v_and_or_b32 v3, v3, s5, v4
	v_mad_u32_u24 v6, v3, s4, 0
	v_add_u32_e32 v8, v6, v1
	v_lshlrev_b32_e32 v10, 6, v2
	ds_read2st64_b32 v[2:3], v8 offset1:17
	ds_read2st64_b32 v[4:5], v6 offset0:1 offset1:18
	ds_read2st64_b32 v[6:7], v6 offset0:35 offset1:52
	ds_read2st64_b32 v[8:9], v8 offset0:34 offset1:51
	v_add_lshl_u32 v14, v10, v46, 3
	s_waitcnt lgkmcnt(3)
	v_cvt_f32_f16_e32 v10, v2
	v_cvt_f32_f16_sdwa v11, v2 dst_sel:DWORD dst_unused:UNUSED_PAD src0_sel:WORD_1
	v_cvt_f32_f16_e32 v2, v3
	v_cvt_f32_f16_sdwa v3, v3 dst_sel:DWORD dst_unused:UNUSED_PAD src0_sel:WORD_1
	s_waitcnt lgkmcnt(0)
	v_cvt_f32_f16_e32 v12, v8
	v_cvt_f32_f16_sdwa v13, v8 dst_sel:DWORD dst_unused:UNUSED_PAD src0_sel:WORD_1
	v_pk_fma_f32 v[10:11], v[4:5], v[10:11], 0 op_sel_hi:[0,1,0]
	v_mov_b32_e32 v4, v5
	v_pk_fma_f32 v[2:3], v[4:5], v[2:3], v[10:11] op_sel_hi:[0,1,1]
	v_pk_fma_f32 v[2:3], v[6:7], v[12:13], v[2:3] op_sel_hi:[0,1,1]
	v_mov_b32_e32 v6, v7
	v_add_u32_e32 v7, 3, v0
	v_cvt_f32_f16_e32 v4, v9
	v_cvt_f32_f16_sdwa v5, v9 dst_sel:DWORD dst_unused:UNUSED_PAD src0_sel:WORD_1
	v_lshlrev_b32_e32 v8, 2, v7
	v_and_b32_e32 v9, 15, v7
	v_and_or_b32 v8, v8, s5, v9
	v_mad_u32_u24 v10, v8, s4, 0
	v_add_u32_e32 v11, v10, v1
	ds_read2st64_b32 v[8:9], v11 offset1:17
	v_pk_fma_f32 v[2:3], v[6:7], v[4:5], v[2:3] op_sel_hi:[0,1,1]
	global_store_dwordx2 v14, v[2:3], s[2:3]
	v_lshlrev_b32_e32 v12, 6, v7
	ds_read2st64_b32 v[2:3], v10 offset0:1 offset1:18
	ds_read2st64_b32 v[6:7], v10 offset0:35 offset1:52
	ds_read2st64_b32 v[10:11], v11 offset0:34 offset1:51
	s_waitcnt lgkmcnt(3)
	v_cvt_f32_f16_e32 v4, v8
	v_cvt_f32_f16_sdwa v5, v8 dst_sel:DWORD dst_unused:UNUSED_PAD src0_sel:WORD_1
	v_cvt_f32_f16_e32 v8, v9
	v_cvt_f32_f16_sdwa v9, v9 dst_sel:DWORD dst_unused:UNUSED_PAD src0_sel:WORD_1
	v_add_lshl_u32 v14, v12, v46, 3
	s_waitcnt lgkmcnt(0)
	v_cvt_f32_f16_e32 v12, v10
	v_cvt_f32_f16_sdwa v13, v10 dst_sel:DWORD dst_unused:UNUSED_PAD src0_sel:WORD_1
	v_cvt_f32_f16_e32 v10, v11
	v_cvt_f32_f16_sdwa v11, v11 dst_sel:DWORD dst_unused:UNUSED_PAD src0_sel:WORD_1
	v_pk_fma_f32 v[4:5], v[2:3], v[4:5], 0 op_sel_hi:[0,1,0]
	v_mov_b32_e32 v2, v3
	v_pk_fma_f32 v[2:3], v[2:3], v[8:9], v[4:5] op_sel_hi:[0,1,1]
	v_pk_fma_f32 v[2:3], v[6:7], v[12:13], v[2:3] op_sel_hi:[0,1,1]
	v_mov_b32_e32 v4, v7
	v_pk_fma_f32 v[2:3], v[4:5], v[10:11], v[2:3] op_sel_hi:[0,1,1]
	global_store_dwordx2 v14, v[2:3], s[2:3]
	v_add_u32_e32 v2, 4, v0
	v_lshlrev_b32_e32 v3, 2, v2
	v_and_b32_e32 v4, 15, v2
	v_and_or_b32 v3, v3, s5, v4
	v_mad_u32_u24 v6, v3, s4, 0
	v_add_u32_e32 v8, v6, v1
	v_lshlrev_b32_e32 v10, 6, v2
	ds_read2st64_b32 v[2:3], v8 offset1:17
	ds_read2st64_b32 v[4:5], v6 offset0:1 offset1:18
	ds_read2st64_b32 v[6:7], v6 offset0:35 offset1:52
	ds_read2st64_b32 v[8:9], v8 offset0:34 offset1:51
	v_add_lshl_u32 v14, v10, v46, 3
	s_waitcnt lgkmcnt(3)
	v_cvt_f32_f16_e32 v10, v2
	v_cvt_f32_f16_sdwa v11, v2 dst_sel:DWORD dst_unused:UNUSED_PAD src0_sel:WORD_1
	v_cvt_f32_f16_e32 v2, v3
	v_cvt_f32_f16_sdwa v3, v3 dst_sel:DWORD dst_unused:UNUSED_PAD src0_sel:WORD_1
	s_waitcnt lgkmcnt(0)
	v_cvt_f32_f16_e32 v12, v8
	v_cvt_f32_f16_sdwa v13, v8 dst_sel:DWORD dst_unused:UNUSED_PAD src0_sel:WORD_1
	v_pk_fma_f32 v[10:11], v[4:5], v[10:11], 0 op_sel_hi:[0,1,0]
	v_mov_b32_e32 v4, v5
	v_pk_fma_f32 v[2:3], v[4:5], v[2:3], v[10:11] op_sel_hi:[0,1,1]
	v_pk_fma_f32 v[2:3], v[6:7], v[12:13], v[2:3] op_sel_hi:[0,1,1]
	v_mov_b32_e32 v6, v7
	v_add_u32_e32 v7, 5, v0
	v_cvt_f32_f16_e32 v4, v9
	v_cvt_f32_f16_sdwa v5, v9 dst_sel:DWORD dst_unused:UNUSED_PAD src0_sel:WORD_1
	v_lshlrev_b32_e32 v8, 2, v7
	v_and_b32_e32 v9, 15, v7
	;; [unrolled: 58-line block ×7, first 2 shown]
	v_and_or_b32 v0, v0, s5, v8
	v_mad_u32_u24 v8, v0, s4, 0
	v_add_u32_e32 v9, v8, v1
	ds_read2st64_b32 v[0:1], v9 offset1:17
	v_pk_fma_f32 v[2:3], v[6:7], v[4:5], v[2:3] op_sel_hi:[0,1,1]
	global_store_dwordx2 v14, v[2:3], s[2:3]
	v_lshlrev_b32_e32 v10, 6, v7
	ds_read2st64_b32 v[2:3], v8 offset0:1 offset1:18
	ds_read2st64_b32 v[6:7], v8 offset0:35 offset1:52
	;; [unrolled: 1-line block ×3, first 2 shown]
	s_waitcnt lgkmcnt(3)
	v_cvt_f32_f16_e32 v4, v0
	v_cvt_f32_f16_sdwa v5, v0 dst_sel:DWORD dst_unused:UNUSED_PAD src0_sel:WORD_1
	v_cvt_f32_f16_e32 v0, v1
	v_cvt_f32_f16_sdwa v1, v1 dst_sel:DWORD dst_unused:UNUSED_PAD src0_sel:WORD_1
	v_add_lshl_u32 v12, v10, v46, 3
	s_waitcnt lgkmcnt(0)
	v_cvt_f32_f16_e32 v10, v8
	v_cvt_f32_f16_sdwa v11, v8 dst_sel:DWORD dst_unused:UNUSED_PAD src0_sel:WORD_1
	v_cvt_f32_f16_e32 v8, v9
	v_cvt_f32_f16_sdwa v9, v9 dst_sel:DWORD dst_unused:UNUSED_PAD src0_sel:WORD_1
	v_pk_fma_f32 v[4:5], v[2:3], v[4:5], 0 op_sel_hi:[0,1,0]
	v_mov_b32_e32 v2, v3
	v_pk_fma_f32 v[0:1], v[2:3], v[0:1], v[4:5] op_sel_hi:[0,1,1]
	v_pk_fma_f32 v[0:1], v[6:7], v[10:11], v[0:1] op_sel_hi:[0,1,1]
	v_mov_b32_e32 v2, v7
	v_pk_fma_f32 v[0:1], v[2:3], v[8:9], v[0:1] op_sel_hi:[0,1,1]
	global_store_dwordx2 v12, v[0:1], s[2:3]
.LBB24_273:
	s_or_b64 exec, exec, s[0:1]
	s_barrier
	s_endpgm
	.section	.rodata,"a",@progbits
	.p2align	6, 0x0
	.amdhsa_kernel _ZL18flash_attn_ext_f16ILi128ELi128ELi8ELi2ELb0ELb0EEvPKcS1_S1_S1_S1_PKiPfP15HIP_vector_typeIfLj2EEffffjfiS5_IjLj3EEiiiiiiiiiiiliiliiiiil
		.amdhsa_group_segment_fixed_size 0
		.amdhsa_private_segment_fixed_size 0
		.amdhsa_kernarg_size 464
		.amdhsa_user_sgpr_count 6
		.amdhsa_user_sgpr_private_segment_buffer 1
		.amdhsa_user_sgpr_dispatch_ptr 0
		.amdhsa_user_sgpr_queue_ptr 0
		.amdhsa_user_sgpr_kernarg_segment_ptr 1
		.amdhsa_user_sgpr_dispatch_id 0
		.amdhsa_user_sgpr_flat_scratch_init 0
		.amdhsa_user_sgpr_kernarg_preload_length 0
		.amdhsa_user_sgpr_kernarg_preload_offset 0
		.amdhsa_user_sgpr_private_segment_size 0
		.amdhsa_uses_dynamic_stack 0
		.amdhsa_system_sgpr_private_segment_wavefront_offset 0
		.amdhsa_system_sgpr_workgroup_id_x 1
		.amdhsa_system_sgpr_workgroup_id_y 0
		.amdhsa_system_sgpr_workgroup_id_z 0
		.amdhsa_system_sgpr_workgroup_info 0
		.amdhsa_system_vgpr_workitem_id 1
		.amdhsa_next_free_vgpr 219
		.amdhsa_next_free_sgpr 96
		.amdhsa_accum_offset 220
		.amdhsa_reserve_vcc 1
		.amdhsa_reserve_flat_scratch 0
		.amdhsa_float_round_mode_32 0
		.amdhsa_float_round_mode_16_64 0
		.amdhsa_float_denorm_mode_32 3
		.amdhsa_float_denorm_mode_16_64 3
		.amdhsa_dx10_clamp 1
		.amdhsa_ieee_mode 1
		.amdhsa_fp16_overflow 0
		.amdhsa_tg_split 0
		.amdhsa_exception_fp_ieee_invalid_op 0
		.amdhsa_exception_fp_denorm_src 0
		.amdhsa_exception_fp_ieee_div_zero 0
		.amdhsa_exception_fp_ieee_overflow 0
		.amdhsa_exception_fp_ieee_underflow 0
		.amdhsa_exception_fp_ieee_inexact 0
		.amdhsa_exception_int_div_zero 0
	.end_amdhsa_kernel
	.section	.text._ZL18flash_attn_ext_f16ILi128ELi128ELi8ELi2ELb0ELb0EEvPKcS1_S1_S1_S1_PKiPfP15HIP_vector_typeIfLj2EEffffjfiS5_IjLj3EEiiiiiiiiiiiliiliiiiil,"axG",@progbits,_ZL18flash_attn_ext_f16ILi128ELi128ELi8ELi2ELb0ELb0EEvPKcS1_S1_S1_S1_PKiPfP15HIP_vector_typeIfLj2EEffffjfiS5_IjLj3EEiiiiiiiiiiiliiliiiiil,comdat
.Lfunc_end24:
	.size	_ZL18flash_attn_ext_f16ILi128ELi128ELi8ELi2ELb0ELb0EEvPKcS1_S1_S1_S1_PKiPfP15HIP_vector_typeIfLj2EEffffjfiS5_IjLj3EEiiiiiiiiiiiliiliiiiil, .Lfunc_end24-_ZL18flash_attn_ext_f16ILi128ELi128ELi8ELi2ELb0ELb0EEvPKcS1_S1_S1_S1_PKiPfP15HIP_vector_typeIfLj2EEffffjfiS5_IjLj3EEiiiiiiiiiiiliiliiiiil
                                        ; -- End function
	.section	.AMDGPU.csdata,"",@progbits
; Kernel info:
; codeLenInByte = 39396
; NumSgprs: 100
; NumVgprs: 219
; NumAgprs: 0
; TotalNumVgprs: 219
; ScratchSize: 0
; MemoryBound: 0
; FloatMode: 240
; IeeeMode: 1
; LDSByteSize: 0 bytes/workgroup (compile time only)
; SGPRBlocks: 12
; VGPRBlocks: 27
; NumSGPRsForWavesPerEU: 100
; NumVGPRsForWavesPerEU: 219
; AccumOffset: 220
; Occupancy: 2
; WaveLimiterHint : 0
; COMPUTE_PGM_RSRC2:SCRATCH_EN: 0
; COMPUTE_PGM_RSRC2:USER_SGPR: 6
; COMPUTE_PGM_RSRC2:TRAP_HANDLER: 0
; COMPUTE_PGM_RSRC2:TGID_X_EN: 1
; COMPUTE_PGM_RSRC2:TGID_Y_EN: 0
; COMPUTE_PGM_RSRC2:TGID_Z_EN: 0
; COMPUTE_PGM_RSRC2:TIDIG_COMP_CNT: 1
; COMPUTE_PGM_RSRC3_GFX90A:ACCUM_OFFSET: 54
; COMPUTE_PGM_RSRC3_GFX90A:TG_SPLIT: 0
	.section	.text._ZL18flash_attn_ext_f16ILi128ELi128ELi8ELi2ELb1ELb0EEvPKcS1_S1_S1_S1_PKiPfP15HIP_vector_typeIfLj2EEffffjfiS5_IjLj3EEiiiiiiiiiiiliiliiiiil,"axG",@progbits,_ZL18flash_attn_ext_f16ILi128ELi128ELi8ELi2ELb1ELb0EEvPKcS1_S1_S1_S1_PKiPfP15HIP_vector_typeIfLj2EEffffjfiS5_IjLj3EEiiiiiiiiiiiliiliiiiil,comdat
	.globl	_ZL18flash_attn_ext_f16ILi128ELi128ELi8ELi2ELb1ELb0EEvPKcS1_S1_S1_S1_PKiPfP15HIP_vector_typeIfLj2EEffffjfiS5_IjLj3EEiiiiiiiiiiiliiliiiiil ; -- Begin function _ZL18flash_attn_ext_f16ILi128ELi128ELi8ELi2ELb1ELb0EEvPKcS1_S1_S1_S1_PKiPfP15HIP_vector_typeIfLj2EEffffjfiS5_IjLj3EEiiiiiiiiiiiliiliiiiil
	.p2align	8
	.type	_ZL18flash_attn_ext_f16ILi128ELi128ELi8ELi2ELb1ELb0EEvPKcS1_S1_S1_S1_PKiPfP15HIP_vector_typeIfLj2EEffffjfiS5_IjLj3EEiiiiiiiiiiiliiliiiiil,@function
_ZL18flash_attn_ext_f16ILi128ELi128ELi8ELi2ELb1ELb0EEvPKcS1_S1_S1_S1_PKiPfP15HIP_vector_typeIfLj2EEffffjfiS5_IjLj3EEiiiiiiiiiiiliiliiiiil: ; @_ZL18flash_attn_ext_f16ILi128ELi128ELi8ELi2ELb1ELb0EEvPKcS1_S1_S1_S1_PKiPfP15HIP_vector_typeIfLj2EEffffjfiS5_IjLj3EEiiiiiiiiiiiliiliiiiil
; %bb.0:
	s_load_dwordx2 s[2:3], s[4:5], 0x80
	s_load_dwordx4 s[28:31], s[4:5], 0x64
	s_mov_b32 s51, s6
                                        ; implicit-def: $vgpr210 : SGPR spill to VGPR lane
	s_load_dword s41, s[4:5], 0xd0
	s_mov_b32 s0, 0
	s_waitcnt lgkmcnt(0)
	s_abs_i32 s1, s3
	v_cvt_f32_u32_e32 v1, s1
	s_sub_i32 s8, 0, s1
	s_abs_i32 s7, s29
	s_xor_b32 s6, s29, s3
	v_rcp_iflag_f32_e32 v1, v1
	s_ashr_i32 s6, s6, 31
	v_cvt_f32_ubyte0_e32 v3, 0
	v_mul_f32_e32 v1, 0x4f7ffffe, v1
	v_cvt_u32_f32_e32 v1, v1
	v_readfirstlane_b32 s9, v1
	s_mul_i32 s8, s8, s9
	s_mul_hi_u32 s8, s9, s8
	s_add_i32 s9, s9, s8
	s_mul_hi_u32 s8, s7, s9
	s_mul_i32 s9, s8, s1
	s_sub_i32 s7, s7, s9
	s_add_i32 s10, s8, 1
	s_sub_i32 s9, s7, s1
	s_cmp_ge_u32 s7, s1
	s_cselect_b32 s8, s10, s8
	s_cselect_b32 s7, s9, s7
	s_add_i32 s9, s8, 1
	s_cmp_ge_u32 s7, s1
	s_cselect_b32 s1, s9, s8
	s_add_i32 s2, s2, 63
	s_xor_b32 s1, s1, s6
	s_ashr_i32 s7, s2, 31
	s_sub_i32 s33, s1, s6
	s_lshr_b32 s1, s7, 26
	s_add_i32 s2, s2, s1
	s_add_i32 s1, s28, 7
	s_lshr_b32 s6, s1, 3
	s_add_i32 s1, s33, 1
	s_ashr_i32 s82, s2, 6
	s_lshr_b32 s2, s1, 31
	s_add_i32 s1, s1, s2
	s_ashr_i32 s1, s1, 1
	v_writelane_b32 v210, s6, 0
	s_mul_i32 s2, s6, s82
	v_writelane_b32 v210, s2, 1
	s_mul_i32 s1, s2, s1
	;; [unrolled: 2-line block ×3, first 2 shown]
	s_mul_i32 s6, s1, s30
	s_ashr_i32 s7, s6, 31
	v_cvt_f32_u32_e32 v1, s41
	v_writelane_b32 v210, s1, 3
	s_mul_i32 s1, s7, s51
	s_mul_hi_u32 s2, s6, s51
	s_add_i32 s1, s2, s1
	s_mul_i32 s8, s6, s51
	s_cmp_lg_u64 s[0:1], 0
	s_cbranch_scc0 .LBB25_2
; %bb.1:
	v_madmk_f32 v2, v3, 0x4f800000, v1
	v_rcp_f32_e32 v2, v2
	s_sub_u32 s0, 0, s41
	s_subb_u32 s9, 0, 0
	s_mov_b64 s[2:3], 0
	v_mul_f32_e32 v2, 0x5f7ffffc, v2
	v_mul_f32_e32 v4, 0x2f800000, v2
	v_trunc_f32_e32 v4, v4
	v_madmk_f32 v2, v4, 0xcf800000, v2
	v_cvt_u32_f32_e32 v4, v4
	v_cvt_u32_f32_e32 v2, v2
	v_readfirstlane_b32 s10, v4
	v_readfirstlane_b32 s11, v2
	s_mul_hi_u32 s13, s0, s11
	s_mul_i32 s14, s0, s10
	s_mul_i32 s12, s9, s11
	s_add_i32 s13, s13, s14
	s_add_i32 s13, s13, s12
	s_mul_i32 s15, s0, s11
	s_mul_hi_u32 s12, s11, s13
	s_mul_i32 s14, s11, s13
	s_mul_hi_u32 s11, s11, s15
	s_add_u32 s11, s11, s14
	s_addc_u32 s12, 0, s12
	s_mul_hi_u32 s16, s10, s15
	s_mul_i32 s15, s10, s15
	s_add_u32 s11, s11, s15
	s_mul_hi_u32 s14, s10, s13
	s_addc_u32 s11, s12, s16
	s_addc_u32 s12, s14, 0
	s_mul_i32 s13, s10, s13
	s_add_u32 s11, s11, s13
	s_addc_u32 s12, 0, s12
	v_add_co_u32_e32 v2, vcc, s11, v2
	s_cmp_lg_u64 vcc, 0
	s_addc_u32 s10, s10, s12
	v_readfirstlane_b32 s12, v2
	s_mul_i32 s11, s0, s10
	s_mul_hi_u32 s13, s0, s12
	s_add_i32 s11, s13, s11
	s_mul_i32 s9, s9, s12
	s_add_i32 s11, s11, s9
	s_mul_i32 s0, s0, s12
	s_mul_hi_u32 s13, s10, s0
	s_mul_i32 s14, s10, s0
	s_mul_i32 s16, s12, s11
	s_mul_hi_u32 s0, s12, s0
	s_mul_hi_u32 s15, s12, s11
	s_add_u32 s0, s0, s16
	s_addc_u32 s12, 0, s15
	s_add_u32 s0, s0, s14
	s_mul_hi_u32 s9, s10, s11
	s_addc_u32 s0, s12, s13
	s_addc_u32 s9, s9, 0
	s_mul_i32 s11, s10, s11
	s_add_u32 s0, s0, s11
	s_addc_u32 s9, 0, s9
	v_add_co_u32_e32 v2, vcc, s0, v2
	s_cmp_lg_u64 vcc, 0
	s_addc_u32 s9, s10, s9
	s_ashr_i32 s10, s1, 31
	s_add_u32 s0, s8, s10
	s_mov_b32 s11, s10
	s_addc_u32 s1, s1, s10
	s_xor_b64 s[0:1], s[0:1], s[10:11]
	v_readfirstlane_b32 s14, v2
	s_mul_i32 s13, s0, s9
	s_mul_hi_u32 s15, s0, s14
	s_mul_hi_u32 s12, s0, s9
	s_add_u32 s13, s15, s13
	s_addc_u32 s12, 0, s12
	s_mul_hi_u32 s16, s1, s14
	s_mul_i32 s14, s1, s14
	s_add_u32 s13, s13, s14
	s_mul_hi_u32 s15, s1, s9
	s_addc_u32 s12, s12, s16
	s_addc_u32 s13, s15, 0
	s_mul_i32 s9, s1, s9
	s_add_u32 s9, s12, s9
	s_addc_u32 s12, 0, s13
	s_add_u32 s13, s9, 1
	s_addc_u32 s14, s12, 0
	s_add_u32 s15, s9, 2
	s_mul_i32 s17, s41, s12
	s_mul_hi_u32 s18, s41, s9
	s_addc_u32 s16, s12, 0
	s_add_i32 s18, s18, s17
	s_mul_i32 s17, s41, s9
	v_mov_b32_e32 v2, s17
	v_sub_co_u32_e32 v2, vcc, s0, v2
	s_cmp_lg_u64 vcc, 0
	s_subb_u32 s0, s1, s18
	v_subrev_co_u32_e32 v4, vcc, s41, v2
	s_cmp_lg_u64 vcc, 0
	s_subb_u32 s1, s0, 0
	v_readfirstlane_b32 s17, v4
	s_cmp_ge_u32 s17, s41
	s_cselect_b32 s17, -1, 0
	s_cmp_eq_u32 s1, 0
	s_cselect_b32 s1, s17, -1
	s_cmp_lg_u32 s1, 0
	s_cselect_b32 s1, s16, s14
	v_readfirstlane_b32 s14, v2
	s_cselect_b32 s13, s15, s13
	s_cmp_ge_u32 s14, s41
	s_cselect_b32 s14, -1, 0
	s_cmp_eq_u32 s0, 0
	s_cselect_b32 s0, s14, -1
	s_cmp_lg_u32 s0, 0
	s_cselect_b32 s1, s1, s12
	s_cselect_b32 s0, s13, s9
	s_xor_b64 s[0:1], s[0:1], s[10:11]
	s_sub_u32 s54, s0, s10
	s_branch .LBB25_3
.LBB25_2:
	s_mov_b64 s[2:3], -1
                                        ; implicit-def: $sgpr54_sgpr55
.LBB25_3:
	s_load_dwordx2 s[0:1], s[4:5], 0x74
	v_cvt_f32_u32_e32 v2, s41
	s_andn2_b64 vcc, exec, s[2:3]
	s_waitcnt lgkmcnt(0)
	v_writelane_b32 v210, s0, 4
	v_writelane_b32 v210, s1, 5
	s_cbranch_vccnz .LBB25_5
; %bb.4:
	v_rcp_iflag_f32_e32 v4, v2
	s_sub_i32 s0, 0, s41
	v_mul_f32_e32 v4, 0x4f7ffffe, v4
	v_cvt_u32_f32_e32 v4, v4
	v_readfirstlane_b32 s1, v4
	s_mul_i32 s0, s0, s1
	s_mul_hi_u32 s0, s1, s0
	s_add_i32 s1, s1, s0
	s_mul_hi_u32 s0, s8, s1
	s_mul_i32 s2, s0, s41
	s_sub_i32 s2, s8, s2
	s_add_i32 s1, s0, 1
	s_sub_i32 s3, s2, s41
	s_cmp_ge_u32 s2, s41
	s_cselect_b32 s0, s1, s0
	s_cselect_b32 s2, s3, s2
	s_add_i32 s1, s0, 1
	s_cmp_ge_u32 s2, s41
	s_cselect_b32 s54, s1, s0
.LBB25_5:
	s_add_i32 s0, s51, 1
	s_mul_i32 s1, s7, s0
	s_mul_hi_u32 s2, s6, s0
	s_add_i32 s3, s2, s1
	s_mov_b32 s2, 0
	s_cmp_lg_u64 s[2:3], 0
	s_mul_i32 s2, s6, s0
	s_cbranch_scc0 .LBB25_324
; %bb.6:
	v_madmk_f32 v1, v3, 0x4f800000, v1
	v_rcp_f32_e32 v1, v1
	s_sub_u32 s6, 0, s41
	s_subb_u32 s7, 0, 0
	v_mul_f32_e32 v1, 0x5f7ffffc, v1
	v_mul_f32_e32 v3, 0x2f800000, v1
	v_trunc_f32_e32 v3, v3
	v_madmk_f32 v1, v3, 0xcf800000, v1
	v_cvt_u32_f32_e32 v3, v3
	v_cvt_u32_f32_e32 v1, v1
	v_readfirstlane_b32 s8, v3
	v_readfirstlane_b32 s9, v1
	s_mul_hi_u32 s11, s6, s9
	s_mul_i32 s12, s6, s8
	s_mul_i32 s10, s7, s9
	s_add_i32 s11, s11, s12
	s_add_i32 s11, s11, s10
	s_mul_i32 s13, s6, s9
	s_mul_hi_u32 s10, s9, s11
	s_mul_i32 s12, s9, s11
	s_mul_hi_u32 s9, s9, s13
	s_add_u32 s9, s9, s12
	s_addc_u32 s10, 0, s10
	s_mul_hi_u32 s14, s8, s13
	s_mul_i32 s13, s8, s13
	s_add_u32 s9, s9, s13
	s_mul_hi_u32 s12, s8, s11
	s_addc_u32 s9, s10, s14
	s_addc_u32 s10, s12, 0
	s_mul_i32 s11, s8, s11
	s_add_u32 s9, s9, s11
	s_addc_u32 s10, 0, s10
	v_add_co_u32_e32 v1, vcc, s9, v1
	s_cmp_lg_u64 vcc, 0
	s_addc_u32 s8, s8, s10
	v_readfirstlane_b32 s10, v1
	s_mul_i32 s9, s6, s8
	s_mul_hi_u32 s11, s6, s10
	s_add_i32 s9, s11, s9
	s_mul_i32 s7, s7, s10
	s_add_i32 s9, s9, s7
	s_mul_i32 s6, s6, s10
	s_mul_hi_u32 s11, s8, s6
	s_mul_i32 s12, s8, s6
	s_mul_i32 s14, s10, s9
	s_mul_hi_u32 s6, s10, s6
	s_mul_hi_u32 s13, s10, s9
	s_add_u32 s6, s6, s14
	s_addc_u32 s10, 0, s13
	s_add_u32 s6, s6, s12
	s_mul_hi_u32 s7, s8, s9
	s_addc_u32 s6, s10, s11
	s_addc_u32 s7, s7, 0
	s_mul_i32 s9, s8, s9
	s_add_u32 s6, s6, s9
	s_addc_u32 s7, 0, s7
	v_add_co_u32_e32 v1, vcc, s6, v1
	s_cmp_lg_u64 vcc, 0
	s_addc_u32 s10, s8, s7
	s_ashr_i32 s6, s3, 31
	s_add_u32 s8, s2, s6
	s_mov_b32 s7, s6
	s_addc_u32 s9, s3, s6
	s_xor_b64 s[8:9], s[8:9], s[6:7]
	v_readfirstlane_b32 s12, v1
	s_mul_i32 s11, s8, s10
	s_mul_hi_u32 s13, s8, s12
	s_mul_hi_u32 s3, s8, s10
	s_add_u32 s11, s13, s11
	s_addc_u32 s3, 0, s3
	s_mul_hi_u32 s14, s9, s12
	s_mul_i32 s12, s9, s12
	s_add_u32 s11, s11, s12
	s_mul_hi_u32 s13, s9, s10
	s_addc_u32 s3, s3, s14
	s_addc_u32 s11, s13, 0
	s_mul_i32 s10, s9, s10
	s_add_u32 s3, s3, s10
	s_addc_u32 s10, 0, s11
	s_add_u32 s11, s3, 1
	s_addc_u32 s12, s10, 0
	s_add_u32 s13, s3, 2
	s_mul_i32 s15, s41, s10
	s_mul_hi_u32 s16, s41, s3
	s_addc_u32 s14, s10, 0
	s_add_i32 s16, s16, s15
	s_mul_i32 s15, s41, s3
	v_mov_b32_e32 v1, s15
	v_sub_co_u32_e32 v1, vcc, s8, v1
	s_cmp_lg_u64 vcc, 0
	s_subb_u32 s8, s9, s16
	v_subrev_co_u32_e32 v3, vcc, s41, v1
	s_cmp_lg_u64 vcc, 0
	s_subb_u32 s9, s8, 0
	v_readfirstlane_b32 s15, v3
	s_cmp_ge_u32 s15, s41
	s_cselect_b32 s15, -1, 0
	s_cmp_eq_u32 s9, 0
	s_cselect_b32 s9, s15, -1
	s_cmp_lg_u32 s9, 0
	s_cselect_b32 s9, s14, s12
	v_readfirstlane_b32 s12, v1
	s_cselect_b32 s11, s13, s11
	s_cmp_ge_u32 s12, s41
	s_cselect_b32 s12, -1, 0
	s_cmp_eq_u32 s8, 0
	s_cselect_b32 s8, s12, -1
	s_cmp_lg_u32 s8, 0
	s_cselect_b32 s9, s9, s10
	s_cselect_b32 s8, s11, s3
	s_xor_b64 s[8:9], s[8:9], s[6:7]
	s_sub_u32 s58, s8, s6
	s_load_dwordx2 s[44:45], s[4:5], 0x5c
	s_cbranch_execnz .LBB25_8
.LBB25_7:
	v_rcp_iflag_f32_e32 v1, v2
	s_sub_i32 s0, 0, s41
	v_mul_f32_e32 v1, 0x4f7ffffe, v1
	v_cvt_u32_f32_e32 v1, v1
	v_readfirstlane_b32 s1, v1
	s_mul_i32 s0, s0, s1
	s_mul_hi_u32 s0, s1, s0
	s_add_i32 s1, s1, s0
	s_mul_hi_u32 s0, s2, s1
	s_mul_i32 s3, s0, s41
	s_sub_i32 s2, s2, s3
	s_add_i32 s1, s0, 1
	s_sub_i32 s3, s2, s41
	s_cmp_ge_u32 s2, s41
	s_cselect_b32 s0, s1, s0
	s_cselect_b32 s2, s3, s2
	s_add_i32 s1, s0, 1
	s_cmp_ge_u32 s2, s41
	s_cselect_b32 s58, s1, s0
.LBB25_8:
	s_abs_i32 s83, s82
	v_cvt_f32_u32_e32 v1, s83
	v_readlane_b32 s2, v210, 4
	s_ashr_i32 s53, s2, 3
	s_sub_i32 s2, 0, s83
	v_rcp_iflag_f32_e32 v1, v1
	s_load_dwordx16 s[12:27], s[4:5], 0x0
	s_load_dword s6, s[4:5], 0x40
	s_load_dword s34, s[4:5], 0x54
	s_load_dwordx2 s[0:1], s[4:5], 0x8c
	s_load_dwordx4 s[36:39], s[4:5], 0x98
	s_load_dwordx2 s[46:47], s[4:5], 0xa8
	s_load_dwordx2 s[10:11], s[4:5], 0xb8
	;; [unrolled: 1-line block ×3, first 2 shown]
	v_readlane_b32 s3, v210, 5
	s_waitcnt lgkmcnt(0)
	v_writelane_b32 v210, s0, 6
	v_mul_f32_e32 v1, 0x4f7ffffe, v1
	v_cvt_u32_f32_e32 v1, v1
	v_writelane_b32 v210, s1, 7
	s_abs_i32 s1, s54
	s_ashr_i32 s55, s31, 3
	v_readfirstlane_b32 s50, v1
	s_mul_i32 s2, s2, s50
	s_mul_hi_u32 s2, s50, s2
	s_add_i32 s50, s50, s2
	s_mul_hi_u32 s2, s1, s50
	s_mul_i32 s2, s2, s83
	s_sub_i32 s1, s1, s2
	s_ashr_i32 s40, s0, 2
	s_ashr_i32 s42, s11, 1
	;; [unrolled: 1-line block ×5, first 2 shown]
	s_sub_i32 s2, s1, s83
	s_cmp_ge_u32 s1, s83
	s_cselect_b32 s1, s2, s1
	s_sub_i32 s2, s1, s83
	s_cmp_ge_u32 s1, s83
	s_cselect_b32 s1, s2, s1
	s_xor_b32 s1, s1, s0
	s_sub_i32 s74, s1, s0
	s_sub_i32 s0, s58, s54
	s_add_i32 s2, s0, s74
	s_min_i32 s62, s82, s2
	s_cmp_gt_i32 s58, s54
	s_cselect_b64 s[8:9], -1, 0
	s_cmp_le_i32 s58, s54
	v_cvt_f16_f32_e32 v1, s6
	s_cselect_b64 s[0:1], -1, 0
	s_cmp_gt_i32 s82, s2
	s_cselect_b64 s[2:3], -1, 0
	s_or_b64 s[0:1], s[2:3], s[0:1]
	v_bfe_u32 v55, v0, 10, 10
	s_mov_b32 s61, 0
	s_and_b64 vcc, exec, s[0:1]
	v_pack_b32_f16 v61, v1, v1
	v_lshlrev_b32_e32 v57, 2, v55
	v_and_b32_e32 v59, 3, v55
	v_and_b32_e32 v67, 1, v55
	v_lshrrev_b32_e32 v77, 1, v55
	v_add_u32_e32 v75, 4, v55
	v_add_u32_e32 v73, 8, v55
	v_add_u32_e32 v63, 12, v55
	s_cbranch_vccz .LBB25_11
; %bb.9:
	s_andn2_b64 vcc, exec, s[8:9]
	s_cbranch_vccz .LBB25_304
.LBB25_10:
	s_endpgm
.LBB25_11:
	s_cmp_eq_u64 s[20:21], 0
	v_writelane_b32 v210, s41, 8
	s_cselect_b64 s[0:1], -1, 0
	v_writelane_b32 v210, s0, 9
	s_cmp_lg_u64 s[22:23], 0
	v_writelane_b32 v210, s1, 10
	s_cselect_b64 s[0:1], -1, 0
	v_and_b32_e32 v22, 0x3ff, v0
	v_writelane_b32 v210, s0, 11
	v_lshrrev_b32_e32 v5, 3, v22
	v_writelane_b32 v210, s1, 12
	v_and_b32_e32 v3, 0x3f0, v57
	s_movk_i32 s1, 0x110
	v_and_b32_e32 v1, 15, v22
	v_and_b32_e32 v5, 30, v5
	v_mad_u32_u24 v2, v3, s1, 0
	v_mul_u32_u24_e32 v4, 0x110, v1
	v_lshlrev_b32_e32 v6, 2, v5
	v_add3_u32 v79, v2, v4, v6
	v_lshrrev_b32_e32 v2, 5, v22
	v_lshl_add_u32 v81, v55, 1, v2
	v_lshlrev_b32_e32 v2, 1, v22
	v_and_b32_e32 v24, 62, v2
	v_lshrrev_b32_e32 v2, 4, v22
	v_add_u32_e32 v10, v2, v57
	v_lshlrev_b32_e32 v2, 2, v22
	v_mul_u32_u24_e32 v7, 0x90, v81
	v_and_b32_e32 v2, 60, v2
	v_lshlrev_b32_e32 v18, 4, v55
	v_lshlrev_b32_e32 v11, 1, v24
	v_mul_u32_u24_e32 v8, 0x110, v10
	v_and_b32_e32 v9, 48, v18
	v_add3_u32 v83, 0, v7, v11
	v_lshlrev_b32_e32 v7, 2, v2
	v_add3_u32 v85, 0, v8, v7
	v_mad_u32_u24 v7, v9, s1, 0
	v_add3_u32 v86, v7, v4, v6
	v_lshrrev_b32_e32 v4, 2, v22
	v_and_b32_e32 v6, 60, v4
	v_and_or_b32 v3, v22, 14, v3
	v_add_u16_e32 v8, v9, v6
	v_lshrrev_b32_e32 v3, 1, v3
	v_lshrrev_b16_e32 v8, 1, v8
	v_mul_u32_u24_e32 v3, 0x90, v3
	v_lshlrev_b32_e32 v8, 2, v8
	v_add3_u32 v87, 0, v3, v8
	v_mul_u32_u24_e32 v3, 0x88, v6
	v_or_b32_e32 v3, v3, v1
	v_or_b32_e32 v4, 3, v4
	s_lshl_b32 s60, s51, 4
	s_ashr_i32 s43, s42, 31
	s_ashr_i32 s41, s40, 31
	s_lshl_b32 s0, s40, 4
	s_ashr_i32 s31, s30, 31
	s_lshl_b32 s1, s30, 4
	v_mul_u32_u24_e32 v6, 0x110, v6
	v_mul_u32_u24_e32 v4, 0x110, v4
	v_lshl_add_u32 v88, v3, 1, v7
	v_lshlrev_b32_e32 v3, 1, v1
	s_lshl_b64 s[2:3], s[60:61], 3
	v_add3_u32 v89, v7, v6, v3
	v_add3_u32 v90, v7, v4, v3
	s_add_u32 s2, s26, s2
	v_or_b32_e32 v3, v57, v22
	s_addc_u32 s3, s27, s3
	v_lshlrev_b32_e32 v3, 3, v3
	v_mov_b32_e32 v4, s3
	v_add_co_u32_e32 v26, vcc, s2, v3
	v_lshrrev_b32_e32 v3, 2, v55
	v_addc_co_u32_e32 v27, vcc, 0, v4, vcc
	s_movk_i32 s6, 0x44
	v_or_b32_e32 v4, v18, v1
	v_add_u32_e32 v20, 1, v3
	v_mad_u32_u24 v19, v4, s6, v5
	v_lshlrev_b32_e32 v4, 2, v20
	v_and_b32_e32 v5, 15, v20
	s_movk_i32 s2, 0x1c0
	v_add_u32_e32 v23, 2, v3
	v_and_or_b32 v21, v4, s2, v5
	v_lshlrev_b32_e32 v4, 2, v23
	v_and_b32_e32 v5, 15, v23
	v_add_u32_e32 v45, 3, v3
	v_and_or_b32 v25, v4, s2, v5
	v_lshlrev_b32_e32 v4, 2, v45
	v_and_b32_e32 v5, 15, v45
	;; [unrolled: 4-line block ×13, first 2 shown]
	v_add_u32_e32 v58, 15, v3
	v_mad_u32_u24 v50, v55, s6, v22
	v_and_or_b32 v46, v4, s2, v5
	v_lshlrev_b32_e32 v3, 2, v58
	v_and_b32_e32 v5, 15, v58
	v_lshl_add_u32 v93, v50, 2, 0
	v_or_b32_e32 v50, v18, v22
	v_add_u32_e32 v18, v18, v22
	v_and_or_b32 v48, v3, s2, v5
	s_mov_b32 s2, s10
	s_abs_i32 s86, s10
	s_movk_i32 s10, 0xc0
	v_mul_u32_u24_e32 v95, 0x110, v18
	v_bfe_u32 v18, v55, 2, 4
	v_writelane_b32 v210, s51, 13
	v_and_or_b32 v18, v55, s10, v18
	v_readlane_b32 s52, v210, 3
	v_mul_u32_u24_e32 v97, 0x110, v18
	v_mad_u32_u24 v18, v18, s6, v22
	s_abs_i32 s57, s52
	v_lshl_add_u32 v98, v18, 2, 0
	v_mad_u32_u24 v18, v21, s6, v22
	v_cvt_f32_u32_e32 v4, s57
	v_lshl_add_u32 v100, v18, 2, 0
	v_mad_u32_u24 v18, v25, s6, v22
	v_lshl_add_u32 v103, v18, 2, 0
	v_mad_u32_u24 v18, v28, s6, v22
	v_lshl_add_u32 v105, v18, 2, 0
	v_mad_u32_u24 v18, v30, s6, v22
	v_readlane_b32 s51, v210, 2
	v_lshl_add_u32 v108, v18, 2, 0
	v_mad_u32_u24 v18, v31, s6, v22
	v_rcp_iflag_f32_e32 v4, v4
	s_abs_i32 s84, s51
	v_lshl_add_u32 v110, v18, 2, 0
	v_mad_u32_u24 v18, v33, s6, v22
	v_cvt_f32_u32_e32 v6, s84
	v_lshl_add_u32 v113, v18, 2, 0
	v_mad_u32_u24 v18, v34, s6, v22
	v_lshl_add_u32 v115, v18, 2, 0
	v_mad_u32_u24 v18, v36, s6, v22
	v_readlane_b32 s11, v210, 1
	v_lshl_add_u32 v118, v18, 2, 0
	v_mad_u32_u24 v18, v37, s6, v22
	v_mul_f32_e32 v3, 0x4f7ffffe, v4
	s_abs_i32 s85, s11
	v_lshl_add_u32 v120, v18, 2, 0
	v_mad_u32_u24 v18, v39, s6, v22
	v_cvt_u32_f32_e32 v3, v3
	v_rcp_iflag_f32_e32 v4, v6
	v_cvt_f32_u32_e32 v5, s85
	v_cvt_f32_u32_e32 v6, s86
	v_lshl_add_u32 v123, v18, 2, 0
	v_mad_u32_u24 v18, v40, s6, v22
	v_lshl_add_u32 v125, v18, 2, 0
	v_mad_u32_u24 v18, v42, s6, v22
	;; [unrolled: 2-line block ×4, first 2 shown]
	v_readfirstlane_b32 s7, v3
	v_rcp_iflag_f32_e32 v3, v5
	v_rcp_iflag_f32_e32 v5, v6
	v_lshl_add_u32 v133, v18, 2, 0
	v_mad_u32_u24 v18, v48, s6, v22
	v_lshl_add_u32 v135, v18, 2, 0
	v_and_b32_e32 v18, 31, v22
	v_lshlrev_b32_e32 v92, 2, v2
	v_mul_lo_u32 v2, s40, v10
	v_mul_lo_u32 v10, s30, v10
	v_lshlrev_b32_e32 v18, 2, v18
	v_writelane_b32 v210, s2, 14
	v_ashrrev_i32_e32 v11, 31, v10
	v_lshl_add_u32 v96, v19, 2, 0
	v_mov_b32_e32 v19, s19
	v_add_co_u32_e32 v136, vcc, s18, v18
	v_writelane_b32 v210, s3, 15
	v_mul_f32_e32 v3, 0x4f7ffffe, v3
	v_mul_f32_e32 v5, 0x4f7ffffe, v5
	v_add_u32_e32 v12, s1, v10
	v_mul_u32_u24_e32 v104, 0x110, v28
	v_lshrrev_b32_e32 v106, 1, v29
	s_ashr_i32 s6, s52, 31
	v_addc_co_u32_e32 v137, vcc, 0, v19, vcc
	v_lshlrev_b64 v[28:29], 2, v[10:11]
	v_mul_f32_e32 v4, 0x4f7ffffe, v4
	v_cvt_u32_f32_e32 v3, v3
	v_cvt_u32_f32_e32 v5, v5
	v_ashrrev_i32_e32 v13, 31, v12
	v_writelane_b32 v210, s6, 16
	s_sub_i32 s6, 0, s57
	v_mov_b32_e32 v10, s17
	v_add_co_u32_e32 v138, vcc, s16, v28
	v_cvt_u32_f32_e32 v4, v4
	v_add_u32_e32 v14, s1, v12
	v_mul_u32_u24_e32 v107, 0x110, v30
	v_mul_u32_u24_e32 v109, 0x110, v31
	s_mul_i32 s6, s6, s7
	v_addc_co_u32_e32 v139, vcc, v10, v29, vcc
	v_lshlrev_b64 v[30:31], 2, v[12:13]
	v_ashrrev_i32_e32 v15, 31, v14
	s_mul_hi_u32 s6, s7, s6
	v_add_co_u32_e32 v140, vcc, s16, v30
	s_sub_i32 s2, 0, s86
	v_add_u32_e32 v16, s1, v14
	v_lshrrev_b32_e32 v111, 1, v32
	v_mul_u32_u24_e32 v112, 0x110, v33
	s_add_i32 s6, s7, s6
	v_addc_co_u32_e32 v141, vcc, v10, v31, vcc
	v_lshlrev_b64 v[32:33], 2, v[14:15]
	v_readfirstlane_b32 s9, v3
	v_mul_lo_u32 v3, s2, v5
	v_ashrrev_i32_e32 v17, 31, v16
	v_writelane_b32 v210, s6, 17
	s_ashr_i32 s6, s51, 31
	v_add_co_u32_e32 v142, vcc, s16, v32
	v_readfirstlane_b32 s8, v4
	v_mul_hi_u32 v3, v5, v3
	v_mul_u32_u24_e32 v114, 0x110, v34
	v_lshrrev_b32_e32 v116, 1, v35
	v_writelane_b32 v210, s6, 18
	s_sub_i32 s6, 0, s84
	v_addc_co_u32_e32 v143, vcc, v10, v33, vcc
	v_lshlrev_b64 v[34:35], 2, v[16:17]
	v_add_u32_e32 v91, v5, v3
	v_ashrrev_i32_e32 v3, 31, v2
	s_mul_i32 s6, s6, s8
	v_add_co_u32_e32 v144, vcc, s16, v34
	v_add_u32_e32 v4, s0, v2
	v_mul_u32_u24_e32 v117, 0x110, v36
	v_mul_u32_u24_e32 v119, 0x110, v37
	s_mul_hi_u32 s6, s8, s6
	v_addc_co_u32_e32 v145, vcc, v10, v35, vcc
	v_lshlrev_b64 v[36:37], 2, v[2:3]
	v_ashrrev_i32_e32 v5, 31, v4
	s_add_i32 s6, s8, s6
	v_mov_b32_e32 v2, s15
	v_add_co_u32_e32 v146, vcc, s14, v36
	v_add_u32_e32 v6, s0, v4
	v_lshrrev_b32_e32 v121, 1, v38
	v_mul_u32_u24_e32 v122, 0x110, v39
	v_writelane_b32 v210, s6, 19
	s_ashr_i32 s6, s11, 31
	v_addc_co_u32_e32 v147, vcc, v2, v37, vcc
	v_lshlrev_b64 v[38:39], 2, v[4:5]
	v_ashrrev_i32_e32 v7, 31, v6
	v_writelane_b32 v210, s6, 20
	s_sub_i32 s6, 0, s85
	v_add_co_u32_e32 v148, vcc, s14, v38
	v_add_u32_e32 v8, s0, v6
	v_mul_u32_u24_e32 v124, 0x110, v40
	v_lshrrev_b32_e32 v126, 1, v41
	s_mul_i32 s6, s6, s9
	v_addc_co_u32_e32 v149, vcc, v2, v39, vcc
	v_lshlrev_b64 v[40:41], 2, v[6:7]
	v_ashrrev_i32_e32 v9, 31, v8
	s_mul_hi_u32 s6, s9, s6
	v_add_co_u32_e32 v150, vcc, s14, v40
	v_mul_u32_u24_e32 v127, 0x110, v42
	v_mul_u32_u24_e32 v129, 0x110, v43
	s_add_i32 s6, s9, s6
	v_addc_co_u32_e32 v151, vcc, v2, v41, vcc
	v_lshlrev_b64 v[42:43], 2, v[8:9]
	v_writelane_b32 v210, s6, 21
	s_lshl_b64 s[6:7], s[42:43], 1
	v_add_co_u32_e32 v152, vcc, s14, v42
	v_writelane_b32 v210, s6, 22
	v_addc_co_u32_e32 v153, vcc, v2, v43, vcc
	v_mbcnt_lo_u32_b32 v2, -1, 0
	s_movk_i32 s88, 0x80
	v_cmp_eq_u32_e64 s[0:1], 0, v59
	v_cmp_ne_u32_e64 s[2:3], 0, v59
	v_cmp_gt_u32_e64 s[4:5], 16, v22
	v_mul_u32_u24_e32 v94, 0x110, v50
	v_mul_u32_u24_e32 v99, 0x110, v21
	v_lshrrev_b32_e32 v101, 1, v23
	v_mul_u32_u24_e32 v102, 0x110, v25
	v_lshrrev_b32_e32 v131, 1, v44
	v_mul_u32_u24_e32 v132, 0x110, v46
	v_mul_u32_u24_e32 v134, 0x110, v48
	s_mov_b32 s35, s34
	v_writelane_b32 v210, s7, 23
	s_lshl_b64 s[68:69], s[30:31], 8
	s_lshl_b64 s[70:71], s[40:41], 8
	s_mov_b32 s43, 0x3f200000
	s_mov_b32 s67, 0x3fb8aa3b
	;; [unrolled: 1-line block ×4, first 2 shown]
	s_brev_b32 s59, -2
	s_mov_b32 s66, 0xc1a00000
	s_mov_b32 s7, 0x5040100
	v_mbcnt_hi_u32_b32 v154, -1, v2
	v_mov_b32_e32 v155, 0
	v_add_u32_e32 v156, 0x1100, v85
	v_add_u32_e32 v157, 0x2200, v85
	;; [unrolled: 1-line block ×10, first 2 shown]
	v_lshrrev_b32_e32 v166, 1, v75
	v_lshrrev_b32_e32 v167, 1, v73
	;; [unrolled: 1-line block ×5, first 2 shown]
	v_and_b32_e32 v44, 1, v20
	v_lshrrev_b32_e32 v171, 1, v45
	v_and_b32_e32 v46, 1, v45
	v_lshrrev_b32_e32 v172, 1, v47
	;; [unrolled: 2-line block ×7, first 2 shown]
	v_and_b32_e32 v58, 1, v58
	v_lshlrev_b32_e32 v60, 4, v1
	v_mov_b32_e32 v178, 0xbd5c1c4e
	v_mov_b32_e32 v179, 0x3e088382
	v_mov_b32_e32 v180, 0xbeaaaa99
	v_mov_b32_e32 v181, 0x7f800000
	v_and_b32_e32 v62, 1, v22
	v_mad_u64_u32 v[64:65], s[8:9], v67, s53, v[22:23]
	v_bfe_u32 v66, v55, 2, 1
	v_writelane_b32 v210, s53, 24
	s_branch .LBB25_14
.LBB25_12:                              ;   in Loop: Header=BB25_14 Depth=1
	s_or_b64 exec, exec, s[72:73]
	s_barrier
.LBB25_13:                              ;   in Loop: Header=BB25_14 Depth=1
	s_add_i32 s6, s54, s82
	s_abs_i32 s9, s6
	s_mul_hi_u32 s10, s9, s50
	s_mul_i32 s10, s10, s83
	s_sub_i32 s9, s9, s10
	s_ashr_i32 s8, s6, 31
	s_sub_i32 s10, s9, s83
	s_cmp_ge_u32 s9, s83
	s_cselect_b32 s9, s10, s9
	s_sub_i32 s10, s9, s83
	s_cmp_ge_u32 s9, s83
	s_cselect_b32 s9, s10, s9
	s_xor_b32 s9, s9, s8
	s_sub_i32 s8, s8, s9
	s_add_i32 s54, s6, s8
	s_sub_i32 s6, s58, s54
	s_min_i32 s62, s82, s6
	s_cmp_gt_i32 s58, s54
	s_cselect_b64 s[8:9], -1, 0
	s_cmp_le_i32 s82, s6
	s_cselect_b64 s[10:11], -1, 0
	s_and_b64 s[10:11], s[10:11], s[8:9]
	s_mov_b32 s74, 0
	s_and_b64 vcc, exec, s[10:11]
	s_cbranch_vccz .LBB25_303
.LBB25_14:                              ; =>This Loop Header: Depth=1
                                        ;     Child Loop BB25_183 Depth 2
                                        ;     Child Loop BB25_39 Depth 2
	s_ashr_i32 s6, s54, 31
	v_readlane_b32 s8, v210, 16
	s_xor_b32 s6, s6, s8
	s_abs_i32 s8, s54
	v_readlane_b32 s9, v210, 17
	s_mul_hi_u32 s9, s8, s9
	s_mul_i32 s10, s9, s57
	s_sub_i32 s8, s8, s10
	s_add_i32 s10, s9, 1
	s_sub_i32 s11, s8, s57
	s_cmp_ge_u32 s8, s57
	s_cselect_b32 s9, s10, s9
	s_cselect_b32 s8, s11, s8
	s_add_i32 s10, s9, 1
	s_cmp_ge_u32 s8, s57
	s_cselect_b32 s8, s10, s9
	s_xor_b32 s8, s8, s6
	s_sub_i32 s8, s8, s6
	v_readlane_b32 s6, v210, 3
	s_mul_i32 s6, s8, s6
	s_sub_i32 s6, s54, s6
	s_ashr_i32 s9, s6, 31
	v_readlane_b32 s10, v210, 18
	s_xor_b32 s9, s9, s10
	s_abs_i32 s10, s6
	v_readlane_b32 s11, v210, 19
	s_mul_hi_u32 s11, s10, s11
	s_mul_i32 s51, s11, s84
	s_sub_i32 s10, s10, s51
	s_add_i32 s51, s11, 1
	s_sub_i32 s52, s10, s84
	s_cmp_ge_u32 s10, s84
	s_cselect_b32 s11, s51, s11
	s_cselect_b32 s10, s52, s10
	s_add_i32 s51, s11, 1
	s_cmp_ge_u32 s10, s84
	s_cselect_b32 s10, s51, s11
	s_xor_b32 s10, s10, s9
	s_sub_i32 s9, s10, s9
	v_readlane_b32 s10, v210, 2
	s_mul_i32 s10, s9, s10
	s_sub_i32 s10, s6, s10
	;; [unrolled: 21-line block ×3, first 2 shown]
	s_ashr_i32 s11, s10, 31
	s_abs_i32 s10, s10
	s_mul_hi_u32 s51, s10, s50
	s_mul_i32 s52, s51, s83
	s_sub_i32 s10, s10, s52
	s_xor_b32 s11, s11, s38
	s_add_i32 s52, s51, 1
	s_sub_i32 s53, s10, s83
	s_cmp_ge_u32 s10, s83
	s_cselect_b32 s51, s52, s51
	s_cselect_b32 s10, s53, s10
	s_add_i32 s52, s51, 1
	s_cmp_ge_u32 s10, s83
	s_cselect_b32 s10, s52, s51
	v_readlane_b32 s52, v210, 11
	s_xor_b32 s10, s10, s11
	v_readlane_b32 s53, v210, 12
	s_andn2_b64 vcc, exec, s[52:53]
	s_sub_i32 s63, s10, s11
	s_cbranch_vccnz .LBB25_16
; %bb.15:                               ;   in Loop: Header=BB25_14 Depth=1
	v_readlane_b32 s10, v210, 0
	s_mul_i32 s10, s8, s10
	s_add_i32 s10, s63, s10
	s_ashr_i32 s11, s10, 31
	s_lshl_b64 s[10:11], s[10:11], 2
	s_add_u32 s10, s22, s10
	s_addc_u32 s11, s23, s11
	global_load_dword v1, v155, s[10:11]
	s_waitcnt vmcnt(0)
	v_readfirstlane_b32 s10, v1
	s_ashr_i32 s11, s10, 31
	s_lshr_b32 s11, s11, 26
	s_add_i32 s10, s10, s11
	s_ashr_i32 s10, s10, 6
	s_min_i32 s62, s62, s10
.LBB25_16:                              ;   in Loop: Header=BB25_14 Depth=1
	v_readlane_b32 s52, v210, 4
	v_readlane_b32 s53, v210, 5
	s_mul_i32 s10, s9, s33
	s_lshl_b32 s51, s6, 1
	s_mul_i32 s6, s8, s53
	s_add_i32 s10, s51, s10
	s_ashr_i32 s11, s6, 31
	s_add_u32 s6, s12, s6
	s_mul_i32 s52, s10, s52
	s_addc_u32 s11, s13, s11
	s_ashr_i32 s53, s52, 31
	s_add_u32 s92, s6, s52
	s_addc_u32 s93, s11, s53
	s_ashr_i32 s11, s8, 31
	s_mul_i32 s6, s8, s37
	s_mul_hi_u32 s52, s8, s36
	s_add_i32 s6, s52, s6
	s_mul_i32 s52, s11, s36
	s_add_i32 s64, s6, s52
	v_readlane_b32 s52, v210, 6
	s_mul_i32 s65, s8, s36
	v_readlane_b32 s53, v210, 7
	s_add_u32 s6, s14, s65
	s_mul_i32 s52, s9, s53
	s_addc_u32 s60, s15, s64
	s_ashr_i32 s53, s52, 31
	s_add_u32 s81, s6, s52
	s_addc_u32 s78, s60, s53
	s_abs_i32 s6, s8
	v_mul_hi_u32 v1, s6, v91
	v_mul_lo_u32 v1, v1, s86
	v_sub_u32_e32 v1, s6, v1
	s_mul_i32 s6, s28, s29
	v_subrev_u32_e32 v2, s86, v1
	v_cmp_le_u32_e32 vcc, s86, v1
	s_mul_i32 s6, s6, s8
	v_cndmask_b32_e32 v1, v1, v2, vcc
	s_add_i32 s6, s10, s6
	v_subrev_u32_e32 v2, s86, v1
	v_cmp_le_u32_e32 vcc, s86, v1
	s_lshl_b32 s60, s6, 6
	v_cndmask_b32_e32 v1, v1, v2, vcc
	s_lshl_b64 s[72:73], s[60:61], 3
	v_xor_b32_e32 v1, s11, v1
	s_add_u32 s87, s24, s72
	s_mul_i32 s60, s8, s47
	s_mul_hi_u32 s72, s8, s46
	v_subrev_u32_e32 v1, s11, v1
	s_addc_u32 s6, s25, s73
	s_add_i32 s60, s72, s60
	s_mul_i32 s11, s11, s46
	s_add_i32 s60, s60, s11
	s_mul_i32 s89, s8, s46
	s_add_u32 s8, s16, s89
	s_mul_i32 s90, s9, s39
	s_addc_u32 s11, s17, s60
	s_ashr_i32 s91, s90, 31
	s_add_u32 s79, s8, s90
	s_addc_u32 s80, s11, s91
	s_ashr_i32 s11, s10, 31
	s_lshl_b64 s[8:9], s[10:11], 2
	v_ashrrev_i32_e32 v2, 31, v1
	v_mul_lo_u32 v3, v1, s49
	v_mul_hi_u32 v4, v1, s48
	s_add_u32 s10, s20, s8
	v_add_u32_e32 v3, v4, v3
	v_mul_lo_u32 v2, v2, s48
	v_mul_lo_u32 v68, v1, s48
	s_addc_u32 s11, s21, s9
	v_readlane_b32 s8, v210, 9
	v_add_u32_e32 v69, v3, v2
	v_mov_b32_e32 v1, s19
	v_add_co_u32_e32 v182, vcc, s18, v68
	v_readlane_b32 s9, v210, 10
	v_addc_co_u32_e32 v65, vcc, v1, v69, vcc
	s_and_b64 s[8:9], s[8:9], exec
	v_or_b32_e32 v23, s51, v67
	s_cselect_b32 s73, 0, s11
	s_cselect_b32 s72, 0, s10
	s_cmp_lg_u32 s74, 0
	v_cmp_gt_i32_e32 vcc, s33, v23
	s_cbranch_scc0 .LBB25_35
; %bb.17:                               ;   in Loop: Header=BB25_14 Depth=1
	s_lshl_b32 s94, s63, 3
	v_add_u32_e32 v1, s94, v77
	v_cmp_le_i32_e64 s[8:9], s28, v1
	s_xor_b64 s[10:11], vcc, -1
	s_or_b64 s[8:9], s[8:9], s[10:11]
	s_and_saveexec_b64 s[76:77], s[8:9]
	s_xor_b64 s[8:9], exec, s[76:77]
	s_cbranch_execz .LBB25_19
; %bb.18:                               ;   in Loop: Header=BB25_14 Depth=1
	ds_write_b32 v93, v155
                                        ; implicit-def: $vgpr1
.LBB25_19:                              ;   in Loop: Header=BB25_14 Depth=1
	s_andn2_saveexec_b64 s[8:9], s[8:9]
	s_cbranch_execz .LBB25_21
; %bb.20:                               ;   in Loop: Header=BB25_14 Depth=1
	v_mad_u64_u32 v[2:3], s[76:77], v1, s55, v[64:65]
	v_ashrrev_i32_e32 v3, 31, v2
	v_lshlrev_b64 v[2:3], 3, v[2:3]
	v_mov_b32_e32 v1, s93
	v_add_co_u32_e32 v2, vcc, s92, v2
	v_addc_co_u32_e32 v3, vcc, v1, v3, vcc
	global_load_dwordx2 v[2:3], v[2:3], off
	s_waitcnt vmcnt(0)
	v_cvt_f16_f32_e32 v1, v2
	v_cvt_f16_f32_e32 v2, v3
	v_pack_b32_f16 v1, v1, v2
	v_pk_mul_f16 v1, v61, v1
	ds_write_b32 v93, v1
.LBB25_21:                              ;   in Loop: Header=BB25_14 Depth=1
	s_or_b64 exec, exec, s[8:9]
	v_add_u32_e32 v1, s94, v166
	v_cmp_le_i32_e32 vcc, s28, v1
	s_or_b64 s[8:9], vcc, s[10:11]
	s_and_saveexec_b64 s[76:77], s[8:9]
	s_xor_b64 s[8:9], exec, s[76:77]
	s_cbranch_execz .LBB25_23
; %bb.22:                               ;   in Loop: Header=BB25_14 Depth=1
	ds_write_b32 v93, v155 offset:1088
                                        ; implicit-def: $vgpr1
.LBB25_23:                              ;   in Loop: Header=BB25_14 Depth=1
	s_andn2_saveexec_b64 s[8:9], s[8:9]
	s_cbranch_execz .LBB25_25
; %bb.24:                               ;   in Loop: Header=BB25_14 Depth=1
	v_mad_u64_u32 v[2:3], s[76:77], v1, s55, v[64:65]
	v_ashrrev_i32_e32 v3, 31, v2
	v_lshlrev_b64 v[2:3], 3, v[2:3]
	v_mov_b32_e32 v1, s93
	v_add_co_u32_e32 v2, vcc, s92, v2
	v_addc_co_u32_e32 v3, vcc, v1, v3, vcc
	global_load_dwordx2 v[2:3], v[2:3], off
	s_waitcnt vmcnt(0)
	v_cvt_f16_f32_e32 v1, v2
	v_cvt_f16_f32_e32 v2, v3
	v_pack_b32_f16 v1, v1, v2
	v_pk_mul_f16 v1, v61, v1
	ds_write_b32 v93, v1 offset:1088
.LBB25_25:                              ;   in Loop: Header=BB25_14 Depth=1
	s_or_b64 exec, exec, s[8:9]
	v_add_u32_e32 v1, s94, v167
	v_cmp_le_i32_e32 vcc, s28, v1
	s_or_b64 s[8:9], vcc, s[10:11]
	s_and_saveexec_b64 s[76:77], s[8:9]
	s_xor_b64 s[8:9], exec, s[76:77]
	s_cbranch_execz .LBB25_27
; %bb.26:                               ;   in Loop: Header=BB25_14 Depth=1
	ds_write_b32 v93, v155 offset:2176
                                        ; implicit-def: $vgpr1
.LBB25_27:                              ;   in Loop: Header=BB25_14 Depth=1
	s_andn2_saveexec_b64 s[8:9], s[8:9]
	s_cbranch_execz .LBB25_29
; %bb.28:                               ;   in Loop: Header=BB25_14 Depth=1
	v_mad_u64_u32 v[2:3], s[76:77], v1, s55, v[64:65]
	v_ashrrev_i32_e32 v3, 31, v2
	v_lshlrev_b64 v[2:3], 3, v[2:3]
	v_mov_b32_e32 v1, s93
	v_add_co_u32_e32 v2, vcc, s92, v2
	v_addc_co_u32_e32 v3, vcc, v1, v3, vcc
	global_load_dwordx2 v[2:3], v[2:3], off
	s_waitcnt vmcnt(0)
	v_cvt_f16_f32_e32 v1, v2
	v_cvt_f16_f32_e32 v2, v3
	v_pack_b32_f16 v1, v1, v2
	v_pk_mul_f16 v1, v61, v1
	ds_write_b32 v93, v1 offset:2176
.LBB25_29:                              ;   in Loop: Header=BB25_14 Depth=1
	;; [unrolled: 28-line block ×3, first 2 shown]
	s_or_b64 exec, exec, s[8:9]
	s_waitcnt lgkmcnt(0)
	s_barrier
	ds_read2_b64 v[14:17], v79 offset1:4
	ds_read2_b64 v[10:13], v79 offset0:8 offset1:12
	ds_read2_b64 v[6:9], v79 offset0:16 offset1:20
	;; [unrolled: 1-line block ×3, first 2 shown]
	s_add_i32 s75, s62, -1
	s_cmp_gt_i32 s75, s74
	s_waitcnt lgkmcnt(0)
	s_barrier
	s_cbranch_scc1 .LBB25_36
; %bb.34:                               ;   in Loop: Header=BB25_14 Depth=1
	s_mov_b64 s[8:9], 0
	s_mov_b32 s10, 0xfeffffff
	s_mov_b32 s76, 0
	;; [unrolled: 1-line block ×3, first 2 shown]
	s_branch .LBB25_37
.LBB25_35:                              ;   in Loop: Header=BB25_14 Depth=1
	s_cbranch_execz .LBB25_13
	s_branch .LBB25_162
.LBB25_36:                              ;   in Loop: Header=BB25_14 Depth=1
	s_mov_b64 s[8:9], -1
                                        ; implicit-def: $sgpr11
                                        ; implicit-def: $sgpr76
                                        ; implicit-def: $sgpr10
.LBB25_37:                              ;   in Loop: Header=BB25_14 Depth=1
	v_add_u32_e32 v1, s94, v81
	v_mul_hi_u32 v18, s44, v1
	v_add_u32_e32 v18, v1, v18
	v_lshrrev_b32_e32 v18, s45, v18
	v_mul_lo_u32 v18, v18, s28
	v_sub_u32_e32 v1, v1, v18
	v_mad_i64_i32 v[20:21], vcc, v1, s42, 0
	s_andn2_b64 vcc, exec, s[8:9]
	v_mov_b32_e32 v25, s11
	v_mov_b32_e32 v1, s76
	;; [unrolled: 1-line block ×3, first 2 shown]
	v_lshlrev_b64 v[70:71], 1, v[20:21]
	v_mov_b32_e32 v45, s11
	v_mov_b32_e32 v47, s11
	;; [unrolled: 1-line block ×15, first 2 shown]
	s_cbranch_vccnz .LBB25_57
; %bb.38:                               ;   in Loop: Header=BB25_14 Depth=1
	v_add_co_u32_e32 v1, vcc, v182, v70
	v_addc_co_u32_e32 v18, vcc, v65, v71, vcc
	v_lshlrev_b32_e32 v19, 1, v24
	v_add_co_u32_e32 v51, vcc, v1, v19
	v_and_b32_e32 v1, 64, v154
	v_addc_co_u32_e32 v53, vcc, 0, v18, vcc
	v_add_u32_e32 v1, 64, v1
	v_xor_b32_e32 v18, 32, v154
	v_cmp_lt_i32_e32 vcc, v18, v1
	v_cndmask_b32_e32 v18, v154, v18, vcc
	v_lshlrev_b32_e32 v72, 2, v18
	v_xor_b32_e32 v18, 16, v154
	v_cmp_lt_i32_e32 vcc, v18, v1
	v_cndmask_b32_e32 v1, v154, v18, vcc
	v_mov_b32_e32 v189, 0
	v_lshlrev_b32_e32 v74, 2, v1
	s_lshl_b32 s8, s74, 6
	v_mov_b32_e32 v190, 0
	v_mov_b32_e32 v191, 0xfeffffff
	;; [unrolled: 1-line block ×17, first 2 shown]
.LBB25_39:                              ;   Parent Loop BB25_14 Depth=1
                                        ; =>  This Inner Loop Header: Depth=2
	s_ashr_i32 s9, s8, 31
	s_lshl_b64 s[10:11], s[8:9], 1
	v_add_co_u32_e32 v18, vcc, s10, v51
	v_mov_b32_e32 v1, s11
	v_addc_co_u32_e32 v19, vcc, v53, v1, vcc
	global_load_dword v1, v[18:19], off
	s_mul_hi_i32 s11, s8, s40
	s_mul_i32 s10, s8, s40
	s_lshl_b64 s[10:11], s[10:11], 2
	s_add_u32 s9, s81, s10
	s_addc_u32 s10, s78, s11
	v_mov_b32_e32 v18, s10
	s_waitcnt vmcnt(0)
	ds_write_b32 v83, v1 offset:17408
	v_add_co_u32_e32 v1, vcc, s9, v36
	v_addc_co_u32_e32 v19, vcc, v18, v37, vcc
	v_add_co_u32_e32 v18, vcc, v1, v92
	v_addc_co_u32_e32 v19, vcc, 0, v19, vcc
	global_load_dwordx4 v[18:21], v[18:19], off
	v_add_co_u32_e32 v1, vcc, s9, v38
	s_waitcnt vmcnt(0)
	ds_write_b128 v85, v[18:21]
	v_mov_b32_e32 v18, s10
	v_addc_co_u32_e32 v19, vcc, v18, v39, vcc
	v_add_co_u32_e32 v18, vcc, v1, v92
	v_addc_co_u32_e32 v19, vcc, 0, v19, vcc
	global_load_dwordx4 v[18:21], v[18:19], off
	v_add_co_u32_e32 v1, vcc, s9, v40
	s_waitcnt vmcnt(0)
	ds_write_b128 v156, v[18:21]
	v_mov_b32_e32 v18, s10
	;; [unrolled: 8-line block ×3, first 2 shown]
	v_addc_co_u32_e32 v19, vcc, v18, v43, vcc
	v_add_co_u32_e32 v18, vcc, v1, v92
	v_addc_co_u32_e32 v19, vcc, 0, v19, vcc
	global_load_dwordx4 v[18:21], v[18:19], off
                                        ; implicit-def: $vgpr1
	s_waitcnt vmcnt(0)
	ds_write_b128 v158, v[18:21]
	s_waitcnt lgkmcnt(0)
	s_barrier
	ds_read2_b64 v[18:21], v86 offset1:4
	s_waitcnt lgkmcnt(0)
	v_mfma_f32_16x16x16f16 v[192:195], v[18:19], v[14:15], 0
	v_mfma_f32_16x16x16f16 v[18:21], v[20:21], v[16:17], v[192:195]
	s_nop 7
	s_nop 1
	ds_read2_b64 v[192:195], v86 offset0:8 offset1:12
	s_waitcnt lgkmcnt(0)
	v_mfma_f32_16x16x16f16 v[18:21], v[192:193], v[10:11], v[18:21]
	v_mfma_f32_16x16x16f16 v[18:21], v[194:195], v[12:13], v[18:21]
	ds_read2_b64 v[192:195], v86 offset0:16 offset1:20
	s_waitcnt lgkmcnt(0)
	v_mfma_f32_16x16x16f16 v[18:21], v[192:193], v[6:7], v[18:21]
	v_mfma_f32_16x16x16f16 v[18:21], v[194:195], v[8:9], v[18:21]
	ds_read2_b64 v[192:195], v86 offset0:24 offset1:28
	s_waitcnt lgkmcnt(0)
	s_barrier
	v_mfma_f32_16x16x16f16 v[18:21], v[192:193], v[2:3], v[18:21]
	v_mfma_f32_16x16x16f16 v[18:21], v[194:195], v[4:5], v[18:21]
	s_nop 7
	s_nop 2
	v_cmp_nlt_f32_e64 s[10:11], |v18|, s43
	s_and_saveexec_b64 s[76:77], s[10:11]
	s_xor_b64 s[10:11], exec, s[76:77]
	s_cbranch_execz .LBB25_41
; %bb.40:                               ;   in Loop: Header=BB25_39 Depth=2
	v_add_f32_e64 v1, |v18|, |v18|
	v_mul_f32_e32 v192, 0x3fb8aa3b, v1
	v_rndne_f32_e32 v193, v192
	v_sub_f32_e32 v194, v192, v193
	v_fma_f32 v192, v1, s67, -v192
	v_fmac_f32_e32 v192, 0x32a5705f, v1
	v_add_f32_e32 v192, v194, v192
	v_cvt_i32_f32_e32 v193, v193
	v_exp_f32_e32 v192, v192
	v_cmp_ngt_f32_e32 vcc, s95, v1
	v_ldexp_f32 v192, v192, v193
	v_cndmask_b32_e32 v192, 0, v192, vcc
	v_cmp_nlt_f32_e32 vcc, s56, v1
	v_cndmask_b32_e32 v1, v181, v192, vcc
	v_add_f32_e32 v1, 1.0, v1
	v_rcp_f32_e32 v1, v1
	v_fma_f32 v1, v1, -2.0, 1.0
.LBB25_41:                              ;   in Loop: Header=BB25_39 Depth=2
	s_andn2_saveexec_b64 s[10:11], s[10:11]
; %bb.42:                               ;   in Loop: Header=BB25_39 Depth=2
	v_mul_f32_e32 v1, v18, v18
	v_mov_b32_e32 v192, 0x3ca908c9
	v_fmac_f32_e32 v192, 0xbbbac73d, v1
	v_fma_f32 v192, v1, v192, v178
	v_fma_f32 v192, v1, v192, v179
	v_fma_f32 v192, v1, v192, v180
	v_mul_f32_e64 v192, |v18|, v192
	v_fma_f32 v1, v1, v192, |v18|
; %bb.43:                               ;   in Loop: Header=BB25_39 Depth=2
	s_or_b64 exec, exec, s[10:11]
	v_cmp_nlt_f32_e64 s[10:11], |v19|, s43
                                        ; implicit-def: $vgpr192
	s_and_saveexec_b64 s[76:77], s[10:11]
	s_xor_b64 s[10:11], exec, s[76:77]
	s_cbranch_execz .LBB25_45
; %bb.44:                               ;   in Loop: Header=BB25_39 Depth=2
	v_add_f32_e64 v192, |v19|, |v19|
	v_mul_f32_e32 v193, 0x3fb8aa3b, v192
	v_rndne_f32_e32 v194, v193
	v_sub_f32_e32 v195, v193, v194
	v_fma_f32 v193, v192, s67, -v193
	v_fmac_f32_e32 v193, 0x32a5705f, v192
	v_add_f32_e32 v193, v195, v193
	v_cvt_i32_f32_e32 v194, v194
	v_exp_f32_e32 v193, v193
	v_cmp_ngt_f32_e32 vcc, s95, v192
	v_ldexp_f32 v193, v193, v194
	v_cndmask_b32_e32 v193, 0, v193, vcc
	v_cmp_nlt_f32_e32 vcc, s56, v192
	v_cndmask_b32_e32 v192, v181, v193, vcc
	v_add_f32_e32 v192, 1.0, v192
	v_rcp_f32_e32 v192, v192
	v_fma_f32 v192, v192, -2.0, 1.0
.LBB25_45:                              ;   in Loop: Header=BB25_39 Depth=2
	s_andn2_saveexec_b64 s[10:11], s[10:11]
; %bb.46:                               ;   in Loop: Header=BB25_39 Depth=2
	v_mul_f32_e32 v192, v19, v19
	v_mov_b32_e32 v193, 0x3ca908c9
	v_fmac_f32_e32 v193, 0xbbbac73d, v192
	v_fma_f32 v193, v192, v193, v178
	v_fma_f32 v193, v192, v193, v179
	v_fma_f32 v193, v192, v193, v180
	v_mul_f32_e64 v193, |v19|, v193
	v_fma_f32 v192, v192, v193, |v19|
; %bb.47:                               ;   in Loop: Header=BB25_39 Depth=2
	s_or_b64 exec, exec, s[10:11]
	v_cmp_nlt_f32_e64 s[10:11], |v20|, s43
                                        ; implicit-def: $vgpr193
	s_and_saveexec_b64 s[76:77], s[10:11]
	s_xor_b64 s[10:11], exec, s[76:77]
	s_cbranch_execz .LBB25_49
; %bb.48:                               ;   in Loop: Header=BB25_39 Depth=2
	v_add_f32_e64 v193, |v20|, |v20|
	v_mul_f32_e32 v194, 0x3fb8aa3b, v193
	v_rndne_f32_e32 v195, v194
	v_sub_f32_e32 v196, v194, v195
	v_fma_f32 v194, v193, s67, -v194
	v_fmac_f32_e32 v194, 0x32a5705f, v193
	v_add_f32_e32 v194, v196, v194
	v_cvt_i32_f32_e32 v195, v195
	v_exp_f32_e32 v194, v194
	v_cmp_ngt_f32_e32 vcc, s95, v193
	v_ldexp_f32 v194, v194, v195
	v_cndmask_b32_e32 v194, 0, v194, vcc
	v_cmp_nlt_f32_e32 vcc, s56, v193
	v_cndmask_b32_e32 v193, v181, v194, vcc
	v_add_f32_e32 v193, 1.0, v193
	v_rcp_f32_e32 v193, v193
	v_fma_f32 v193, v193, -2.0, 1.0
.LBB25_49:                              ;   in Loop: Header=BB25_39 Depth=2
	s_andn2_saveexec_b64 s[10:11], s[10:11]
; %bb.50:                               ;   in Loop: Header=BB25_39 Depth=2
	v_mul_f32_e32 v193, v20, v20
	v_mov_b32_e32 v194, 0x3ca908c9
	v_fmac_f32_e32 v194, 0xbbbac73d, v193
	v_fma_f32 v194, v193, v194, v178
	v_fma_f32 v194, v193, v194, v179
	;; [unrolled: 1-line block ×3, first 2 shown]
	v_mul_f32_e64 v194, |v20|, v194
	v_fma_f32 v193, v193, v194, |v20|
; %bb.51:                               ;   in Loop: Header=BB25_39 Depth=2
	s_or_b64 exec, exec, s[10:11]
	v_cmp_nlt_f32_e64 s[10:11], |v21|, s43
                                        ; implicit-def: $vgpr194
	s_and_saveexec_b64 s[76:77], s[10:11]
	s_xor_b64 s[10:11], exec, s[76:77]
	s_cbranch_execz .LBB25_53
; %bb.52:                               ;   in Loop: Header=BB25_39 Depth=2
	v_add_f32_e64 v194, |v21|, |v21|
	v_mul_f32_e32 v195, 0x3fb8aa3b, v194
	v_rndne_f32_e32 v196, v195
	v_sub_f32_e32 v197, v195, v196
	v_fma_f32 v195, v194, s67, -v195
	v_fmac_f32_e32 v195, 0x32a5705f, v194
	v_add_f32_e32 v195, v197, v195
	v_cvt_i32_f32_e32 v196, v196
	v_exp_f32_e32 v195, v195
	v_cmp_ngt_f32_e32 vcc, s95, v194
	v_ldexp_f32 v195, v195, v196
	v_cndmask_b32_e32 v195, 0, v195, vcc
	v_cmp_nlt_f32_e32 vcc, s56, v194
	v_cndmask_b32_e32 v194, v181, v195, vcc
	v_add_f32_e32 v194, 1.0, v194
	v_rcp_f32_e32 v194, v194
	v_fma_f32 v194, v194, -2.0, 1.0
.LBB25_53:                              ;   in Loop: Header=BB25_39 Depth=2
	s_andn2_saveexec_b64 s[10:11], s[10:11]
; %bb.54:                               ;   in Loop: Header=BB25_39 Depth=2
	v_mul_f32_e32 v194, v21, v21
	v_mov_b32_e32 v195, 0x3ca908c9
	v_fmac_f32_e32 v195, 0xbbbac73d, v194
	v_fma_f32 v195, v194, v195, v178
	v_fma_f32 v195, v194, v195, v179
	;; [unrolled: 1-line block ×3, first 2 shown]
	v_mul_f32_e64 v195, |v21|, v195
	v_fma_f32 v194, v194, v195, |v21|
; %bb.55:                               ;   in Loop: Header=BB25_39 Depth=2
	s_or_b64 exec, exec, s[10:11]
	v_bfi_b32 v18, s59, v1, v18
	v_add_u32_e32 v1, 0x4400, v87
	v_bfi_b32 v19, s59, v192, v19
	v_bfi_b32 v20, s59, v193, v20
	ds_read2_b32 v[192:193], v1 offset1:1
	v_bfi_b32 v21, s59, v194, v21
	s_mul_hi_i32 s11, s8, s30
	s_mul_i32 s10, s8, s30
	s_lshl_b64 s[10:11], s[10:11], 2
	s_waitcnt lgkmcnt(0)
	v_cvt_f32_f16_e32 v194, v192
	v_cvt_f32_f16_sdwa v195, v192 dst_sel:DWORD dst_unused:UNUSED_PAD src0_sel:WORD_1
	s_add_u32 s9, s79, s10
	s_addc_u32 s10, s80, s11
	s_add_i32 s74, s74, 1
	v_pk_fma_f32 v[194:195], v[18:19], s[34:35], v[194:195]
	v_add_f32_e32 v1, 0x40051340, v194
	v_add_f32_e32 v18, 0x40051340, v195
	v_max3_f32 v1, v191, v1, v18
	v_cvt_f32_f16_e32 v18, v193
	v_cvt_f32_f16_sdwa v19, v193 dst_sel:DWORD dst_unused:UNUSED_PAD src0_sel:WORD_1
	s_add_i32 s8, s8, 64
	s_cmp_lt_i32 s74, s75
	v_pk_fma_f32 v[20:21], v[20:21], s[34:35], v[18:19]
	v_add_f32_e32 v18, 0x40051340, v20
	v_add_f32_e32 v19, 0x40051340, v21
	v_max3_f32 v1, v1, v18, v19
	ds_bpermute_b32 v18, v72, v1
	s_waitcnt lgkmcnt(0)
	v_max_f32_e32 v18, v18, v18
	v_max_f32_e32 v1, v1, v18
	ds_bpermute_b32 v18, v74, v1
	s_waitcnt lgkmcnt(0)
	v_max_f32_e32 v18, v18, v18
	v_max_f32_e32 v18, v1, v18
	v_pk_add_f32 v[192:193], v[194:195], v[18:19] op_sel_hi:[1,0] neg_lo:[0,1] neg_hi:[0,1]
	v_mul_f32_e32 v1, 0x3fb8aa3b, v193
	v_fma_f32 v19, v193, s67, -v1
	v_rndne_f32_e32 v194, v1
	v_fmac_f32_e32 v19, 0x32a5705f, v193
	v_sub_f32_e32 v1, v1, v194
	v_add_f32_e32 v1, v1, v19
	v_exp_f32_e32 v1, v1
	v_cvt_i32_f32_e32 v19, v194
	v_cmp_ngt_f32_e32 vcc, s95, v193
	v_ldexp_f32 v1, v1, v19
	v_cndmask_b32_e32 v1, 0, v1, vcc
	v_cmp_nlt_f32_e32 vcc, s56, v193
	v_cndmask_b32_e32 v193, v181, v1, vcc
	v_mul_f32_e32 v1, 0x3fb8aa3b, v192
	v_fma_f32 v19, v192, s67, -v1
	v_rndne_f32_e32 v194, v1
	v_fmac_f32_e32 v19, 0x32a5705f, v192
	v_sub_f32_e32 v1, v1, v194
	v_add_f32_e32 v1, v1, v19
	v_exp_f32_e32 v1, v1
	v_cvt_i32_f32_e32 v19, v194
	v_cmp_ngt_f32_e32 vcc, s95, v192
	v_ldexp_f32 v1, v1, v19
	v_cndmask_b32_e32 v1, 0, v1, vcc
	v_cmp_nlt_f32_e32 vcc, s56, v192
	v_pk_add_f32 v[20:21], v[20:21], v[18:19] op_sel_hi:[1,0] neg_lo:[0,1] neg_hi:[0,1]
	v_cndmask_b32_e32 v192, v181, v1, vcc
	v_mul_f32_e32 v1, 0x3fb8aa3b, v21
	v_fma_f32 v19, v21, s67, -v1
	v_rndne_f32_e32 v194, v1
	v_fmac_f32_e32 v19, 0x32a5705f, v21
	v_sub_f32_e32 v1, v1, v194
	v_add_f32_e32 v1, v1, v19
	v_exp_f32_e32 v1, v1
	v_cvt_i32_f32_e32 v19, v194
	v_cmp_ngt_f32_e32 vcc, s95, v21
	v_ldexp_f32 v1, v1, v19
	v_cndmask_b32_e32 v1, 0, v1, vcc
	v_cmp_nlt_f32_e32 vcc, s56, v21
	v_cndmask_b32_e32 v21, v181, v1, vcc
	v_mul_f32_e32 v1, 0x3fb8aa3b, v20
	v_fma_f32 v19, v20, s67, -v1
	v_rndne_f32_e32 v194, v1
	v_fmac_f32_e32 v19, 0x32a5705f, v20
	v_sub_f32_e32 v1, v1, v194
	v_add_f32_e32 v1, v1, v19
	v_exp_f32_e32 v1, v1
	v_cvt_i32_f32_e32 v19, v194
	v_cmp_ngt_f32_e32 vcc, s95, v20
	v_ldexp_f32 v1, v1, v19
	v_sub_f32_e32 v19, v191, v18
	v_cndmask_b32_e32 v1, 0, v1, vcc
	v_cmp_nlt_f32_e32 vcc, s56, v20
	v_mul_f32_e32 v20, 0x3fb8aa3b, v19
	v_fma_f32 v191, v19, s67, -v20
	v_rndne_f32_e32 v195, v20
	v_fmac_f32_e32 v191, 0x32a5705f, v19
	v_sub_f32_e32 v20, v20, v195
	v_add_f32_e32 v20, v20, v191
	v_exp_f32_e32 v20, v20
	v_cvt_i32_f32_e32 v191, v195
	v_cndmask_b32_e32 v194, v181, v1, vcc
	v_cmp_ngt_f32_e32 vcc, s95, v19
	v_add_f32_e32 v1, v192, v193
	v_ldexp_f32 v20, v20, v191
	v_cndmask_b32_e32 v20, 0, v20, vcc
	v_cmp_nlt_f32_e32 vcc, s56, v19
	v_add_f32_e32 v1, v194, v1
	v_cndmask_b32_e32 v20, v181, v20, vcc
	v_cmp_le_f32_e32 vcc, s66, v19
	v_add_f32_e32 v1, v21, v1
	v_cndmask_b32_e32 v19, 0, v20, vcc
	v_fmac_f32_e32 v1, v190, v19
	v_cvt_f16_f32_e32 v19, v19
	v_cvt_f16_f32_e32 v20, v192
	;; [unrolled: 1-line block ×3, first 2 shown]
	v_mov_b32_e32 v190, s10
	v_pk_mul_f16 v45, v19, v45 op_sel_hi:[0,1]
	v_pk_mul_f16 v25, v19, v25 op_sel_hi:[0,1]
	;; [unrolled: 1-line block ×16, first 2 shown]
	v_cvt_f16_f32_e32 v188, v193
	v_pack_b32_f16 v20, v20, v188
	v_cvt_f16_f32_e32 v188, v194
	v_pack_b32_f16 v21, v188, v21
	v_add_co_u32_e32 v188, vcc, s9, v28
	v_addc_co_u32_e32 v191, vcc, v190, v29, vcc
	v_add_co_u32_e32 v190, vcc, v188, v92
	v_addc_co_u32_e32 v191, vcc, 0, v191, vcc
	global_load_dwordx4 v[190:193], v[190:191], off
	v_add_co_u32_e32 v188, vcc, s9, v30
	s_waitcnt vmcnt(0)
	ds_write_b128 v85, v[190:193]
	v_mov_b32_e32 v190, s10
	v_addc_co_u32_e32 v191, vcc, v190, v31, vcc
	v_add_co_u32_e32 v190, vcc, v188, v92
	v_addc_co_u32_e32 v191, vcc, 0, v191, vcc
	global_load_dwordx4 v[190:193], v[190:191], off
	v_add_co_u32_e32 v188, vcc, s9, v32
	s_waitcnt vmcnt(0)
	ds_write_b128 v156, v[190:193]
	v_mov_b32_e32 v190, s10
	;; [unrolled: 8-line block ×3, first 2 shown]
	v_addc_co_u32_e32 v191, vcc, v190, v35, vcc
	v_add_co_u32_e32 v190, vcc, v188, v92
	v_addc_co_u32_e32 v191, vcc, 0, v191, vcc
	global_load_dwordx4 v[190:193], v[190:191], off
	s_waitcnt vmcnt(0)
	ds_write_b128 v158, v[190:193]
	s_waitcnt lgkmcnt(0)
	s_barrier
	ds_read_u16 v188, v89 offset:272
	ds_read_u16 v194, v89 offset:544
	v_cvt_f32_f16_e32 v192, v25
	v_cvt_f32_f16_sdwa v193, v25 dst_sel:DWORD dst_unused:UNUSED_PAD src0_sel:WORD_1
	ds_read_u16 v25, v90
	ds_read_u16 v196, v90 offset:32
	v_cvt_f32_f16_e32 v190, v45
	v_cvt_f32_f16_sdwa v191, v45 dst_sel:DWORD dst_unused:UNUSED_PAD src0_sel:WORD_1
	s_waitcnt lgkmcnt(1)
	v_perm_b32 v195, v25, v194, s7
	ds_read_u16 v25, v88
	ds_read_u16 v197, v88 offset:32
	s_waitcnt lgkmcnt(1)
	v_perm_b32 v194, v188, v25, s7
	s_nop 1
	v_mfma_f32_16x16x16f16 v[190:193], v[194:195], v[20:21], v[190:193]
	s_nop 7
	s_nop 2
	v_cvt_f16_f32_e32 v25, v190
	v_cvt_f16_f32_e32 v45, v191
	;; [unrolled: 1-line block ×4, first 2 shown]
	v_cvt_f32_f16_sdwa v191, v49 dst_sel:DWORD dst_unused:UNUSED_PAD src0_sel:WORD_1
	v_pack_b32_f16 v45, v25, v45
	v_cvt_f32_f16_e32 v192, v47
	v_pack_b32_f16 v25, v188, v190
	ds_read_u16 v188, v159 offset:272
	ds_read_u16 v194, v159 offset:544
	v_cvt_f32_f16_e32 v190, v49
	v_cvt_f32_f16_sdwa v193, v47 dst_sel:DWORD dst_unused:UNUSED_PAD src0_sel:WORD_1
	s_waitcnt lgkmcnt(0)
	v_perm_b32 v195, v196, v194, s7
	v_perm_b32 v194, v188, v197, s7
	s_nop 1
	v_mfma_f32_16x16x16f16 v[190:193], v[194:195], v[20:21], v[190:193]
	s_nop 7
	s_nop 2
	v_cvt_f16_f32_e32 v47, v190
	v_cvt_f16_f32_e32 v49, v191
	v_cvt_f16_f32_e32 v188, v192
	v_cvt_f16_f32_e32 v190, v193
	v_cvt_f32_f16_sdwa v191, v78 dst_sel:DWORD dst_unused:UNUSED_PAD src0_sel:WORD_1
	v_pack_b32_f16 v49, v47, v49
	v_cvt_f32_f16_e32 v192, v76
	v_pack_b32_f16 v47, v188, v190
	ds_read_u16 v188, v88 offset:64
	ds_read_u16 v194, v160 offset:272
	ds_read_u16 v195, v160 offset:544
	ds_read_u16 v196, v90 offset:64
	v_cvt_f32_f16_e32 v190, v78
	v_cvt_f32_f16_sdwa v193, v76 dst_sel:DWORD dst_unused:UNUSED_PAD src0_sel:WORD_1
	s_waitcnt lgkmcnt(2)
	v_perm_b32 v194, v194, v188, s7
	s_waitcnt lgkmcnt(0)
	v_perm_b32 v195, v196, v195, s7
	s_nop 1
	v_mfma_f32_16x16x16f16 v[190:193], v[194:195], v[20:21], v[190:193]
	s_nop 7
	s_nop 2
	v_cvt_f16_f32_e32 v76, v190
	v_cvt_f16_f32_e32 v78, v191
	v_cvt_f16_f32_e32 v188, v192
	v_cvt_f16_f32_e32 v190, v193
	v_cvt_f32_f16_sdwa v191, v82 dst_sel:DWORD dst_unused:UNUSED_PAD src0_sel:WORD_1
	v_pack_b32_f16 v78, v76, v78
	v_cvt_f32_f16_e32 v192, v80
	v_pack_b32_f16 v76, v188, v190
	ds_read_u16 v188, v88 offset:96
	ds_read_u16 v194, v161 offset:272
	ds_read_u16 v195, v161 offset:544
	ds_read_u16 v196, v90 offset:96
	v_cvt_f32_f16_e32 v190, v82
	v_cvt_f32_f16_sdwa v193, v80 dst_sel:DWORD dst_unused:UNUSED_PAD src0_sel:WORD_1
	s_waitcnt lgkmcnt(2)
	v_perm_b32 v194, v194, v188, s7
	s_waitcnt lgkmcnt(0)
	;; [unrolled: 22-line block ×5, first 2 shown]
	v_perm_b32 v187, v196, v195, s7
	s_nop 1
	v_mfma_f32_16x16x16f16 v[190:193], v[186:187], v[20:21], v[190:193]
	s_nop 7
	s_nop 2
	v_cvt_f16_f32_e32 v186, v190
	v_cvt_f16_f32_e32 v188, v192
	;; [unrolled: 1-line block ×3, first 2 shown]
	ds_read_u16 v192, v88 offset:224
	ds_read_u16 v194, v165 offset:272
	;; [unrolled: 1-line block ×4, first 2 shown]
	v_cvt_f16_f32_e32 v187, v191
	v_cvt_f32_f16_sdwa v191, v19 dst_sel:DWORD dst_unused:UNUSED_PAD src0_sel:WORD_1
	s_waitcnt lgkmcnt(2)
	v_perm_b32 v192, v194, v192, s7
	s_waitcnt lgkmcnt(0)
	v_perm_b32 v193, v195, v193, s7
	v_pack_b32_f16 v187, v186, v187
	v_pack_b32_f16 v186, v188, v190
	v_cvt_f32_f16_e32 v188, v189
	v_cvt_f32_f16_sdwa v189, v189 dst_sel:DWORD dst_unused:UNUSED_PAD src0_sel:WORD_1
	v_cvt_f32_f16_e32 v190, v19
	s_barrier
	s_nop 0
	v_mfma_f32_16x16x16f16 v[188:191], v[192:193], v[20:21], v[188:191]
	s_nop 7
	s_nop 2
	v_cvt_f16_f32_e32 v19, v188
	v_cvt_f16_f32_e32 v20, v189
	;; [unrolled: 1-line block ×4, first 2 shown]
	v_pack_b32_f16 v189, v19, v20
	v_pack_b32_f16 v188, v21, v188
	s_cbranch_scc0 .LBB25_57
; %bb.56:                               ;   in Loop: Header=BB25_39 Depth=2
	v_mov_b32_e32 v190, v1
	v_mov_b32_e32 v191, v18
	s_branch .LBB25_39
.LBB25_57:                              ;   in Loop: Header=BB25_14 Depth=1
	s_lshl_b32 s8, s74, 6
	s_ashr_i32 s9, s8, 31
	s_lshl_b64 s[10:11], s[8:9], 1
	v_add_co_u32_e32 v19, vcc, s10, v182
	v_mov_b32_e32 v20, s11
	v_addc_co_u32_e32 v20, vcc, v65, v20, vcc
	v_add_co_u32_e32 v19, vcc, v19, v70
	v_addc_co_u32_e32 v21, vcc, v20, v71, vcc
	v_lshlrev_b32_e32 v20, 1, v24
	v_add_co_u32_e32 v20, vcc, v19, v20
	v_addc_co_u32_e32 v21, vcc, 0, v21, vcc
	global_load_dword v19, v[20:21], off
	s_mul_hi_i32 s11, s40, s8
	s_mul_i32 s10, s40, s8
	s_lshl_b64 s[10:11], s[10:11], 2
	s_add_u32 s9, s81, s10
	s_addc_u32 s10, s78, s11
	v_mov_b32_e32 v20, s10
	s_waitcnt vmcnt(0)
	ds_write_b32 v83, v19 offset:17408
	v_add_co_u32_e32 v19, vcc, s9, v36
	v_addc_co_u32_e32 v21, vcc, v20, v37, vcc
	v_add_co_u32_e32 v20, vcc, v19, v92
	v_addc_co_u32_e32 v21, vcc, 0, v21, vcc
	global_load_dwordx4 v[190:193], v[20:21], off
	v_add_co_u32_e32 v19, vcc, s9, v38
	v_mov_b32_e32 v20, s10
	v_addc_co_u32_e32 v21, vcc, v20, v39, vcc
	v_add_co_u32_e32 v20, vcc, v19, v92
	v_addc_co_u32_e32 v21, vcc, 0, v21, vcc
	v_add_co_u32_e32 v19, vcc, s9, v40
	s_waitcnt vmcnt(0)
	ds_write_b128 v85, v[190:193]
	global_load_dwordx4 v[190:193], v[20:21], off
	v_mov_b32_e32 v20, s10
	v_addc_co_u32_e32 v21, vcc, v20, v41, vcc
	v_add_co_u32_e32 v20, vcc, v19, v92
	v_addc_co_u32_e32 v21, vcc, 0, v21, vcc
	v_add_co_u32_e32 v19, vcc, s9, v42
	s_waitcnt vmcnt(0)
	ds_write_b128 v156, v[190:193]
	global_load_dwordx4 v[190:193], v[20:21], off
	v_mov_b32_e32 v20, s10
	v_addc_co_u32_e32 v21, vcc, v20, v43, vcc
	v_add_co_u32_e32 v20, vcc, v19, v92
	v_addc_co_u32_e32 v21, vcc, 0, v21, vcc
	s_waitcnt vmcnt(0)
	ds_write_b128 v157, v[190:193]
	global_load_dwordx4 v[190:193], v[20:21], off
	s_waitcnt vmcnt(0)
	ds_write_b128 v158, v[190:193]
	s_waitcnt lgkmcnt(0)
	s_barrier
	ds_read2_b64 v[190:193], v86 offset1:4
	s_waitcnt lgkmcnt(0)
	v_mfma_f32_16x16x16f16 v[194:197], v[190:191], v[14:15], 0
	v_mfma_f32_16x16x16f16 v[14:17], v[192:193], v[16:17], v[194:197]
	ds_read2_b64 v[190:193], v86 offset0:8 offset1:12
	s_waitcnt lgkmcnt(0)
	v_mfma_f32_16x16x16f16 v[14:17], v[190:191], v[10:11], v[14:17]
	v_mfma_f32_16x16x16f16 v[10:13], v[192:193], v[12:13], v[14:17]
	s_nop 7
	s_nop 1
	ds_read2_b64 v[14:17], v86 offset0:16 offset1:20
	s_waitcnt lgkmcnt(0)
	v_mfma_f32_16x16x16f16 v[10:13], v[14:15], v[6:7], v[10:13]
	v_mfma_f32_16x16x16f16 v[6:9], v[16:17], v[8:9], v[10:13]
	s_nop 7
	s_nop 1
	ds_read2_b64 v[10:13], v86 offset0:24 offset1:28
	s_waitcnt lgkmcnt(0)
	v_mfma_f32_16x16x16f16 v[6:9], v[10:11], v[2:3], v[6:9]
	s_barrier
	v_mfma_f32_16x16x16f16 v[2:5], v[12:13], v[4:5], v[6:9]
                                        ; implicit-def: $vgpr6
	s_nop 7
	s_nop 2
	v_cmp_nlt_f32_e64 s[10:11], |v2|, s43
	s_and_saveexec_b64 s[74:75], s[10:11]
	s_xor_b64 s[10:11], exec, s[74:75]
	s_cbranch_execz .LBB25_59
; %bb.58:                               ;   in Loop: Header=BB25_14 Depth=1
	v_add_f32_e64 v6, |v2|, |v2|
	v_mul_f32_e32 v7, 0x3fb8aa3b, v6
	v_rndne_f32_e32 v8, v7
	v_sub_f32_e32 v9, v7, v8
	v_fma_f32 v7, v6, s67, -v7
	v_fmac_f32_e32 v7, 0x32a5705f, v6
	v_add_f32_e32 v7, v9, v7
	v_cvt_i32_f32_e32 v8, v8
	v_exp_f32_e32 v7, v7
	v_cmp_ngt_f32_e32 vcc, s95, v6
	v_ldexp_f32 v7, v7, v8
	v_cndmask_b32_e32 v7, 0, v7, vcc
	v_cmp_nlt_f32_e32 vcc, s56, v6
	v_cndmask_b32_e32 v6, v181, v7, vcc
	v_add_f32_e32 v6, 1.0, v6
	v_rcp_f32_e32 v6, v6
	v_fma_f32 v6, v6, -2.0, 1.0
.LBB25_59:                              ;   in Loop: Header=BB25_14 Depth=1
	s_andn2_saveexec_b64 s[10:11], s[10:11]
; %bb.60:                               ;   in Loop: Header=BB25_14 Depth=1
	v_mul_f32_e32 v6, v2, v2
	v_mov_b32_e32 v7, 0x3ca908c9
	v_fmac_f32_e32 v7, 0xbbbac73d, v6
	v_fma_f32 v7, v6, v7, v178
	v_fma_f32 v7, v6, v7, v179
	;; [unrolled: 1-line block ×3, first 2 shown]
	v_mul_f32_e64 v7, |v2|, v7
	v_fma_f32 v6, v6, v7, |v2|
; %bb.61:                               ;   in Loop: Header=BB25_14 Depth=1
	s_or_b64 exec, exec, s[10:11]
	v_cmp_nlt_f32_e64 s[10:11], |v3|, s43
                                        ; implicit-def: $vgpr7
	s_and_saveexec_b64 s[74:75], s[10:11]
	s_xor_b64 s[10:11], exec, s[74:75]
	s_cbranch_execz .LBB25_63
; %bb.62:                               ;   in Loop: Header=BB25_14 Depth=1
	v_add_f32_e64 v7, |v3|, |v3|
	v_mul_f32_e32 v8, 0x3fb8aa3b, v7
	v_rndne_f32_e32 v9, v8
	v_sub_f32_e32 v10, v8, v9
	v_fma_f32 v8, v7, s67, -v8
	v_fmac_f32_e32 v8, 0x32a5705f, v7
	v_add_f32_e32 v8, v10, v8
	v_cvt_i32_f32_e32 v9, v9
	v_exp_f32_e32 v8, v8
	v_cmp_ngt_f32_e32 vcc, s95, v7
	v_ldexp_f32 v8, v8, v9
	v_cndmask_b32_e32 v8, 0, v8, vcc
	v_cmp_nlt_f32_e32 vcc, s56, v7
	v_cndmask_b32_e32 v7, v181, v8, vcc
	v_add_f32_e32 v7, 1.0, v7
	v_rcp_f32_e32 v7, v7
	v_fma_f32 v7, v7, -2.0, 1.0
.LBB25_63:                              ;   in Loop: Header=BB25_14 Depth=1
	s_andn2_saveexec_b64 s[10:11], s[10:11]
; %bb.64:                               ;   in Loop: Header=BB25_14 Depth=1
	v_mul_f32_e32 v7, v3, v3
	v_mov_b32_e32 v8, 0x3ca908c9
	v_fmac_f32_e32 v8, 0xbbbac73d, v7
	v_fma_f32 v8, v7, v8, v178
	v_fma_f32 v8, v7, v8, v179
	;; [unrolled: 1-line block ×3, first 2 shown]
	v_mul_f32_e64 v8, |v3|, v8
	v_fma_f32 v7, v7, v8, |v3|
; %bb.65:                               ;   in Loop: Header=BB25_14 Depth=1
	s_or_b64 exec, exec, s[10:11]
	v_cmp_nlt_f32_e64 s[10:11], |v4|, s43
                                        ; implicit-def: $vgpr8
	s_and_saveexec_b64 s[74:75], s[10:11]
	s_xor_b64 s[10:11], exec, s[74:75]
	s_cbranch_execz .LBB25_67
; %bb.66:                               ;   in Loop: Header=BB25_14 Depth=1
	v_add_f32_e64 v8, |v4|, |v4|
	v_mul_f32_e32 v9, 0x3fb8aa3b, v8
	v_rndne_f32_e32 v10, v9
	v_sub_f32_e32 v11, v9, v10
	v_fma_f32 v9, v8, s67, -v9
	v_fmac_f32_e32 v9, 0x32a5705f, v8
	v_add_f32_e32 v9, v11, v9
	v_cvt_i32_f32_e32 v10, v10
	v_exp_f32_e32 v9, v9
	v_cmp_ngt_f32_e32 vcc, s95, v8
	v_ldexp_f32 v9, v9, v10
	v_cndmask_b32_e32 v9, 0, v9, vcc
	v_cmp_nlt_f32_e32 vcc, s56, v8
	v_cndmask_b32_e32 v8, v181, v9, vcc
	v_add_f32_e32 v8, 1.0, v8
	v_rcp_f32_e32 v8, v8
	v_fma_f32 v8, v8, -2.0, 1.0
.LBB25_67:                              ;   in Loop: Header=BB25_14 Depth=1
	s_andn2_saveexec_b64 s[10:11], s[10:11]
; %bb.68:                               ;   in Loop: Header=BB25_14 Depth=1
	v_mul_f32_e32 v8, v4, v4
	v_mov_b32_e32 v9, 0x3ca908c9
	v_fmac_f32_e32 v9, 0xbbbac73d, v8
	v_fma_f32 v9, v8, v9, v178
	v_fma_f32 v9, v8, v9, v179
	;; [unrolled: 1-line block ×3, first 2 shown]
	v_mul_f32_e64 v9, |v4|, v9
	v_fma_f32 v8, v8, v9, |v4|
; %bb.69:                               ;   in Loop: Header=BB25_14 Depth=1
	s_or_b64 exec, exec, s[10:11]
	v_cmp_nlt_f32_e64 s[10:11], |v5|, s43
                                        ; implicit-def: $vgpr9
	s_and_saveexec_b64 s[74:75], s[10:11]
	s_xor_b64 s[10:11], exec, s[74:75]
	s_cbranch_execz .LBB25_71
; %bb.70:                               ;   in Loop: Header=BB25_14 Depth=1
	v_add_f32_e64 v9, |v5|, |v5|
	v_mul_f32_e32 v10, 0x3fb8aa3b, v9
	v_rndne_f32_e32 v11, v10
	v_sub_f32_e32 v12, v10, v11
	v_fma_f32 v10, v9, s67, -v10
	v_fmac_f32_e32 v10, 0x32a5705f, v9
	v_add_f32_e32 v10, v12, v10
	v_cvt_i32_f32_e32 v11, v11
	v_exp_f32_e32 v10, v10
	v_cmp_ngt_f32_e32 vcc, s95, v9
	v_ldexp_f32 v10, v10, v11
	v_cndmask_b32_e32 v10, 0, v10, vcc
	v_cmp_nlt_f32_e32 vcc, s56, v9
	v_cndmask_b32_e32 v9, v181, v10, vcc
	v_add_f32_e32 v9, 1.0, v9
	v_rcp_f32_e32 v9, v9
	v_fma_f32 v9, v9, -2.0, 1.0
.LBB25_71:                              ;   in Loop: Header=BB25_14 Depth=1
	s_andn2_saveexec_b64 s[10:11], s[10:11]
; %bb.72:                               ;   in Loop: Header=BB25_14 Depth=1
	v_mul_f32_e32 v9, v5, v5
	v_mov_b32_e32 v10, 0x3ca908c9
	v_fmac_f32_e32 v10, 0xbbbac73d, v9
	v_fma_f32 v10, v9, v10, v178
	v_fma_f32 v10, v9, v10, v179
	;; [unrolled: 1-line block ×3, first 2 shown]
	v_mul_f32_e64 v10, |v5|, v10
	v_fma_f32 v9, v9, v10, |v5|
; %bb.73:                               ;   in Loop: Header=BB25_14 Depth=1
	s_or_b64 exec, exec, s[10:11]
	v_bfi_b32 v2, s59, v6, v2
	v_add_u32_e32 v6, 0x4400, v87
	v_bfi_b32 v3, s59, v7, v3
	ds_read2_b32 v[6:7], v6 offset1:1
	v_bfi_b32 v4, s59, v8, v4
	v_and_b32_e32 v8, 64, v154
	v_bfi_b32 v5, s59, v9, v5
	v_add_u32_e32 v10, 64, v8
	s_waitcnt lgkmcnt(0)
	v_cvt_f32_f16_e32 v8, v6
	v_cvt_f32_f16_sdwa v9, v6 dst_sel:DWORD dst_unused:UNUSED_PAD src0_sel:WORD_1
	v_xor_b32_e32 v11, 32, v154
	v_cmp_lt_i32_e32 vcc, v11, v10
	v_cndmask_b32_e32 v6, v154, v11, vcc
	v_pk_fma_f32 v[8:9], v[2:3], s[34:35], v[8:9]
	v_cvt_f32_f16_e32 v2, v7
	v_cvt_f32_f16_sdwa v3, v7 dst_sel:DWORD dst_unused:UNUSED_PAD src0_sel:WORD_1
	v_lshlrev_b32_e32 v19, 2, v6
	v_add_f32_e32 v6, 0x40051340, v8
	v_add_f32_e32 v7, 0x40051340, v9
	v_pk_fma_f32 v[16:17], v[4:5], s[34:35], v[2:3]
	v_max3_f32 v6, v18, v6, v7
	v_add_f32_e32 v2, 0x40051340, v16
	v_add_f32_e32 v3, 0x40051340, v17
	v_max3_f32 v2, v6, v2, v3
	ds_bpermute_b32 v3, v19, v2
	v_xor_b32_e32 v4, 16, v154
	v_cmp_lt_i32_e32 vcc, v4, v10
	v_cndmask_b32_e32 v4, v154, v4, vcc
	v_lshlrev_b32_e32 v51, 2, v4
	s_waitcnt lgkmcnt(0)
	v_max_f32_e32 v3, v3, v3
	v_max_f32_e32 v2, v2, v3
	ds_bpermute_b32 v3, v51, v2
	s_mul_hi_i32 s9, s8, s30
	s_mul_i32 s8, s8, s30
	s_lshl_b64 s[8:9], s[8:9], 2
	s_add_u32 s8, s79, s8
	s_waitcnt lgkmcnt(0)
	v_max_f32_e32 v3, v3, v3
	v_max_f32_e32 v2, v2, v3
	v_pk_add_f32 v[20:21], v[8:9], v[2:3] op_sel_hi:[1,0] neg_lo:[0,1] neg_hi:[0,1]
	v_mul_f32_e32 v3, 0x3fb8aa3b, v21
	v_fma_f32 v4, v21, s67, -v3
	v_rndne_f32_e32 v5, v3
	v_fmac_f32_e32 v4, 0x32a5705f, v21
	v_sub_f32_e32 v3, v3, v5
	v_add_f32_e32 v3, v3, v4
	v_exp_f32_e32 v3, v3
	v_cvt_i32_f32_e32 v4, v5
	s_addc_u32 s9, s80, s9
	v_mov_b32_e32 v12, s9
	v_sub_f32_e32 v18, v18, v2
	v_ldexp_f32 v3, v3, v4
	v_mul_f32_e32 v4, 0x3fb8aa3b, v20
	v_fma_f32 v5, v20, s67, -v4
	v_rndne_f32_e32 v6, v4
	v_fmac_f32_e32 v5, 0x32a5705f, v20
	v_sub_f32_e32 v4, v4, v6
	v_add_f32_e32 v4, v4, v5
	v_exp_f32_e32 v53, v4
	v_mov_b32_e32 v4, s9
	v_add_co_u32_e32 v5, vcc, s8, v28
	v_cvt_i32_f32_e32 v72, v6
	v_addc_co_u32_e32 v6, vcc, v4, v29, vcc
	v_add_co_u32_e32 v4, vcc, v5, v92
	v_addc_co_u32_e32 v5, vcc, 0, v6, vcc
	v_mov_b32_e32 v6, s9
	v_add_co_u32_e32 v7, vcc, s8, v30
	v_addc_co_u32_e32 v6, vcc, v6, v31, vcc
	v_add_co_u32_e32 v8, vcc, v7, v92
	v_addc_co_u32_e32 v9, vcc, 0, v6, vcc
	v_add_co_u32_e32 v13, vcc, s8, v32
	v_addc_co_u32_e32 v14, vcc, v12, v33, vcc
	v_add_co_u32_e32 v12, vcc, v13, v92
	v_addc_co_u32_e32 v13, vcc, 0, v14, vcc
	v_mov_b32_e32 v14, s9
	v_add_co_u32_e32 v15, vcc, s8, v34
	v_addc_co_u32_e32 v14, vcc, v14, v35, vcc
	v_add_co_u32_e32 v70, vcc, v15, v92
	global_load_dwordx4 v[4:7], v[4:5], off
	s_nop 0
	global_load_dwordx4 v[8:11], v[8:9], off
	v_addc_co_u32_e32 v71, vcc, 0, v14, vcc
	global_load_dwordx4 v[12:15], v[12:13], off
	s_nop 0
	global_load_dwordx4 v[190:193], v[70:71], off
	v_cmp_ngt_f32_e32 vcc, s95, v21
	v_cndmask_b32_e32 v3, 0, v3, vcc
	v_cmp_nlt_f32_e32 vcc, s56, v21
	v_cndmask_b32_e32 v3, v181, v3, vcc
	v_pk_add_f32 v[16:17], v[16:17], v[2:3] op_sel_hi:[1,0] neg_lo:[0,1] neg_hi:[0,1]
	v_ldexp_f32 v21, v53, v72
	v_mul_f32_e32 v53, 0x3fb8aa3b, v17
	v_fma_f32 v70, v17, s67, -v53
	v_rndne_f32_e32 v71, v53
	v_fmac_f32_e32 v70, 0x32a5705f, v17
	v_sub_f32_e32 v53, v53, v71
	v_add_f32_e32 v53, v53, v70
	v_exp_f32_e32 v53, v53
	v_cvt_i32_f32_e32 v70, v71
	v_cmp_ngt_f32_e32 vcc, s95, v20
	v_cndmask_b32_e32 v21, 0, v21, vcc
	v_cmp_nlt_f32_e32 vcc, s56, v20
	v_cndmask_b32_e32 v20, v181, v21, vcc
	v_ldexp_f32 v21, v53, v70
	v_mul_f32_e32 v53, 0x3fb8aa3b, v16
	v_fma_f32 v70, v16, s67, -v53
	v_rndne_f32_e32 v71, v53
	v_fmac_f32_e32 v70, 0x32a5705f, v16
	v_sub_f32_e32 v53, v53, v71
	v_add_f32_e32 v53, v53, v70
	v_exp_f32_e32 v53, v53
	v_cvt_i32_f32_e32 v70, v71
	v_cmp_ngt_f32_e32 vcc, s95, v17
	v_cndmask_b32_e32 v21, 0, v21, vcc
	v_cmp_nlt_f32_e32 vcc, s56, v17
	v_cndmask_b32_e32 v17, v181, v21, vcc
	;; [unrolled: 13-line block ×3, first 2 shown]
	v_ldexp_f32 v53, v53, v70
	v_cmp_ngt_f32_e32 vcc, s95, v18
	v_cndmask_b32_e32 v53, 0, v53, vcc
	v_cmp_nlt_f32_e32 vcc, s56, v18
	v_cndmask_b32_e32 v53, v181, v53, vcc
	v_cmp_le_f32_e32 vcc, s66, v18
	v_cndmask_b32_e32 v18, 0, v53, vcc
	v_cvt_f16_f32_e32 v53, v18
	v_add_f32_e32 v21, v20, v3
	v_add_f32_e32 v21, v16, v21
	;; [unrolled: 1-line block ×3, first 2 shown]
	v_fmac_f32_e32 v72, v1, v18
	v_pk_mul_f16 v1, v53, v45 op_sel_hi:[0,1]
	v_pk_mul_f16 v70, v53, v82 op_sel_hi:[0,1]
	;; [unrolled: 1-line block ×5, first 2 shown]
	s_waitcnt vmcnt(3)
	ds_write_b128 v85, v[4:7]
	s_waitcnt vmcnt(2)
	ds_write_b128 v156, v[8:11]
	;; [unrolled: 2-line block ×4, first 2 shown]
	s_waitcnt lgkmcnt(0)
	s_barrier
	v_cvt_f32_f16_e32 v4, v1
	v_cvt_f32_f16_sdwa v5, v1 dst_sel:DWORD dst_unused:UNUSED_PAD src0_sel:WORD_1
	ds_read_u16 v1, v89 offset:272
	ds_read_u16 v7, v89 offset:544
	ds_read_u16 v8, v90
	ds_read_u16 v11, v90 offset:32
	ds_read_u16 v14, v90 offset:64
	;; [unrolled: 1-line block ×5, first 2 shown]
	v_pk_mul_f16 v18, v53, v25 op_sel_hi:[0,1]
	v_pk_mul_f16 v25, v53, v49 op_sel_hi:[0,1]
	;; [unrolled: 1-line block ×10, first 2 shown]
	v_cvt_f16_f32_e32 v20, v20
	v_cvt_f16_f32_e32 v3, v3
	;; [unrolled: 1-line block ×4, first 2 shown]
	s_waitcnt lgkmcnt(5)
	v_perm_b32 v9, v8, v7, s7
	ds_read_u16 v7, v88
	ds_read_u16 v12, v88 offset:32
	ds_read_u16 v185, v88 offset:64
	;; [unrolled: 1-line block ×7, first 2 shown]
	s_waitcnt lgkmcnt(7)
	v_perm_b32 v8, v1, v7, s7
	v_cvt_f32_f16_e32 v6, v18
	v_cvt_f32_f16_sdwa v7, v18 dst_sel:DWORD dst_unused:UNUSED_PAD src0_sel:WORD_1
	v_pack_b32_f16 v20, v20, v3
	v_pack_b32_f16 v21, v16, v17
	v_pk_mul_f16 v18, v53, v188 op_sel_hi:[0,1]
	v_cvt_f32_f16_e32 v10, v45
	v_mfma_f32_16x16x16f16 v[4:7], v[8:9], v[20:21], v[4:7]
	v_cvt_f32_f16_e32 v8, v25
	v_cvt_f32_f16_sdwa v9, v25 dst_sel:DWORD dst_unused:UNUSED_PAD src0_sel:WORD_1
	s_cmp_eq_u64 s[72:73], 0
	s_cselect_b64 s[8:9], -1, 0
	s_xor_b64 s[10:11], s[0:1], -1
	s_or_b64 s[8:9], s[10:11], s[8:9]
	s_nop 4
	v_cvt_f16_f32_e32 v1, v4
	v_cvt_f16_f32_e32 v3, v5
	ds_read_u16 v4, v159 offset:272
	ds_read_u16 v5, v159 offset:544
	;; [unrolled: 1-line block ×6, first 2 shown]
	s_waitcnt lgkmcnt(4)
	v_perm_b32 v13, v11, v5, s7
	v_perm_b32 v12, v4, v12, s7
	v_cvt_f32_f16_sdwa v11, v45 dst_sel:DWORD dst_unused:UNUSED_PAD src0_sel:WORD_1
	v_cvt_f16_f32_e32 v5, v6
	v_cvt_f16_f32_e32 v45, v7
	v_mfma_f32_16x16x16f16 v[6:9], v[12:13], v[20:21], v[8:11]
	s_waitcnt lgkmcnt(2)
	v_perm_b32 v13, v14, v17, s7
	v_perm_b32 v12, v16, v185, s7
	v_pack_b32_f16 v4, v1, v3
	s_waitcnt lgkmcnt(0)
	v_perm_b32 v17, v15, v53, s7
	s_nop 0
	v_cvt_f32_f16_e32 v10, v49
	v_cvt_f32_f16_sdwa v11, v49 dst_sel:DWORD dst_unused:UNUSED_PAD src0_sel:WORD_1
	v_perm_b32 v16, v25, v186, s7
	s_nop 0
	v_cvt_f16_f32_e32 v3, v6
	v_cvt_f16_f32_e32 v6, v7
	;; [unrolled: 1-line block ×4, first 2 shown]
	v_cvt_f32_f16_e32 v8, v47
	v_cvt_f32_f16_sdwa v9, v47 dst_sel:DWORD dst_unused:UNUSED_PAD src0_sel:WORD_1
	v_cvt_f32_f16_e32 v14, v71
	v_cvt_f32_f16_sdwa v15, v71 dst_sel:DWORD dst_unused:UNUSED_PAD src0_sel:WORD_1
	v_mfma_f32_16x16x16f16 v[8:11], v[12:13], v[20:21], v[8:11]
	v_cvt_f32_f16_e32 v12, v70
	v_cvt_f32_f16_sdwa v13, v70 dst_sel:DWORD dst_unused:UNUSED_PAD src0_sel:WORD_1
	v_pack_b32_f16 v1, v5, v45
	v_pack_b32_f16 v5, v7, v194
	;; [unrolled: 1-line block ×3, first 2 shown]
	ds_read_u16 v188, v90 offset:192
	ds_read_u16 v193, v90 offset:224
	v_cvt_f32_f16_sdwa v185, v78 dst_sel:DWORD dst_unused:UNUSED_PAD src0_sel:WORD_1
	s_nop 2
	v_cvt_f16_f32_e32 v7, v9
	v_cvt_f16_f32_e32 v9, v10
	;; [unrolled: 1-line block ×3, first 2 shown]
	v_mfma_f32_16x16x16f16 v[10:13], v[16:17], v[20:21], v[12:15]
	v_cvt_f16_f32_e32 v3, v8
	v_cvt_f32_f16_e32 v186, v80
	v_pack_b32_f16 v8, v3, v7
	s_nop 3
	v_cvt_f32_f16_e32 v14, v76
	s_nop 2
	v_cvt_f16_f32_e32 v3, v10
	v_cvt_f16_f32_e32 v10, v11
	;; [unrolled: 1-line block ×4, first 2 shown]
	v_cvt_f32_f16_e32 v12, v74
	v_cvt_f32_f16_sdwa v13, v74 dst_sel:DWORD dst_unused:UNUSED_PAD src0_sel:WORD_1
	ds_read_u16 v7, v162 offset:272
	ds_read_u16 v15, v162 offset:544
	;; [unrolled: 1-line block ×8, first 2 shown]
	s_waitcnt lgkmcnt(6)
	v_perm_b32 v17, v184, v15, s7
	v_perm_b32 v16, v7, v189, s7
	v_cvt_f32_f16_sdwa v15, v76 dst_sel:DWORD dst_unused:UNUSED_PAD src0_sel:WORD_1
	v_cvt_f32_f16_e32 v184, v78
	v_pack_b32_f16 v7, v9, v25
	v_mfma_f32_16x16x16f16 v[12:15], v[16:17], v[20:21], v[12:15]
	s_waitcnt lgkmcnt(4)
	v_perm_b32 v17, v187, v49, s7
	v_perm_b32 v16, v47, v190, s7
	v_cvt_f32_f16_sdwa v187, v80 dst_sel:DWORD dst_unused:UNUSED_PAD src0_sel:WORD_1
	v_pack_b32_f16 v9, v11, v45
	v_pack_b32_f16 v10, v3, v10
	s_waitcnt lgkmcnt(0)
	v_perm_b32 v71, v193, v71, s7
	v_cvt_f32_f16_sdwa v189, v183 dst_sel:DWORD dst_unused:UNUSED_PAD src0_sel:WORD_1
	s_nop 1
	v_cvt_f16_f32_e32 v11, v13
	v_cvt_f16_f32_e32 v13, v14
	;; [unrolled: 1-line block ×3, first 2 shown]
	v_mfma_f32_16x16x16f16 v[14:17], v[16:17], v[20:21], v[184:187]
	v_cvt_f16_f32_e32 v3, v12
	v_cvt_f32_f16_e32 v190, v18
	s_barrier
	v_pack_b32_f16 v12, v3, v11
	s_nop 2
	v_cvt_f32_f16_e32 v184, v82
	v_cvt_f32_f16_sdwa v185, v82 dst_sel:DWORD dst_unused:UNUSED_PAD src0_sel:WORD_1
	s_nop 1
	v_cvt_f16_f32_e32 v3, v14
	v_cvt_f16_f32_e32 v14, v15
	;; [unrolled: 1-line block ×4, first 2 shown]
	v_perm_b32 v17, v188, v70, s7
	v_perm_b32 v16, v53, v191, s7
	v_cvt_f32_f16_e32 v186, v84
	v_cvt_f32_f16_sdwa v187, v84 dst_sel:DWORD dst_unused:UNUSED_PAD src0_sel:WORD_1
	v_perm_b32 v70, v74, v192, s7
	v_cvt_f32_f16_e32 v188, v183
	v_mfma_f32_16x16x16f16 v[184:187], v[16:17], v[20:21], v[184:187]
	v_cvt_f32_f16_sdwa v191, v18 dst_sel:DWORD dst_unused:UNUSED_PAD src0_sel:WORD_1
	v_pack_b32_f16 v11, v13, v25
	v_pack_b32_f16 v14, v3, v14
	;; [unrolled: 1-line block ×3, first 2 shown]
	s_nop 6
	v_cvt_f16_f32_e32 v3, v184
	v_cvt_f16_f32_e32 v15, v185
	;; [unrolled: 1-line block ×4, first 2 shown]
	v_mfma_f32_16x16x16f16 v[184:187], v[70:71], v[20:21], v[188:191]
	ds_bpermute_b32 v21, v19, v72
	v_pack_b32_f16 v16, v3, v15
	v_pack_b32_f16 v15, v17, v18
	s_nop 7
	v_cvt_f16_f32_e32 v3, v184
	v_cvt_f16_f32_e32 v20, v185
	;; [unrolled: 1-line block ×4, first 2 shown]
	v_pack_b32_f16 v18, v3, v20
	s_waitcnt lgkmcnt(0)
	v_add_f32_e32 v3, v72, v21
	ds_bpermute_b32 v20, v51, v3
	v_pack_b32_f16 v17, v17, v25
	s_waitcnt lgkmcnt(0)
	v_add_f32_e32 v3, v3, v20
	s_and_saveexec_b64 s[10:11], s[8:9]
	s_xor_b64 s[8:9], exec, s[10:11]
	s_andn2_saveexec_b64 s[8:9], s[8:9]
	s_cbranch_execz .LBB25_75
; %bb.74:                               ;   in Loop: Header=BB25_14 Depth=1
	v_lshlrev_b32_e32 v20, 2, v62
	global_load_dword v21, v20, s[72:73]
	v_max_f32_e32 v25, v2, v2
	s_waitcnt vmcnt(0)
	v_max_f32_e32 v20, v21, v21
	v_max_f32_e32 v20, v25, v20
	v_sub_f32_e32 v2, v2, v20
	v_mul_f32_e32 v25, 0x3fb8aa3b, v2
	v_fma_f32 v45, v2, s67, -v25
	v_rndne_f32_e32 v47, v25
	v_fmac_f32_e32 v45, 0x32a5705f, v2
	v_sub_f32_e32 v25, v25, v47
	v_add_f32_e32 v25, v25, v45
	v_exp_f32_e32 v25, v25
	v_cvt_i32_f32_e32 v45, v47
	v_cmp_ngt_f32_e32 vcc, s95, v2
	v_sub_f32_e32 v21, v21, v20
	v_ldexp_f32 v25, v25, v45
	v_cndmask_b32_e32 v25, 0, v25, vcc
	v_cmp_nlt_f32_e32 vcc, s56, v2
	v_cndmask_b32_e32 v25, v181, v25, vcc
	v_cmp_le_f32_e32 vcc, s66, v2
	v_cndmask_b32_e32 v2, 0, v25, vcc
	v_cvt_f16_f32_e32 v25, v2
	v_cmp_ngt_f32_e32 vcc, s95, v21
	v_pk_mul_f16 v4, v25, v4 op_sel_hi:[0,1]
	v_pk_mul_f16 v1, v25, v1 op_sel_hi:[0,1]
	;; [unrolled: 1-line block ×16, first 2 shown]
	v_mul_f32_e32 v25, 0x3fb8aa3b, v21
	v_fma_f32 v45, v21, s67, -v25
	v_rndne_f32_e32 v47, v25
	v_fmac_f32_e32 v45, 0x32a5705f, v21
	v_sub_f32_e32 v25, v25, v47
	v_add_f32_e32 v25, v25, v45
	v_exp_f32_e32 v25, v25
	v_cvt_i32_f32_e32 v45, v47
	v_ldexp_f32 v25, v25, v45
	v_cndmask_b32_e32 v25, 0, v25, vcc
	v_cmp_nlt_f32_e32 vcc, s56, v21
	v_cndmask_b32_e32 v21, v181, v25, vcc
	v_fmac_f32_e32 v21, v3, v2
	v_pk_mov_b32 v[2:3], v[20:21], v[20:21] op_sel:[0,1]
.LBB25_75:                              ;   in Loop: Header=BB25_14 Depth=1
	s_or_b64 exec, exec, s[8:9]
	s_and_saveexec_b64 s[8:9], s[4:5]
	s_cbranch_execz .LBB25_77
; %bb.76:                               ;   in Loop: Header=BB25_14 Depth=1
	v_add_u32_e32 v20, 0, v94
	ds_write2_b32 v20, v2, v3 offset0:64 offset1:65
.LBB25_77:                              ;   in Loop: Header=BB25_14 Depth=1
	s_or_b64 exec, exec, s[8:9]
	s_waitcnt lgkmcnt(0)
	s_barrier
	s_and_saveexec_b64 s[8:9], s[2:3]
	s_xor_b64 s[8:9], exec, s[8:9]
	s_cbranch_execz .LBB25_79
; %bb.78:                               ;   in Loop: Header=BB25_14 Depth=1
	s_barrier
	s_waitcnt lgkmcnt(0)
                                        ; implicit-def: $vgpr19
                                        ; implicit-def: $vgpr51
.LBB25_79:                              ;   in Loop: Header=BB25_14 Depth=1
	s_andn2_saveexec_b64 s[8:9], s[8:9]
	s_cbranch_execz .LBB25_83
; %bb.80:                               ;   in Loop: Header=BB25_14 Depth=1
	v_add_u32_e32 v3, 0, v95
	ds_read_b64 v[20:21], v3 offset:256
	s_waitcnt lgkmcnt(0)
	s_barrier
	ds_bpermute_b32 v2, v19, v20
	v_max_f32_e32 v25, v20, v20
	s_waitcnt lgkmcnt(0)
	v_max_f32_e32 v2, v2, v2
	v_max_f32_e32 v2, v25, v2
	ds_bpermute_b32 v25, v51, v2
	s_waitcnt lgkmcnt(0)
	v_max_f32_e32 v25, v25, v25
	v_max_f32_e32 v2, v2, v25
	v_sub_f32_e32 v20, v20, v2
	v_mul_f32_e32 v25, 0x3fb8aa3b, v20
	v_fma_f32 v45, v20, s67, -v25
	v_rndne_f32_e32 v47, v25
	v_fmac_f32_e32 v45, 0x32a5705f, v20
	v_sub_f32_e32 v25, v25, v47
	v_add_f32_e32 v25, v25, v45
	v_cvt_i32_f32_e32 v47, v47
	v_exp_f32_e32 v25, v25
	v_cmp_ngt_f32_e32 vcc, s95, v20
	v_ldexp_f32 v25, v25, v47
	v_cndmask_b32_e32 v25, 0, v25, vcc
	v_cmp_nlt_f32_e32 vcc, s56, v20
	v_cndmask_b32_e32 v20, v181, v25, vcc
	v_mul_f32_e32 v25, v21, v20
	ds_bpermute_b32 v19, v19, v25
	s_waitcnt lgkmcnt(0)
	v_fmac_f32_e32 v19, v21, v20
	ds_bpermute_b32 v21, v51, v19
	s_waitcnt lgkmcnt(0)
	v_add_f32_e32 v21, v19, v21
	ds_write_b64 v3, v[20:21] offset:256
	s_and_saveexec_b64 s[10:11], s[4:5]
	s_cbranch_execz .LBB25_82
; %bb.81:                               ;   in Loop: Header=BB25_14 Depth=1
	v_mov_b32_e32 v3, v21
	global_store_dwordx2 v[26:27], v[2:3], off
.LBB25_82:                              ;   in Loop: Header=BB25_14 Depth=1
	s_or_b64 exec, exec, s[10:11]
.LBB25_83:                              ;   in Loop: Header=BB25_14 Depth=1
	s_or_b64 exec, exec, s[8:9]
	ds_write2_b32 v96, v4, v1 offset1:1
	ds_write2_b32 v96, v6, v5 offset0:8 offset1:9
	ds_write2_b32 v96, v8, v7 offset0:16 offset1:17
	ds_write2_b32 v96, v10, v9 offset0:24 offset1:25
	ds_write2_b32 v96, v12, v11 offset0:32 offset1:33
	ds_write2_b32 v96, v14, v13 offset0:40 offset1:41
	ds_write2_b32 v96, v16, v15 offset0:48 offset1:49
	ds_write2_b32 v96, v18, v17 offset0:56 offset1:57
	s_waitcnt lgkmcnt(0)
	s_barrier
	s_and_saveexec_b64 s[74:75], s[0:1]
	s_cbranch_execz .LBB25_161
; %bb.84:                               ;   in Loop: Header=BB25_14 Depth=1
	v_add_u32_e32 v2, s94, v169
	v_or_b32_e32 v1, s51, v66
	v_cmp_gt_i32_e64 s[8:9], s28, v2
	v_cmp_gt_i32_e32 vcc, s33, v1
	s_and_b64 s[8:9], s[8:9], vcc
	v_mov_b32_e32 v1, 0x47
	s_and_saveexec_b64 s[10:11], s[8:9]
	s_cbranch_execz .LBB25_86
; %bb.85:                               ;   in Loop: Header=BB25_14 Depth=1
	v_add_u32_e32 v1, 0, v97
	ds_read2st64_b32 v[4:5], v1 offset0:1 offset1:18
	ds_read2st64_b32 v[6:7], v98 offset1:17
	ds_read2st64_b32 v[8:9], v1 offset0:35 offset1:52
	ds_read2st64_b32 v[10:11], v98 offset0:34 offset1:51
	v_mad_u64_u32 v[2:3], s[8:9], v2, s29, v[66:67]
	s_waitcnt lgkmcnt(2)
	v_cvt_f32_f16_sdwa v13, v6 dst_sel:DWORD dst_unused:UNUSED_PAD src0_sel:WORD_1
	v_cvt_f32_f16_e32 v12, v6
	v_cvt_f32_f16_sdwa v15, v7 dst_sel:DWORD dst_unused:UNUSED_PAD src0_sel:WORD_1
	v_cvt_f32_f16_e32 v14, v7
	s_waitcnt lgkmcnt(0)
	v_cvt_f32_f16_sdwa v7, v10 dst_sel:DWORD dst_unused:UNUSED_PAD src0_sel:WORD_1
	v_cvt_f32_f16_e32 v6, v10
	v_pk_fma_f32 v[12:13], v[4:5], v[12:13], 0 op_sel_hi:[0,1,0]
	v_mov_b32_e32 v4, v5
	v_pk_fma_f32 v[4:5], v[4:5], v[14:15], v[12:13] op_sel_hi:[0,1,1]
	v_lshl_add_u32 v2, v2, 6, v22
	v_pk_fma_f32 v[4:5], v[8:9], v[6:7], v[4:5] op_sel_hi:[0,1,1]
	v_cvt_f32_f16_sdwa v7, v11 dst_sel:DWORD dst_unused:UNUSED_PAD src0_sel:WORD_1
	v_cvt_f32_f16_e32 v6, v11
	v_ashrrev_i32_e32 v3, 31, v2
	v_lshlrev_b64 v[2:3], 3, v[2:3]
	v_add_co_u32_e64 v2, s[8:9], s87, v2
	v_mov_b32_e32 v1, s6
	v_mov_b32_e32 v8, v9
	v_addc_co_u32_e64 v3, s[8:9], v1, v3, s[8:9]
	v_pk_fma_f32 v[4:5], v[8:9], v[6:7], v[4:5] op_sel_hi:[0,1,1]
	v_mov_b32_e32 v1, 0
	global_store_dwordx2 v[2:3], v[4:5], off
.LBB25_86:                              ;   in Loop: Header=BB25_14 Depth=1
	s_or_b64 exec, exec, s[10:11]
	s_movk_i32 s8, 0x47
	v_cmp_gt_i32_e64 s[8:9], s8, v1
	s_mov_b64 s[10:11], -1
	s_and_saveexec_b64 s[76:77], s[8:9]
; %bb.87:                               ;   in Loop: Header=BB25_14 Depth=1
	v_cmp_eq_u32_e64 s[8:9], 0, v1
	s_orn2_b64 s[10:11], s[8:9], exec
; %bb.88:                               ;   in Loop: Header=BB25_14 Depth=1
	s_or_b64 exec, exec, s[76:77]
	s_and_b64 exec, exec, s[10:11]
	s_cbranch_execz .LBB25_161
; %bb.89:                               ;   in Loop: Header=BB25_14 Depth=1
	v_add_u32_e32 v2, s94, v170
	v_or_b32_e32 v1, s51, v44
	v_cmp_gt_i32_e64 s[8:9], s28, v2
	v_cmp_gt_i32_e64 s[10:11], s33, v1
	s_and_b64 s[8:9], s[8:9], s[10:11]
	v_mov_b32_e32 v1, 0x47
	s_and_saveexec_b64 s[10:11], s[8:9]
	s_cbranch_execz .LBB25_91
; %bb.90:                               ;   in Loop: Header=BB25_14 Depth=1
	v_add_u32_e32 v1, 0, v99
	ds_read2st64_b32 v[4:5], v1 offset0:1 offset1:18
	ds_read2st64_b32 v[6:7], v100 offset1:17
	ds_read2st64_b32 v[8:9], v1 offset0:35 offset1:52
	ds_read2st64_b32 v[10:11], v100 offset0:34 offset1:51
	v_mad_u64_u32 v[2:3], s[8:9], v2, s29, v[44:45]
	s_waitcnt lgkmcnt(2)
	v_cvt_f32_f16_sdwa v13, v6 dst_sel:DWORD dst_unused:UNUSED_PAD src0_sel:WORD_1
	v_cvt_f32_f16_e32 v12, v6
	v_cvt_f32_f16_sdwa v15, v7 dst_sel:DWORD dst_unused:UNUSED_PAD src0_sel:WORD_1
	v_cvt_f32_f16_e32 v14, v7
	s_waitcnt lgkmcnt(0)
	v_cvt_f32_f16_sdwa v7, v10 dst_sel:DWORD dst_unused:UNUSED_PAD src0_sel:WORD_1
	v_cvt_f32_f16_e32 v6, v10
	v_pk_fma_f32 v[12:13], v[4:5], v[12:13], 0 op_sel_hi:[0,1,0]
	v_mov_b32_e32 v4, v5
	v_pk_fma_f32 v[4:5], v[4:5], v[14:15], v[12:13] op_sel_hi:[0,1,1]
	v_lshl_add_u32 v2, v2, 6, v22
	v_pk_fma_f32 v[4:5], v[8:9], v[6:7], v[4:5] op_sel_hi:[0,1,1]
	v_cvt_f32_f16_sdwa v7, v11 dst_sel:DWORD dst_unused:UNUSED_PAD src0_sel:WORD_1
	v_cvt_f32_f16_e32 v6, v11
	v_ashrrev_i32_e32 v3, 31, v2
	v_lshlrev_b64 v[2:3], 3, v[2:3]
	v_add_co_u32_e64 v2, s[8:9], s87, v2
	v_mov_b32_e32 v1, s6
	v_mov_b32_e32 v8, v9
	v_addc_co_u32_e64 v3, s[8:9], v1, v3, s[8:9]
	v_pk_fma_f32 v[4:5], v[8:9], v[6:7], v[4:5] op_sel_hi:[0,1,1]
	v_mov_b32_e32 v1, 0
	global_store_dwordx2 v[2:3], v[4:5], off
.LBB25_91:                              ;   in Loop: Header=BB25_14 Depth=1
	s_or_b64 exec, exec, s[10:11]
	s_movk_i32 s8, 0x47
	v_cmp_gt_i32_e64 s[8:9], s8, v1
	s_mov_b64 s[10:11], -1
	s_and_saveexec_b64 s[76:77], s[8:9]
; %bb.92:                               ;   in Loop: Header=BB25_14 Depth=1
	v_cmp_eq_u32_e64 s[8:9], 0, v1
	s_orn2_b64 s[10:11], s[8:9], exec
; %bb.93:                               ;   in Loop: Header=BB25_14 Depth=1
	s_or_b64 exec, exec, s[76:77]
	s_and_b64 exec, exec, s[10:11]
	s_cbranch_execz .LBB25_161
; %bb.94:                               ;   in Loop: Header=BB25_14 Depth=1
	v_add_u32_e32 v2, s94, v101
	v_cmp_gt_i32_e64 s[8:9], s28, v2
	s_and_b64 s[8:9], s[8:9], vcc
	v_mov_b32_e32 v1, 0x47
	s_and_saveexec_b64 s[10:11], s[8:9]
	s_cbranch_execz .LBB25_96
; %bb.95:                               ;   in Loop: Header=BB25_14 Depth=1
	v_add_u32_e32 v1, 0, v102
	ds_read2st64_b32 v[4:5], v1 offset0:1 offset1:18
	ds_read2st64_b32 v[6:7], v103 offset1:17
	ds_read2st64_b32 v[8:9], v1 offset0:35 offset1:52
	ds_read2st64_b32 v[10:11], v103 offset0:34 offset1:51
	v_mad_u64_u32 v[2:3], s[8:9], v2, s29, v[66:67]
	s_waitcnt lgkmcnt(2)
	v_cvt_f32_f16_sdwa v13, v6 dst_sel:DWORD dst_unused:UNUSED_PAD src0_sel:WORD_1
	v_cvt_f32_f16_e32 v12, v6
	v_cvt_f32_f16_sdwa v15, v7 dst_sel:DWORD dst_unused:UNUSED_PAD src0_sel:WORD_1
	v_cvt_f32_f16_e32 v14, v7
	s_waitcnt lgkmcnt(0)
	v_cvt_f32_f16_sdwa v7, v10 dst_sel:DWORD dst_unused:UNUSED_PAD src0_sel:WORD_1
	v_cvt_f32_f16_e32 v6, v10
	v_pk_fma_f32 v[12:13], v[4:5], v[12:13], 0 op_sel_hi:[0,1,0]
	v_mov_b32_e32 v4, v5
	v_pk_fma_f32 v[4:5], v[4:5], v[14:15], v[12:13] op_sel_hi:[0,1,1]
	v_lshl_add_u32 v2, v2, 6, v22
	v_pk_fma_f32 v[4:5], v[8:9], v[6:7], v[4:5] op_sel_hi:[0,1,1]
	v_cvt_f32_f16_sdwa v7, v11 dst_sel:DWORD dst_unused:UNUSED_PAD src0_sel:WORD_1
	v_cvt_f32_f16_e32 v6, v11
	v_ashrrev_i32_e32 v3, 31, v2
	v_lshlrev_b64 v[2:3], 3, v[2:3]
	v_add_co_u32_e64 v2, s[8:9], s87, v2
	v_mov_b32_e32 v1, s6
	v_mov_b32_e32 v8, v9
	v_addc_co_u32_e64 v3, s[8:9], v1, v3, s[8:9]
	v_pk_fma_f32 v[4:5], v[8:9], v[6:7], v[4:5] op_sel_hi:[0,1,1]
	v_mov_b32_e32 v1, 0
	global_store_dwordx2 v[2:3], v[4:5], off
.LBB25_96:                              ;   in Loop: Header=BB25_14 Depth=1
	s_or_b64 exec, exec, s[10:11]
	s_movk_i32 s8, 0x47
	v_cmp_gt_i32_e64 s[8:9], s8, v1
	s_mov_b64 s[10:11], -1
	s_and_saveexec_b64 s[76:77], s[8:9]
; %bb.97:                               ;   in Loop: Header=BB25_14 Depth=1
	v_cmp_eq_u32_e64 s[8:9], 0, v1
	s_orn2_b64 s[10:11], s[8:9], exec
; %bb.98:                               ;   in Loop: Header=BB25_14 Depth=1
	s_or_b64 exec, exec, s[76:77]
	s_and_b64 exec, exec, s[10:11]
	s_cbranch_execz .LBB25_161
; %bb.99:                               ;   in Loop: Header=BB25_14 Depth=1
	v_add_u32_e32 v2, s94, v171
	v_or_b32_e32 v1, s51, v46
	v_cmp_gt_i32_e64 s[8:9], s28, v2
	v_cmp_gt_i32_e64 s[10:11], s33, v1
	s_and_b64 s[8:9], s[8:9], s[10:11]
	v_mov_b32_e32 v1, 0x47
	s_and_saveexec_b64 s[10:11], s[8:9]
	s_cbranch_execz .LBB25_101
; %bb.100:                              ;   in Loop: Header=BB25_14 Depth=1
	v_add_u32_e32 v1, 0, v104
	ds_read2st64_b32 v[4:5], v1 offset0:1 offset1:18
	ds_read2st64_b32 v[6:7], v105 offset1:17
	ds_read2st64_b32 v[8:9], v1 offset0:35 offset1:52
	ds_read2st64_b32 v[10:11], v105 offset0:34 offset1:51
	v_mad_u64_u32 v[2:3], s[8:9], v2, s29, v[46:47]
	s_waitcnt lgkmcnt(2)
	v_cvt_f32_f16_sdwa v13, v6 dst_sel:DWORD dst_unused:UNUSED_PAD src0_sel:WORD_1
	v_cvt_f32_f16_e32 v12, v6
	v_cvt_f32_f16_sdwa v15, v7 dst_sel:DWORD dst_unused:UNUSED_PAD src0_sel:WORD_1
	v_cvt_f32_f16_e32 v14, v7
	s_waitcnt lgkmcnt(0)
	v_cvt_f32_f16_sdwa v7, v10 dst_sel:DWORD dst_unused:UNUSED_PAD src0_sel:WORD_1
	v_cvt_f32_f16_e32 v6, v10
	v_pk_fma_f32 v[12:13], v[4:5], v[12:13], 0 op_sel_hi:[0,1,0]
	v_mov_b32_e32 v4, v5
	v_pk_fma_f32 v[4:5], v[4:5], v[14:15], v[12:13] op_sel_hi:[0,1,1]
	v_lshl_add_u32 v2, v2, 6, v22
	v_pk_fma_f32 v[4:5], v[8:9], v[6:7], v[4:5] op_sel_hi:[0,1,1]
	v_cvt_f32_f16_sdwa v7, v11 dst_sel:DWORD dst_unused:UNUSED_PAD src0_sel:WORD_1
	v_cvt_f32_f16_e32 v6, v11
	v_ashrrev_i32_e32 v3, 31, v2
	v_lshlrev_b64 v[2:3], 3, v[2:3]
	v_add_co_u32_e64 v2, s[8:9], s87, v2
	v_mov_b32_e32 v1, s6
	v_mov_b32_e32 v8, v9
	v_addc_co_u32_e64 v3, s[8:9], v1, v3, s[8:9]
	v_pk_fma_f32 v[4:5], v[8:9], v[6:7], v[4:5] op_sel_hi:[0,1,1]
	v_mov_b32_e32 v1, 0
	global_store_dwordx2 v[2:3], v[4:5], off
.LBB25_101:                             ;   in Loop: Header=BB25_14 Depth=1
	s_or_b64 exec, exec, s[10:11]
	s_movk_i32 s8, 0x47
	v_cmp_gt_i32_e64 s[8:9], s8, v1
	s_mov_b64 s[10:11], -1
	s_and_saveexec_b64 s[76:77], s[8:9]
; %bb.102:                              ;   in Loop: Header=BB25_14 Depth=1
	v_cmp_eq_u32_e64 s[8:9], 0, v1
	s_orn2_b64 s[10:11], s[8:9], exec
; %bb.103:                              ;   in Loop: Header=BB25_14 Depth=1
	s_or_b64 exec, exec, s[76:77]
	s_and_b64 exec, exec, s[10:11]
	s_cbranch_execz .LBB25_161
; %bb.104:                              ;   in Loop: Header=BB25_14 Depth=1
	v_add_u32_e32 v2, s94, v106
	v_cmp_gt_i32_e64 s[8:9], s28, v2
	s_and_b64 s[8:9], s[8:9], vcc
	v_mov_b32_e32 v1, 0x47
	s_and_saveexec_b64 s[10:11], s[8:9]
	s_cbranch_execz .LBB25_106
; %bb.105:                              ;   in Loop: Header=BB25_14 Depth=1
	v_add_u32_e32 v1, 0, v107
	ds_read2st64_b32 v[4:5], v1 offset0:1 offset1:18
	ds_read2st64_b32 v[6:7], v108 offset1:17
	ds_read2st64_b32 v[8:9], v1 offset0:35 offset1:52
	ds_read2st64_b32 v[10:11], v108 offset0:34 offset1:51
	v_mad_u64_u32 v[2:3], s[8:9], v2, s29, v[66:67]
	s_waitcnt lgkmcnt(2)
	v_cvt_f32_f16_sdwa v13, v6 dst_sel:DWORD dst_unused:UNUSED_PAD src0_sel:WORD_1
	v_cvt_f32_f16_e32 v12, v6
	v_cvt_f32_f16_sdwa v15, v7 dst_sel:DWORD dst_unused:UNUSED_PAD src0_sel:WORD_1
	v_cvt_f32_f16_e32 v14, v7
	s_waitcnt lgkmcnt(0)
	v_cvt_f32_f16_sdwa v7, v10 dst_sel:DWORD dst_unused:UNUSED_PAD src0_sel:WORD_1
	v_cvt_f32_f16_e32 v6, v10
	v_pk_fma_f32 v[12:13], v[4:5], v[12:13], 0 op_sel_hi:[0,1,0]
	v_mov_b32_e32 v4, v5
	v_pk_fma_f32 v[4:5], v[4:5], v[14:15], v[12:13] op_sel_hi:[0,1,1]
	v_lshl_add_u32 v2, v2, 6, v22
	v_pk_fma_f32 v[4:5], v[8:9], v[6:7], v[4:5] op_sel_hi:[0,1,1]
	v_cvt_f32_f16_sdwa v7, v11 dst_sel:DWORD dst_unused:UNUSED_PAD src0_sel:WORD_1
	v_cvt_f32_f16_e32 v6, v11
	v_ashrrev_i32_e32 v3, 31, v2
	v_lshlrev_b64 v[2:3], 3, v[2:3]
	v_add_co_u32_e64 v2, s[8:9], s87, v2
	v_mov_b32_e32 v1, s6
	v_mov_b32_e32 v8, v9
	v_addc_co_u32_e64 v3, s[8:9], v1, v3, s[8:9]
	v_pk_fma_f32 v[4:5], v[8:9], v[6:7], v[4:5] op_sel_hi:[0,1,1]
	v_mov_b32_e32 v1, 0
	global_store_dwordx2 v[2:3], v[4:5], off
.LBB25_106:                             ;   in Loop: Header=BB25_14 Depth=1
	s_or_b64 exec, exec, s[10:11]
	s_movk_i32 s8, 0x47
	v_cmp_gt_i32_e64 s[8:9], s8, v1
	s_mov_b64 s[10:11], -1
	s_and_saveexec_b64 s[76:77], s[8:9]
; %bb.107:                              ;   in Loop: Header=BB25_14 Depth=1
	v_cmp_eq_u32_e64 s[8:9], 0, v1
	s_orn2_b64 s[10:11], s[8:9], exec
; %bb.108:                              ;   in Loop: Header=BB25_14 Depth=1
	s_or_b64 exec, exec, s[76:77]
	s_and_b64 exec, exec, s[10:11]
	s_cbranch_execz .LBB25_161
; %bb.109:                              ;   in Loop: Header=BB25_14 Depth=1
	v_add_u32_e32 v2, s94, v172
	v_or_b32_e32 v1, s51, v48
	v_cmp_gt_i32_e64 s[8:9], s28, v2
	v_cmp_gt_i32_e64 s[10:11], s33, v1
	s_and_b64 s[8:9], s[8:9], s[10:11]
	v_mov_b32_e32 v1, 0x47
	s_and_saveexec_b64 s[10:11], s[8:9]
	s_cbranch_execz .LBB25_111
; %bb.110:                              ;   in Loop: Header=BB25_14 Depth=1
	v_add_u32_e32 v1, 0, v109
	ds_read2st64_b32 v[4:5], v1 offset0:1 offset1:18
	ds_read2st64_b32 v[6:7], v110 offset1:17
	ds_read2st64_b32 v[8:9], v1 offset0:35 offset1:52
	ds_read2st64_b32 v[10:11], v110 offset0:34 offset1:51
	v_mad_u64_u32 v[2:3], s[8:9], v2, s29, v[48:49]
	s_waitcnt lgkmcnt(2)
	v_cvt_f32_f16_sdwa v13, v6 dst_sel:DWORD dst_unused:UNUSED_PAD src0_sel:WORD_1
	v_cvt_f32_f16_e32 v12, v6
	v_cvt_f32_f16_sdwa v15, v7 dst_sel:DWORD dst_unused:UNUSED_PAD src0_sel:WORD_1
	v_cvt_f32_f16_e32 v14, v7
	s_waitcnt lgkmcnt(0)
	v_cvt_f32_f16_sdwa v7, v10 dst_sel:DWORD dst_unused:UNUSED_PAD src0_sel:WORD_1
	v_cvt_f32_f16_e32 v6, v10
	v_pk_fma_f32 v[12:13], v[4:5], v[12:13], 0 op_sel_hi:[0,1,0]
	v_mov_b32_e32 v4, v5
	v_pk_fma_f32 v[4:5], v[4:5], v[14:15], v[12:13] op_sel_hi:[0,1,1]
	v_lshl_add_u32 v2, v2, 6, v22
	v_pk_fma_f32 v[4:5], v[8:9], v[6:7], v[4:5] op_sel_hi:[0,1,1]
	v_cvt_f32_f16_sdwa v7, v11 dst_sel:DWORD dst_unused:UNUSED_PAD src0_sel:WORD_1
	v_cvt_f32_f16_e32 v6, v11
	v_ashrrev_i32_e32 v3, 31, v2
	v_lshlrev_b64 v[2:3], 3, v[2:3]
	v_add_co_u32_e64 v2, s[8:9], s87, v2
	v_mov_b32_e32 v1, s6
	v_mov_b32_e32 v8, v9
	v_addc_co_u32_e64 v3, s[8:9], v1, v3, s[8:9]
	v_pk_fma_f32 v[4:5], v[8:9], v[6:7], v[4:5] op_sel_hi:[0,1,1]
	v_mov_b32_e32 v1, 0
	global_store_dwordx2 v[2:3], v[4:5], off
.LBB25_111:                             ;   in Loop: Header=BB25_14 Depth=1
	s_or_b64 exec, exec, s[10:11]
	s_movk_i32 s8, 0x47
	v_cmp_gt_i32_e64 s[8:9], s8, v1
	s_mov_b64 s[10:11], -1
	s_and_saveexec_b64 s[76:77], s[8:9]
; %bb.112:                              ;   in Loop: Header=BB25_14 Depth=1
	v_cmp_eq_u32_e64 s[8:9], 0, v1
	s_orn2_b64 s[10:11], s[8:9], exec
; %bb.113:                              ;   in Loop: Header=BB25_14 Depth=1
	s_or_b64 exec, exec, s[76:77]
	s_and_b64 exec, exec, s[10:11]
	s_cbranch_execz .LBB25_161
; %bb.114:                              ;   in Loop: Header=BB25_14 Depth=1
	v_add_u32_e32 v2, s94, v111
	v_cmp_gt_i32_e64 s[8:9], s28, v2
	s_and_b64 s[8:9], s[8:9], vcc
	v_mov_b32_e32 v1, 0x47
	s_and_saveexec_b64 s[10:11], s[8:9]
	s_cbranch_execz .LBB25_116
; %bb.115:                              ;   in Loop: Header=BB25_14 Depth=1
	v_add_u32_e32 v1, 0, v112
	ds_read2st64_b32 v[4:5], v1 offset0:1 offset1:18
	ds_read2st64_b32 v[6:7], v113 offset1:17
	ds_read2st64_b32 v[8:9], v1 offset0:35 offset1:52
	ds_read2st64_b32 v[10:11], v113 offset0:34 offset1:51
	v_mad_u64_u32 v[2:3], s[8:9], v2, s29, v[66:67]
	s_waitcnt lgkmcnt(2)
	v_cvt_f32_f16_sdwa v13, v6 dst_sel:DWORD dst_unused:UNUSED_PAD src0_sel:WORD_1
	v_cvt_f32_f16_e32 v12, v6
	v_cvt_f32_f16_sdwa v15, v7 dst_sel:DWORD dst_unused:UNUSED_PAD src0_sel:WORD_1
	v_cvt_f32_f16_e32 v14, v7
	s_waitcnt lgkmcnt(0)
	v_cvt_f32_f16_sdwa v7, v10 dst_sel:DWORD dst_unused:UNUSED_PAD src0_sel:WORD_1
	v_cvt_f32_f16_e32 v6, v10
	v_pk_fma_f32 v[12:13], v[4:5], v[12:13], 0 op_sel_hi:[0,1,0]
	v_mov_b32_e32 v4, v5
	v_pk_fma_f32 v[4:5], v[4:5], v[14:15], v[12:13] op_sel_hi:[0,1,1]
	v_lshl_add_u32 v2, v2, 6, v22
	v_pk_fma_f32 v[4:5], v[8:9], v[6:7], v[4:5] op_sel_hi:[0,1,1]
	v_cvt_f32_f16_sdwa v7, v11 dst_sel:DWORD dst_unused:UNUSED_PAD src0_sel:WORD_1
	v_cvt_f32_f16_e32 v6, v11
	v_ashrrev_i32_e32 v3, 31, v2
	v_lshlrev_b64 v[2:3], 3, v[2:3]
	v_add_co_u32_e64 v2, s[8:9], s87, v2
	v_mov_b32_e32 v1, s6
	v_mov_b32_e32 v8, v9
	v_addc_co_u32_e64 v3, s[8:9], v1, v3, s[8:9]
	v_pk_fma_f32 v[4:5], v[8:9], v[6:7], v[4:5] op_sel_hi:[0,1,1]
	v_mov_b32_e32 v1, 0
	global_store_dwordx2 v[2:3], v[4:5], off
.LBB25_116:                             ;   in Loop: Header=BB25_14 Depth=1
	s_or_b64 exec, exec, s[10:11]
	s_movk_i32 s8, 0x47
	v_cmp_gt_i32_e64 s[8:9], s8, v1
	s_mov_b64 s[10:11], -1
	s_and_saveexec_b64 s[76:77], s[8:9]
; %bb.117:                              ;   in Loop: Header=BB25_14 Depth=1
	v_cmp_eq_u32_e64 s[8:9], 0, v1
	s_orn2_b64 s[10:11], s[8:9], exec
; %bb.118:                              ;   in Loop: Header=BB25_14 Depth=1
	s_or_b64 exec, exec, s[76:77]
	s_and_b64 exec, exec, s[10:11]
	s_cbranch_execz .LBB25_161
; %bb.119:                              ;   in Loop: Header=BB25_14 Depth=1
	v_add_u32_e32 v2, s94, v173
	v_or_b32_e32 v1, s51, v50
	v_cmp_gt_i32_e64 s[8:9], s28, v2
	v_cmp_gt_i32_e64 s[10:11], s33, v1
	s_and_b64 s[8:9], s[8:9], s[10:11]
	v_mov_b32_e32 v1, 0x47
	s_and_saveexec_b64 s[10:11], s[8:9]
	s_cbranch_execz .LBB25_121
; %bb.120:                              ;   in Loop: Header=BB25_14 Depth=1
	v_add_u32_e32 v1, 0, v114
	ds_read2st64_b32 v[4:5], v1 offset0:1 offset1:18
	ds_read2st64_b32 v[6:7], v115 offset1:17
	ds_read2st64_b32 v[8:9], v1 offset0:35 offset1:52
	ds_read2st64_b32 v[10:11], v115 offset0:34 offset1:51
	v_mad_u64_u32 v[2:3], s[8:9], v2, s29, v[50:51]
	s_waitcnt lgkmcnt(2)
	v_cvt_f32_f16_sdwa v13, v6 dst_sel:DWORD dst_unused:UNUSED_PAD src0_sel:WORD_1
	v_cvt_f32_f16_e32 v12, v6
	v_cvt_f32_f16_sdwa v15, v7 dst_sel:DWORD dst_unused:UNUSED_PAD src0_sel:WORD_1
	v_cvt_f32_f16_e32 v14, v7
	s_waitcnt lgkmcnt(0)
	v_cvt_f32_f16_sdwa v7, v10 dst_sel:DWORD dst_unused:UNUSED_PAD src0_sel:WORD_1
	v_cvt_f32_f16_e32 v6, v10
	v_pk_fma_f32 v[12:13], v[4:5], v[12:13], 0 op_sel_hi:[0,1,0]
	v_mov_b32_e32 v4, v5
	v_pk_fma_f32 v[4:5], v[4:5], v[14:15], v[12:13] op_sel_hi:[0,1,1]
	v_lshl_add_u32 v2, v2, 6, v22
	v_pk_fma_f32 v[4:5], v[8:9], v[6:7], v[4:5] op_sel_hi:[0,1,1]
	v_cvt_f32_f16_sdwa v7, v11 dst_sel:DWORD dst_unused:UNUSED_PAD src0_sel:WORD_1
	v_cvt_f32_f16_e32 v6, v11
	v_ashrrev_i32_e32 v3, 31, v2
	v_lshlrev_b64 v[2:3], 3, v[2:3]
	v_add_co_u32_e64 v2, s[8:9], s87, v2
	v_mov_b32_e32 v1, s6
	v_mov_b32_e32 v8, v9
	v_addc_co_u32_e64 v3, s[8:9], v1, v3, s[8:9]
	v_pk_fma_f32 v[4:5], v[8:9], v[6:7], v[4:5] op_sel_hi:[0,1,1]
	v_mov_b32_e32 v1, 0
	global_store_dwordx2 v[2:3], v[4:5], off
.LBB25_121:                             ;   in Loop: Header=BB25_14 Depth=1
	s_or_b64 exec, exec, s[10:11]
	s_movk_i32 s8, 0x47
	v_cmp_gt_i32_e64 s[8:9], s8, v1
	s_mov_b64 s[10:11], -1
	s_and_saveexec_b64 s[76:77], s[8:9]
; %bb.122:                              ;   in Loop: Header=BB25_14 Depth=1
	v_cmp_eq_u32_e64 s[8:9], 0, v1
	s_orn2_b64 s[10:11], s[8:9], exec
; %bb.123:                              ;   in Loop: Header=BB25_14 Depth=1
	s_or_b64 exec, exec, s[76:77]
	s_and_b64 exec, exec, s[10:11]
	s_cbranch_execz .LBB25_161
; %bb.124:                              ;   in Loop: Header=BB25_14 Depth=1
	v_add_u32_e32 v2, s94, v116
	v_cmp_gt_i32_e64 s[8:9], s28, v2
	s_and_b64 s[8:9], s[8:9], vcc
	v_mov_b32_e32 v1, 0x47
	s_and_saveexec_b64 s[10:11], s[8:9]
	s_cbranch_execz .LBB25_126
; %bb.125:                              ;   in Loop: Header=BB25_14 Depth=1
	v_add_u32_e32 v1, 0, v117
	ds_read2st64_b32 v[4:5], v1 offset0:1 offset1:18
	ds_read2st64_b32 v[6:7], v118 offset1:17
	ds_read2st64_b32 v[8:9], v1 offset0:35 offset1:52
	ds_read2st64_b32 v[10:11], v118 offset0:34 offset1:51
	v_mad_u64_u32 v[2:3], s[8:9], v2, s29, v[66:67]
	s_waitcnt lgkmcnt(2)
	v_cvt_f32_f16_sdwa v13, v6 dst_sel:DWORD dst_unused:UNUSED_PAD src0_sel:WORD_1
	v_cvt_f32_f16_e32 v12, v6
	v_cvt_f32_f16_sdwa v15, v7 dst_sel:DWORD dst_unused:UNUSED_PAD src0_sel:WORD_1
	v_cvt_f32_f16_e32 v14, v7
	s_waitcnt lgkmcnt(0)
	v_cvt_f32_f16_sdwa v7, v10 dst_sel:DWORD dst_unused:UNUSED_PAD src0_sel:WORD_1
	v_cvt_f32_f16_e32 v6, v10
	v_pk_fma_f32 v[12:13], v[4:5], v[12:13], 0 op_sel_hi:[0,1,0]
	v_mov_b32_e32 v4, v5
	v_pk_fma_f32 v[4:5], v[4:5], v[14:15], v[12:13] op_sel_hi:[0,1,1]
	v_lshl_add_u32 v2, v2, 6, v22
	v_pk_fma_f32 v[4:5], v[8:9], v[6:7], v[4:5] op_sel_hi:[0,1,1]
	v_cvt_f32_f16_sdwa v7, v11 dst_sel:DWORD dst_unused:UNUSED_PAD src0_sel:WORD_1
	v_cvt_f32_f16_e32 v6, v11
	v_ashrrev_i32_e32 v3, 31, v2
	v_lshlrev_b64 v[2:3], 3, v[2:3]
	v_add_co_u32_e64 v2, s[8:9], s87, v2
	v_mov_b32_e32 v1, s6
	v_mov_b32_e32 v8, v9
	v_addc_co_u32_e64 v3, s[8:9], v1, v3, s[8:9]
	v_pk_fma_f32 v[4:5], v[8:9], v[6:7], v[4:5] op_sel_hi:[0,1,1]
	v_mov_b32_e32 v1, 0
	global_store_dwordx2 v[2:3], v[4:5], off
.LBB25_126:                             ;   in Loop: Header=BB25_14 Depth=1
	s_or_b64 exec, exec, s[10:11]
	s_movk_i32 s8, 0x47
	v_cmp_gt_i32_e64 s[8:9], s8, v1
	s_mov_b64 s[10:11], -1
	s_and_saveexec_b64 s[76:77], s[8:9]
; %bb.127:                              ;   in Loop: Header=BB25_14 Depth=1
	v_cmp_eq_u32_e64 s[8:9], 0, v1
	s_orn2_b64 s[10:11], s[8:9], exec
; %bb.128:                              ;   in Loop: Header=BB25_14 Depth=1
	s_or_b64 exec, exec, s[76:77]
	s_and_b64 exec, exec, s[10:11]
	s_cbranch_execz .LBB25_161
; %bb.129:                              ;   in Loop: Header=BB25_14 Depth=1
	v_add_u32_e32 v2, s94, v174
	v_or_b32_e32 v1, s51, v52
	v_cmp_gt_i32_e64 s[8:9], s28, v2
	v_cmp_gt_i32_e64 s[10:11], s33, v1
	s_and_b64 s[8:9], s[8:9], s[10:11]
	v_mov_b32_e32 v1, 0x47
	s_and_saveexec_b64 s[10:11], s[8:9]
	s_cbranch_execz .LBB25_131
; %bb.130:                              ;   in Loop: Header=BB25_14 Depth=1
	v_add_u32_e32 v1, 0, v119
	ds_read2st64_b32 v[4:5], v1 offset0:1 offset1:18
	ds_read2st64_b32 v[6:7], v120 offset1:17
	ds_read2st64_b32 v[8:9], v1 offset0:35 offset1:52
	ds_read2st64_b32 v[10:11], v120 offset0:34 offset1:51
	v_mad_u64_u32 v[2:3], s[8:9], v2, s29, v[52:53]
	s_waitcnt lgkmcnt(2)
	v_cvt_f32_f16_sdwa v13, v6 dst_sel:DWORD dst_unused:UNUSED_PAD src0_sel:WORD_1
	v_cvt_f32_f16_e32 v12, v6
	v_cvt_f32_f16_sdwa v15, v7 dst_sel:DWORD dst_unused:UNUSED_PAD src0_sel:WORD_1
	v_cvt_f32_f16_e32 v14, v7
	s_waitcnt lgkmcnt(0)
	v_cvt_f32_f16_sdwa v7, v10 dst_sel:DWORD dst_unused:UNUSED_PAD src0_sel:WORD_1
	v_cvt_f32_f16_e32 v6, v10
	v_pk_fma_f32 v[12:13], v[4:5], v[12:13], 0 op_sel_hi:[0,1,0]
	v_mov_b32_e32 v4, v5
	v_pk_fma_f32 v[4:5], v[4:5], v[14:15], v[12:13] op_sel_hi:[0,1,1]
	v_lshl_add_u32 v2, v2, 6, v22
	v_pk_fma_f32 v[4:5], v[8:9], v[6:7], v[4:5] op_sel_hi:[0,1,1]
	v_cvt_f32_f16_sdwa v7, v11 dst_sel:DWORD dst_unused:UNUSED_PAD src0_sel:WORD_1
	v_cvt_f32_f16_e32 v6, v11
	v_ashrrev_i32_e32 v3, 31, v2
	v_lshlrev_b64 v[2:3], 3, v[2:3]
	v_add_co_u32_e64 v2, s[8:9], s87, v2
	v_mov_b32_e32 v1, s6
	v_mov_b32_e32 v8, v9
	v_addc_co_u32_e64 v3, s[8:9], v1, v3, s[8:9]
	v_pk_fma_f32 v[4:5], v[8:9], v[6:7], v[4:5] op_sel_hi:[0,1,1]
	v_mov_b32_e32 v1, 0
	global_store_dwordx2 v[2:3], v[4:5], off
.LBB25_131:                             ;   in Loop: Header=BB25_14 Depth=1
	s_or_b64 exec, exec, s[10:11]
	s_movk_i32 s8, 0x47
	v_cmp_gt_i32_e64 s[8:9], s8, v1
	s_mov_b64 s[10:11], -1
	s_and_saveexec_b64 s[76:77], s[8:9]
; %bb.132:                              ;   in Loop: Header=BB25_14 Depth=1
	v_cmp_eq_u32_e64 s[8:9], 0, v1
	s_orn2_b64 s[10:11], s[8:9], exec
; %bb.133:                              ;   in Loop: Header=BB25_14 Depth=1
	s_or_b64 exec, exec, s[76:77]
	s_and_b64 exec, exec, s[10:11]
	s_cbranch_execz .LBB25_161
; %bb.134:                              ;   in Loop: Header=BB25_14 Depth=1
	v_add_u32_e32 v2, s94, v121
	v_cmp_gt_i32_e64 s[8:9], s28, v2
	s_and_b64 s[8:9], s[8:9], vcc
	v_mov_b32_e32 v1, 0x47
	s_and_saveexec_b64 s[10:11], s[8:9]
	s_cbranch_execz .LBB25_136
; %bb.135:                              ;   in Loop: Header=BB25_14 Depth=1
	v_add_u32_e32 v1, 0, v122
	ds_read2st64_b32 v[4:5], v1 offset0:1 offset1:18
	ds_read2st64_b32 v[6:7], v123 offset1:17
	ds_read2st64_b32 v[8:9], v1 offset0:35 offset1:52
	ds_read2st64_b32 v[10:11], v123 offset0:34 offset1:51
	v_mad_u64_u32 v[2:3], s[8:9], v2, s29, v[66:67]
	s_waitcnt lgkmcnt(2)
	v_cvt_f32_f16_sdwa v13, v6 dst_sel:DWORD dst_unused:UNUSED_PAD src0_sel:WORD_1
	v_cvt_f32_f16_e32 v12, v6
	v_cvt_f32_f16_sdwa v15, v7 dst_sel:DWORD dst_unused:UNUSED_PAD src0_sel:WORD_1
	v_cvt_f32_f16_e32 v14, v7
	s_waitcnt lgkmcnt(0)
	v_cvt_f32_f16_sdwa v7, v10 dst_sel:DWORD dst_unused:UNUSED_PAD src0_sel:WORD_1
	v_cvt_f32_f16_e32 v6, v10
	v_pk_fma_f32 v[12:13], v[4:5], v[12:13], 0 op_sel_hi:[0,1,0]
	v_mov_b32_e32 v4, v5
	v_pk_fma_f32 v[4:5], v[4:5], v[14:15], v[12:13] op_sel_hi:[0,1,1]
	v_lshl_add_u32 v2, v2, 6, v22
	v_pk_fma_f32 v[4:5], v[8:9], v[6:7], v[4:5] op_sel_hi:[0,1,1]
	v_cvt_f32_f16_sdwa v7, v11 dst_sel:DWORD dst_unused:UNUSED_PAD src0_sel:WORD_1
	v_cvt_f32_f16_e32 v6, v11
	v_ashrrev_i32_e32 v3, 31, v2
	v_lshlrev_b64 v[2:3], 3, v[2:3]
	v_add_co_u32_e64 v2, s[8:9], s87, v2
	v_mov_b32_e32 v1, s6
	v_mov_b32_e32 v8, v9
	v_addc_co_u32_e64 v3, s[8:9], v1, v3, s[8:9]
	v_pk_fma_f32 v[4:5], v[8:9], v[6:7], v[4:5] op_sel_hi:[0,1,1]
	v_mov_b32_e32 v1, 0
	global_store_dwordx2 v[2:3], v[4:5], off
.LBB25_136:                             ;   in Loop: Header=BB25_14 Depth=1
	s_or_b64 exec, exec, s[10:11]
	s_movk_i32 s8, 0x47
	v_cmp_gt_i32_e64 s[8:9], s8, v1
	s_mov_b64 s[10:11], -1
	s_and_saveexec_b64 s[76:77], s[8:9]
; %bb.137:                              ;   in Loop: Header=BB25_14 Depth=1
	v_cmp_eq_u32_e64 s[8:9], 0, v1
	s_orn2_b64 s[10:11], s[8:9], exec
; %bb.138:                              ;   in Loop: Header=BB25_14 Depth=1
	s_or_b64 exec, exec, s[76:77]
	s_and_b64 exec, exec, s[10:11]
	s_cbranch_execz .LBB25_161
; %bb.139:                              ;   in Loop: Header=BB25_14 Depth=1
	v_add_u32_e32 v2, s94, v175
	v_or_b32_e32 v1, s51, v54
	v_cmp_gt_i32_e64 s[8:9], s28, v2
	v_cmp_gt_i32_e64 s[10:11], s33, v1
	s_and_b64 s[8:9], s[8:9], s[10:11]
	v_mov_b32_e32 v1, 0x47
	s_and_saveexec_b64 s[10:11], s[8:9]
	s_cbranch_execz .LBB25_141
; %bb.140:                              ;   in Loop: Header=BB25_14 Depth=1
	v_add_u32_e32 v1, 0, v124
	ds_read2st64_b32 v[4:5], v1 offset0:1 offset1:18
	ds_read2st64_b32 v[6:7], v125 offset1:17
	ds_read2st64_b32 v[8:9], v1 offset0:35 offset1:52
	ds_read2st64_b32 v[10:11], v125 offset0:34 offset1:51
	v_mad_u64_u32 v[2:3], s[8:9], v2, s29, v[54:55]
	s_waitcnt lgkmcnt(2)
	v_cvt_f32_f16_sdwa v13, v6 dst_sel:DWORD dst_unused:UNUSED_PAD src0_sel:WORD_1
	v_cvt_f32_f16_e32 v12, v6
	v_cvt_f32_f16_sdwa v15, v7 dst_sel:DWORD dst_unused:UNUSED_PAD src0_sel:WORD_1
	v_cvt_f32_f16_e32 v14, v7
	s_waitcnt lgkmcnt(0)
	v_cvt_f32_f16_sdwa v7, v10 dst_sel:DWORD dst_unused:UNUSED_PAD src0_sel:WORD_1
	v_cvt_f32_f16_e32 v6, v10
	v_pk_fma_f32 v[12:13], v[4:5], v[12:13], 0 op_sel_hi:[0,1,0]
	v_mov_b32_e32 v4, v5
	v_pk_fma_f32 v[4:5], v[4:5], v[14:15], v[12:13] op_sel_hi:[0,1,1]
	v_lshl_add_u32 v2, v2, 6, v22
	v_pk_fma_f32 v[4:5], v[8:9], v[6:7], v[4:5] op_sel_hi:[0,1,1]
	v_cvt_f32_f16_sdwa v7, v11 dst_sel:DWORD dst_unused:UNUSED_PAD src0_sel:WORD_1
	v_cvt_f32_f16_e32 v6, v11
	v_ashrrev_i32_e32 v3, 31, v2
	v_lshlrev_b64 v[2:3], 3, v[2:3]
	v_add_co_u32_e64 v2, s[8:9], s87, v2
	v_mov_b32_e32 v1, s6
	v_mov_b32_e32 v8, v9
	v_addc_co_u32_e64 v3, s[8:9], v1, v3, s[8:9]
	v_pk_fma_f32 v[4:5], v[8:9], v[6:7], v[4:5] op_sel_hi:[0,1,1]
	v_mov_b32_e32 v1, 0
	global_store_dwordx2 v[2:3], v[4:5], off
.LBB25_141:                             ;   in Loop: Header=BB25_14 Depth=1
	s_or_b64 exec, exec, s[10:11]
	s_movk_i32 s8, 0x47
	v_cmp_gt_i32_e64 s[8:9], s8, v1
	s_mov_b64 s[10:11], -1
	s_and_saveexec_b64 s[76:77], s[8:9]
; %bb.142:                              ;   in Loop: Header=BB25_14 Depth=1
	v_cmp_eq_u32_e64 s[8:9], 0, v1
	s_orn2_b64 s[10:11], s[8:9], exec
; %bb.143:                              ;   in Loop: Header=BB25_14 Depth=1
	s_or_b64 exec, exec, s[76:77]
	s_and_b64 exec, exec, s[10:11]
	s_cbranch_execz .LBB25_161
; %bb.144:                              ;   in Loop: Header=BB25_14 Depth=1
	v_add_u32_e32 v2, s94, v126
	v_cmp_gt_i32_e64 s[8:9], s28, v2
	s_and_b64 s[8:9], s[8:9], vcc
	v_mov_b32_e32 v1, 0x47
	s_and_saveexec_b64 s[10:11], s[8:9]
	s_cbranch_execz .LBB25_146
; %bb.145:                              ;   in Loop: Header=BB25_14 Depth=1
	v_add_u32_e32 v1, 0, v127
	ds_read2st64_b32 v[4:5], v1 offset0:1 offset1:18
	ds_read2st64_b32 v[6:7], v128 offset1:17
	ds_read2st64_b32 v[8:9], v1 offset0:35 offset1:52
	ds_read2st64_b32 v[10:11], v128 offset0:34 offset1:51
	v_mad_u64_u32 v[2:3], s[8:9], v2, s29, v[66:67]
	s_waitcnt lgkmcnt(2)
	v_cvt_f32_f16_sdwa v13, v6 dst_sel:DWORD dst_unused:UNUSED_PAD src0_sel:WORD_1
	v_cvt_f32_f16_e32 v12, v6
	v_cvt_f32_f16_sdwa v15, v7 dst_sel:DWORD dst_unused:UNUSED_PAD src0_sel:WORD_1
	v_cvt_f32_f16_e32 v14, v7
	s_waitcnt lgkmcnt(0)
	v_cvt_f32_f16_sdwa v7, v10 dst_sel:DWORD dst_unused:UNUSED_PAD src0_sel:WORD_1
	v_cvt_f32_f16_e32 v6, v10
	v_pk_fma_f32 v[12:13], v[4:5], v[12:13], 0 op_sel_hi:[0,1,0]
	v_mov_b32_e32 v4, v5
	v_pk_fma_f32 v[4:5], v[4:5], v[14:15], v[12:13] op_sel_hi:[0,1,1]
	v_lshl_add_u32 v2, v2, 6, v22
	v_pk_fma_f32 v[4:5], v[8:9], v[6:7], v[4:5] op_sel_hi:[0,1,1]
	v_cvt_f32_f16_sdwa v7, v11 dst_sel:DWORD dst_unused:UNUSED_PAD src0_sel:WORD_1
	v_cvt_f32_f16_e32 v6, v11
	v_ashrrev_i32_e32 v3, 31, v2
	v_lshlrev_b64 v[2:3], 3, v[2:3]
	v_add_co_u32_e64 v2, s[8:9], s87, v2
	v_mov_b32_e32 v1, s6
	v_mov_b32_e32 v8, v9
	v_addc_co_u32_e64 v3, s[8:9], v1, v3, s[8:9]
	v_pk_fma_f32 v[4:5], v[8:9], v[6:7], v[4:5] op_sel_hi:[0,1,1]
	v_mov_b32_e32 v1, 0
	global_store_dwordx2 v[2:3], v[4:5], off
.LBB25_146:                             ;   in Loop: Header=BB25_14 Depth=1
	s_or_b64 exec, exec, s[10:11]
	s_movk_i32 s8, 0x47
	v_cmp_gt_i32_e64 s[8:9], s8, v1
	s_mov_b64 s[10:11], -1
	s_and_saveexec_b64 s[76:77], s[8:9]
; %bb.147:                              ;   in Loop: Header=BB25_14 Depth=1
	v_cmp_eq_u32_e64 s[8:9], 0, v1
	s_orn2_b64 s[10:11], s[8:9], exec
; %bb.148:                              ;   in Loop: Header=BB25_14 Depth=1
	s_or_b64 exec, exec, s[76:77]
	s_and_b64 exec, exec, s[10:11]
	s_cbranch_execz .LBB25_161
; %bb.149:                              ;   in Loop: Header=BB25_14 Depth=1
	v_add_u32_e32 v2, s94, v176
	v_or_b32_e32 v1, s51, v56
	v_cmp_gt_i32_e64 s[8:9], s28, v2
	v_cmp_gt_i32_e64 s[10:11], s33, v1
	s_and_b64 s[8:9], s[8:9], s[10:11]
	v_mov_b32_e32 v1, 0x47
	s_and_saveexec_b64 s[10:11], s[8:9]
	s_cbranch_execz .LBB25_151
; %bb.150:                              ;   in Loop: Header=BB25_14 Depth=1
	v_add_u32_e32 v1, 0, v129
	ds_read2st64_b32 v[4:5], v1 offset0:1 offset1:18
	ds_read2st64_b32 v[6:7], v130 offset1:17
	ds_read2st64_b32 v[8:9], v1 offset0:35 offset1:52
	ds_read2st64_b32 v[10:11], v130 offset0:34 offset1:51
	v_mad_u64_u32 v[2:3], s[8:9], v2, s29, v[56:57]
	s_waitcnt lgkmcnt(2)
	v_cvt_f32_f16_sdwa v13, v6 dst_sel:DWORD dst_unused:UNUSED_PAD src0_sel:WORD_1
	v_cvt_f32_f16_e32 v12, v6
	v_cvt_f32_f16_sdwa v15, v7 dst_sel:DWORD dst_unused:UNUSED_PAD src0_sel:WORD_1
	v_cvt_f32_f16_e32 v14, v7
	s_waitcnt lgkmcnt(0)
	v_cvt_f32_f16_sdwa v7, v10 dst_sel:DWORD dst_unused:UNUSED_PAD src0_sel:WORD_1
	v_cvt_f32_f16_e32 v6, v10
	v_pk_fma_f32 v[12:13], v[4:5], v[12:13], 0 op_sel_hi:[0,1,0]
	v_mov_b32_e32 v4, v5
	v_pk_fma_f32 v[4:5], v[4:5], v[14:15], v[12:13] op_sel_hi:[0,1,1]
	v_lshl_add_u32 v2, v2, 6, v22
	v_pk_fma_f32 v[4:5], v[8:9], v[6:7], v[4:5] op_sel_hi:[0,1,1]
	v_cvt_f32_f16_sdwa v7, v11 dst_sel:DWORD dst_unused:UNUSED_PAD src0_sel:WORD_1
	v_cvt_f32_f16_e32 v6, v11
	v_ashrrev_i32_e32 v3, 31, v2
	v_lshlrev_b64 v[2:3], 3, v[2:3]
	v_add_co_u32_e64 v2, s[8:9], s87, v2
	v_mov_b32_e32 v1, s6
	v_mov_b32_e32 v8, v9
	v_addc_co_u32_e64 v3, s[8:9], v1, v3, s[8:9]
	v_pk_fma_f32 v[4:5], v[8:9], v[6:7], v[4:5] op_sel_hi:[0,1,1]
	v_mov_b32_e32 v1, 0
	global_store_dwordx2 v[2:3], v[4:5], off
.LBB25_151:                             ;   in Loop: Header=BB25_14 Depth=1
	s_or_b64 exec, exec, s[10:11]
	s_movk_i32 s8, 0x47
	v_cmp_gt_i32_e64 s[8:9], s8, v1
	s_mov_b64 s[10:11], -1
	s_and_saveexec_b64 s[76:77], s[8:9]
; %bb.152:                              ;   in Loop: Header=BB25_14 Depth=1
	v_cmp_eq_u32_e64 s[8:9], 0, v1
	s_orn2_b64 s[10:11], s[8:9], exec
; %bb.153:                              ;   in Loop: Header=BB25_14 Depth=1
	s_or_b64 exec, exec, s[76:77]
	s_and_b64 exec, exec, s[10:11]
	s_cbranch_execz .LBB25_161
; %bb.154:                              ;   in Loop: Header=BB25_14 Depth=1
	v_add_u32_e32 v2, s94, v131
	v_cmp_gt_i32_e64 s[8:9], s28, v2
	s_and_b64 s[10:11], s[8:9], vcc
	v_mov_b32_e32 v1, 0x47
	s_and_saveexec_b64 s[8:9], s[10:11]
	s_cbranch_execz .LBB25_156
; %bb.155:                              ;   in Loop: Header=BB25_14 Depth=1
	v_add_u32_e32 v1, 0, v132
	ds_read2st64_b32 v[4:5], v1 offset0:1 offset1:18
	ds_read2st64_b32 v[6:7], v133 offset1:17
	ds_read2st64_b32 v[8:9], v1 offset0:35 offset1:52
	ds_read2st64_b32 v[10:11], v133 offset0:34 offset1:51
	v_mad_u64_u32 v[2:3], s[10:11], v2, s29, v[66:67]
	s_waitcnt lgkmcnt(2)
	v_cvt_f32_f16_sdwa v13, v6 dst_sel:DWORD dst_unused:UNUSED_PAD src0_sel:WORD_1
	v_cvt_f32_f16_e32 v12, v6
	v_cvt_f32_f16_sdwa v15, v7 dst_sel:DWORD dst_unused:UNUSED_PAD src0_sel:WORD_1
	v_cvt_f32_f16_e32 v14, v7
	s_waitcnt lgkmcnt(0)
	v_cvt_f32_f16_sdwa v7, v10 dst_sel:DWORD dst_unused:UNUSED_PAD src0_sel:WORD_1
	v_cvt_f32_f16_e32 v6, v10
	v_pk_fma_f32 v[12:13], v[4:5], v[12:13], 0 op_sel_hi:[0,1,0]
	v_mov_b32_e32 v4, v5
	v_pk_fma_f32 v[4:5], v[4:5], v[14:15], v[12:13] op_sel_hi:[0,1,1]
	v_lshl_add_u32 v2, v2, 6, v22
	v_pk_fma_f32 v[4:5], v[8:9], v[6:7], v[4:5] op_sel_hi:[0,1,1]
	v_cvt_f32_f16_sdwa v7, v11 dst_sel:DWORD dst_unused:UNUSED_PAD src0_sel:WORD_1
	v_cvt_f32_f16_e32 v6, v11
	v_ashrrev_i32_e32 v3, 31, v2
	v_lshlrev_b64 v[2:3], 3, v[2:3]
	v_add_co_u32_e32 v2, vcc, s87, v2
	v_mov_b32_e32 v1, s6
	v_mov_b32_e32 v8, v9
	v_addc_co_u32_e32 v3, vcc, v1, v3, vcc
	v_pk_fma_f32 v[4:5], v[8:9], v[6:7], v[4:5] op_sel_hi:[0,1,1]
	v_mov_b32_e32 v1, 0
	global_store_dwordx2 v[2:3], v[4:5], off
.LBB25_156:                             ;   in Loop: Header=BB25_14 Depth=1
	s_or_b64 exec, exec, s[8:9]
	s_movk_i32 s8, 0x47
	v_cmp_gt_i32_e32 vcc, s8, v1
	s_mov_b64 s[8:9], -1
	s_and_saveexec_b64 s[10:11], vcc
; %bb.157:                              ;   in Loop: Header=BB25_14 Depth=1
	v_cmp_eq_u32_e32 vcc, 0, v1
	s_orn2_b64 s[8:9], vcc, exec
; %bb.158:                              ;   in Loop: Header=BB25_14 Depth=1
	s_or_b64 exec, exec, s[10:11]
	s_and_b64 exec, exec, s[8:9]
	s_cbranch_execz .LBB25_161
; %bb.159:                              ;   in Loop: Header=BB25_14 Depth=1
	v_add_u32_e32 v1, s94, v177
	v_or_b32_e32 v2, s51, v58
	v_cmp_gt_i32_e32 vcc, s28, v1
	v_cmp_gt_i32_e64 s[8:9], s33, v2
	s_and_b64 s[8:9], vcc, s[8:9]
	s_and_b64 exec, exec, s[8:9]
	s_cbranch_execz .LBB25_161
; %bb.160:                              ;   in Loop: Header=BB25_14 Depth=1
	v_mad_u64_u32 v[2:3], s[8:9], v1, s29, v[58:59]
	v_add_u32_e32 v1, 0, v134
	ds_read2st64_b32 v[4:5], v1 offset0:1 offset1:18
	ds_read2st64_b32 v[6:7], v135 offset1:17
	ds_read2st64_b32 v[8:9], v1 offset0:35 offset1:52
	ds_read2st64_b32 v[10:11], v135 offset0:34 offset1:51
	v_lshl_add_u32 v2, v2, 6, v22
	v_ashrrev_i32_e32 v3, 31, v2
	s_waitcnt lgkmcnt(2)
	v_cvt_f32_f16_sdwa v13, v6 dst_sel:DWORD dst_unused:UNUSED_PAD src0_sel:WORD_1
	v_cvt_f32_f16_e32 v12, v6
	v_cvt_f32_f16_sdwa v15, v7 dst_sel:DWORD dst_unused:UNUSED_PAD src0_sel:WORD_1
	v_cvt_f32_f16_e32 v14, v7
	s_waitcnt lgkmcnt(0)
	v_cvt_f32_f16_sdwa v7, v10 dst_sel:DWORD dst_unused:UNUSED_PAD src0_sel:WORD_1
	v_cvt_f32_f16_e32 v6, v10
	v_pk_fma_f32 v[12:13], v[4:5], v[12:13], 0 op_sel_hi:[0,1,0]
	v_mov_b32_e32 v4, v5
	v_pk_fma_f32 v[4:5], v[4:5], v[14:15], v[12:13] op_sel_hi:[0,1,1]
	v_pk_fma_f32 v[4:5], v[8:9], v[6:7], v[4:5] op_sel_hi:[0,1,1]
	v_cvt_f32_f16_sdwa v7, v11 dst_sel:DWORD dst_unused:UNUSED_PAD src0_sel:WORD_1
	v_cvt_f32_f16_e32 v6, v11
	v_lshlrev_b64 v[2:3], 3, v[2:3]
	v_add_co_u32_e32 v2, vcc, s87, v2
	v_mov_b32_e32 v1, s6
	v_mov_b32_e32 v8, v9
	v_addc_co_u32_e32 v3, vcc, v1, v3, vcc
	v_pk_fma_f32 v[4:5], v[8:9], v[6:7], v[4:5] op_sel_hi:[0,1,1]
	global_store_dwordx2 v[2:3], v[4:5], off
.LBB25_161:                             ;   in Loop: Header=BB25_14 Depth=1
	s_or_b64 exec, exec, s[74:75]
	s_barrier
	s_branch .LBB25_13
.LBB25_162:                             ;   in Loop: Header=BB25_14 Depth=1
	s_lshl_b32 s63, s63, 3
	v_add_u32_e32 v1, s63, v77
	v_cmp_gt_i32_e64 s[8:9], s33, v23
	v_cmp_le_i32_e32 vcc, s28, v1
	s_xor_b64 s[8:9], s[8:9], -1
	s_or_b64 s[10:11], vcc, s[8:9]
	s_and_saveexec_b64 s[74:75], s[10:11]
	s_xor_b64 s[10:11], exec, s[74:75]
	s_cbranch_execz .LBB25_164
; %bb.163:                              ;   in Loop: Header=BB25_14 Depth=1
	ds_write_b32 v93, v155
                                        ; implicit-def: $vgpr1
.LBB25_164:                             ;   in Loop: Header=BB25_14 Depth=1
	s_andn2_saveexec_b64 s[10:11], s[10:11]
	s_cbranch_execz .LBB25_166
; %bb.165:                              ;   in Loop: Header=BB25_14 Depth=1
	v_mad_u64_u32 v[2:3], s[74:75], v1, s55, v[64:65]
	v_ashrrev_i32_e32 v3, 31, v2
	v_lshlrev_b64 v[2:3], 3, v[2:3]
	v_mov_b32_e32 v1, s93
	v_add_co_u32_e32 v2, vcc, s92, v2
	v_addc_co_u32_e32 v3, vcc, v1, v3, vcc
	global_load_dwordx2 v[2:3], v[2:3], off
	s_waitcnt vmcnt(0)
	v_cvt_f16_f32_e32 v1, v2
	v_cvt_f16_f32_e32 v2, v3
	v_pack_b32_f16 v1, v1, v2
	v_pk_mul_f16 v1, v61, v1
	ds_write_b32 v93, v1
.LBB25_166:                             ;   in Loop: Header=BB25_14 Depth=1
	s_or_b64 exec, exec, s[10:11]
	v_add_u32_e32 v1, s63, v166
	v_cmp_le_i32_e32 vcc, s28, v1
	s_or_b64 s[10:11], vcc, s[8:9]
	s_and_saveexec_b64 s[74:75], s[10:11]
	s_xor_b64 s[10:11], exec, s[74:75]
	s_cbranch_execz .LBB25_168
; %bb.167:                              ;   in Loop: Header=BB25_14 Depth=1
	ds_write_b32 v93, v155 offset:1088
                                        ; implicit-def: $vgpr1
.LBB25_168:                             ;   in Loop: Header=BB25_14 Depth=1
	s_andn2_saveexec_b64 s[10:11], s[10:11]
	s_cbranch_execz .LBB25_170
; %bb.169:                              ;   in Loop: Header=BB25_14 Depth=1
	v_mad_u64_u32 v[2:3], s[74:75], v1, s55, v[64:65]
	v_ashrrev_i32_e32 v3, 31, v2
	v_lshlrev_b64 v[2:3], 3, v[2:3]
	v_mov_b32_e32 v1, s93
	v_add_co_u32_e32 v2, vcc, s92, v2
	v_addc_co_u32_e32 v3, vcc, v1, v3, vcc
	global_load_dwordx2 v[2:3], v[2:3], off
	s_waitcnt vmcnt(0)
	v_cvt_f16_f32_e32 v1, v2
	v_cvt_f16_f32_e32 v2, v3
	v_pack_b32_f16 v1, v1, v2
	v_pk_mul_f16 v1, v61, v1
	ds_write_b32 v93, v1 offset:1088
.LBB25_170:                             ;   in Loop: Header=BB25_14 Depth=1
	s_or_b64 exec, exec, s[10:11]
	v_add_u32_e32 v1, s63, v167
	v_cmp_le_i32_e32 vcc, s28, v1
	s_or_b64 s[10:11], vcc, s[8:9]
	s_and_saveexec_b64 s[74:75], s[10:11]
	s_xor_b64 s[10:11], exec, s[74:75]
	s_cbranch_execz .LBB25_172
; %bb.171:                              ;   in Loop: Header=BB25_14 Depth=1
	ds_write_b32 v93, v155 offset:2176
                                        ; implicit-def: $vgpr1
.LBB25_172:                             ;   in Loop: Header=BB25_14 Depth=1
	s_andn2_saveexec_b64 s[10:11], s[10:11]
	s_cbranch_execz .LBB25_174
; %bb.173:                              ;   in Loop: Header=BB25_14 Depth=1
	v_mad_u64_u32 v[2:3], s[74:75], v1, s55, v[64:65]
	v_ashrrev_i32_e32 v3, 31, v2
	v_lshlrev_b64 v[2:3], 3, v[2:3]
	v_mov_b32_e32 v1, s93
	v_add_co_u32_e32 v2, vcc, s92, v2
	v_addc_co_u32_e32 v3, vcc, v1, v3, vcc
	global_load_dwordx2 v[2:3], v[2:3], off
	s_waitcnt vmcnt(0)
	v_cvt_f16_f32_e32 v1, v2
	v_cvt_f16_f32_e32 v2, v3
	v_pack_b32_f16 v1, v1, v2
	v_pk_mul_f16 v1, v61, v1
	ds_write_b32 v93, v1 offset:2176
.LBB25_174:                             ;   in Loop: Header=BB25_14 Depth=1
	s_or_b64 exec, exec, s[10:11]
	v_add_u32_e32 v1, s63, v168
	v_cmp_le_i32_e32 vcc, s28, v1
	s_or_b64 s[8:9], vcc, s[8:9]
	s_and_saveexec_b64 s[10:11], s[8:9]
	s_xor_b64 s[8:9], exec, s[10:11]
	s_cbranch_execz .LBB25_176
; %bb.175:                              ;   in Loop: Header=BB25_14 Depth=1
	ds_write_b32 v93, v155 offset:3264
                                        ; implicit-def: $vgpr1
.LBB25_176:                             ;   in Loop: Header=BB25_14 Depth=1
	s_andn2_saveexec_b64 s[8:9], s[8:9]
	s_cbranch_execz .LBB25_178
; %bb.177:                              ;   in Loop: Header=BB25_14 Depth=1
	v_mad_u64_u32 v[2:3], s[10:11], v1, s55, v[64:65]
	v_ashrrev_i32_e32 v3, 31, v2
	v_lshlrev_b64 v[2:3], 3, v[2:3]
	v_mov_b32_e32 v1, s93
	v_add_co_u32_e32 v2, vcc, s92, v2
	v_addc_co_u32_e32 v3, vcc, v1, v3, vcc
	global_load_dwordx2 v[2:3], v[2:3], off
	s_waitcnt vmcnt(0)
	v_cvt_f16_f32_e32 v1, v2
	v_cvt_f16_f32_e32 v2, v3
	v_pack_b32_f16 v1, v1, v2
	v_pk_mul_f16 v1, v61, v1
	ds_write_b32 v93, v1 offset:3264
.LBB25_178:                             ;   in Loop: Header=BB25_14 Depth=1
	s_or_b64 exec, exec, s[8:9]
	s_waitcnt lgkmcnt(0)
	s_barrier
	ds_read2_b64 v[14:17], v79 offset1:4
	ds_read2_b64 v[10:13], v79 offset0:8 offset1:12
	ds_read2_b64 v[6:9], v79 offset0:16 offset1:20
	;; [unrolled: 1-line block ×3, first 2 shown]
	s_cmp_gt_i32 s62, 1
	s_waitcnt lgkmcnt(0)
	s_barrier
	s_cbranch_scc1 .LBB25_180
; %bb.179:                              ;   in Loop: Header=BB25_14 Depth=1
	s_mov_b64 s[8:9], 0
	s_mov_b32 s11, 0xfeffffff
	s_mov_b32 s74, 0
	;; [unrolled: 1-line block ×3, first 2 shown]
	s_branch .LBB25_181
.LBB25_180:                             ;   in Loop: Header=BB25_14 Depth=1
	s_mov_b64 s[8:9], -1
                                        ; implicit-def: $sgpr10
                                        ; implicit-def: $sgpr74
                                        ; implicit-def: $sgpr11
.LBB25_181:                             ;   in Loop: Header=BB25_14 Depth=1
	v_add_u32_e32 v1, s63, v81
	v_mul_hi_u32 v18, s44, v1
	v_add_u32_e32 v18, v1, v18
	v_lshrrev_b32_e32 v18, s45, v18
	v_mul_lo_u32 v18, v18, s28
	v_sub_u32_e32 v71, v1, v18
	s_andn2_b64 vcc, exec, s[8:9]
	v_mov_b32_e32 v183, s10
	v_mov_b32_e32 v19, s74
	;; [unrolled: 1-line block ×18, first 2 shown]
	s_cbranch_vccnz .LBB25_201
; %bb.182:                              ;   in Loop: Header=BB25_14 Depth=1
	v_and_b32_e32 v1, 64, v154
	v_add_u32_e32 v1, 64, v1
	v_xor_b32_e32 v18, 32, v154
	v_cmp_lt_i32_e32 vcc, v18, v1
	v_cndmask_b32_e32 v18, v154, v18, vcc
	v_lshlrev_b32_e32 v187, 2, v18
	v_xor_b32_e32 v18, 16, v154
	v_readlane_b32 s8, v210, 22
	v_cmp_lt_i32_e32 vcc, v18, v1
	v_readlane_b32 s9, v210, 23
	s_add_i32 s10, s62, -1
	v_cndmask_b32_e32 v1, v154, v18, vcc
	v_mad_i64_i32 v[18:19], s[8:9], s8, v71, v[68:69]
	v_add_co_u32_e32 v68, vcc, v136, v18
	s_add_u32 s8, s89, s90
	v_addc_co_u32_e32 v69, vcc, v137, v19, vcc
	s_addc_u32 s9, s60, s91
	v_lshlrev_b32_e32 v188, 2, v1
	v_mov_b32_e32 v1, s9
	v_add_co_u32_e32 v70, vcc, s8, v138
	v_addc_co_u32_e32 v1, vcc, v139, v1, vcc
	v_mov_b32_e32 v18, s9
	v_add_co_u32_e32 v72, vcc, s8, v140
	v_addc_co_u32_e32 v23, vcc, v141, v18, vcc
	v_add_co_u32_e32 v74, vcc, s8, v142
	v_addc_co_u32_e32 v25, vcc, v143, v18, vcc
	v_add_co_u32_e32 v76, vcc, s8, v144
	s_add_u32 s8, s65, s52
	v_addc_co_u32_e32 v45, vcc, v145, v18, vcc
	s_addc_u32 s9, s64, s53
	v_mov_b32_e32 v18, s9
	v_add_co_u32_e32 v78, vcc, s8, v146
	v_addc_co_u32_e32 v47, vcc, v147, v18, vcc
	v_add_co_u32_e32 v80, vcc, s8, v148
	v_addc_co_u32_e32 v49, vcc, v149, v18, vcc
	;; [unrolled: 2-line block ×3, first 2 shown]
	v_add_co_u32_e32 v84, vcc, s8, v152
	v_mov_b32_e32 v200, 0
	v_addc_co_u32_e32 v53, vcc, v153, v18, vcc
	v_mov_b32_e32 v201, 0
	v_mov_b32_e32 v202, 0xfeffffff
	s_mov_b32 s11, s10
	v_mov_b32_e32 v199, 0
	v_mov_b32_e32 v198, 0
	;; [unrolled: 1-line block ×15, first 2 shown]
.LBB25_183:                             ;   Parent Loop BB25_14 Depth=1
                                        ; =>  This Inner Loop Header: Depth=2
	global_load_dword v18, v[68:69], off
                                        ; implicit-def: $vgpr203
	s_waitcnt vmcnt(0)
	ds_write_b32 v83, v18 offset:17408
	v_add_co_u32_e32 v18, vcc, v78, v60
	v_addc_co_u32_e32 v19, vcc, 0, v47, vcc
	global_load_dwordx4 v[18:21], v[18:19], off
	s_waitcnt vmcnt(0)
	ds_write_b128 v85, v[18:21]
	v_add_co_u32_e32 v18, vcc, v80, v60
	v_addc_co_u32_e32 v19, vcc, 0, v49, vcc
	global_load_dwordx4 v[18:21], v[18:19], off
	s_waitcnt vmcnt(0)
	ds_write_b128 v156, v[18:21]
	;; [unrolled: 5-line block ×4, first 2 shown]
	s_waitcnt lgkmcnt(0)
	s_barrier
	ds_read2_b64 v[18:21], v86 offset1:4
	s_waitcnt lgkmcnt(0)
	v_mfma_f32_16x16x16f16 v[204:207], v[18:19], v[14:15], 0
	v_mfma_f32_16x16x16f16 v[18:21], v[20:21], v[16:17], v[204:207]
	s_nop 7
	s_nop 1
	ds_read2_b64 v[204:207], v86 offset0:8 offset1:12
	s_waitcnt lgkmcnt(0)
	v_mfma_f32_16x16x16f16 v[18:21], v[204:205], v[10:11], v[18:21]
	v_mfma_f32_16x16x16f16 v[18:21], v[206:207], v[12:13], v[18:21]
	ds_read2_b64 v[204:207], v86 offset0:16 offset1:20
	s_waitcnt lgkmcnt(0)
	v_mfma_f32_16x16x16f16 v[18:21], v[204:205], v[6:7], v[18:21]
	v_mfma_f32_16x16x16f16 v[18:21], v[206:207], v[8:9], v[18:21]
	ds_read2_b64 v[204:207], v86 offset0:24 offset1:28
	s_waitcnt lgkmcnt(0)
	s_barrier
	v_mfma_f32_16x16x16f16 v[18:21], v[204:205], v[2:3], v[18:21]
	v_mfma_f32_16x16x16f16 v[18:21], v[206:207], v[4:5], v[18:21]
	s_nop 7
	s_nop 2
	v_cmp_nlt_f32_e64 s[8:9], |v18|, s43
	s_and_saveexec_b64 s[52:53], s[8:9]
	s_xor_b64 s[8:9], exec, s[52:53]
	s_cbranch_execz .LBB25_185
; %bb.184:                              ;   in Loop: Header=BB25_183 Depth=2
	v_add_f32_e64 v203, |v18|, |v18|
	v_mul_f32_e32 v204, 0x3fb8aa3b, v203
	v_rndne_f32_e32 v205, v204
	v_sub_f32_e32 v206, v204, v205
	v_fma_f32 v204, v203, s67, -v204
	v_fmac_f32_e32 v204, 0x32a5705f, v203
	v_add_f32_e32 v204, v206, v204
	v_cvt_i32_f32_e32 v205, v205
	v_exp_f32_e32 v204, v204
	v_cmp_ngt_f32_e32 vcc, s95, v203
	v_ldexp_f32 v204, v204, v205
	v_cndmask_b32_e32 v204, 0, v204, vcc
	v_cmp_nlt_f32_e32 vcc, s56, v203
	v_cndmask_b32_e32 v203, v181, v204, vcc
	v_add_f32_e32 v203, 1.0, v203
	v_rcp_f32_e32 v203, v203
	v_fma_f32 v203, v203, -2.0, 1.0
.LBB25_185:                             ;   in Loop: Header=BB25_183 Depth=2
	s_andn2_saveexec_b64 s[8:9], s[8:9]
; %bb.186:                              ;   in Loop: Header=BB25_183 Depth=2
	v_mul_f32_e32 v203, v18, v18
	v_mov_b32_e32 v204, 0x3ca908c9
	v_fmac_f32_e32 v204, 0xbbbac73d, v203
	v_fma_f32 v204, v203, v204, v178
	v_fma_f32 v204, v203, v204, v179
	;; [unrolled: 1-line block ×3, first 2 shown]
	v_mul_f32_e64 v204, |v18|, v204
	v_fma_f32 v203, v203, v204, |v18|
; %bb.187:                              ;   in Loop: Header=BB25_183 Depth=2
	s_or_b64 exec, exec, s[8:9]
	v_cmp_nlt_f32_e64 s[8:9], |v19|, s43
                                        ; implicit-def: $vgpr204
	s_and_saveexec_b64 s[52:53], s[8:9]
	s_xor_b64 s[8:9], exec, s[52:53]
	s_cbranch_execz .LBB25_189
; %bb.188:                              ;   in Loop: Header=BB25_183 Depth=2
	v_add_f32_e64 v204, |v19|, |v19|
	v_mul_f32_e32 v205, 0x3fb8aa3b, v204
	v_rndne_f32_e32 v206, v205
	v_sub_f32_e32 v207, v205, v206
	v_fma_f32 v205, v204, s67, -v205
	v_fmac_f32_e32 v205, 0x32a5705f, v204
	v_add_f32_e32 v205, v207, v205
	v_cvt_i32_f32_e32 v206, v206
	v_exp_f32_e32 v205, v205
	v_cmp_ngt_f32_e32 vcc, s95, v204
	v_ldexp_f32 v205, v205, v206
	v_cndmask_b32_e32 v205, 0, v205, vcc
	v_cmp_nlt_f32_e32 vcc, s56, v204
	v_cndmask_b32_e32 v204, v181, v205, vcc
	v_add_f32_e32 v204, 1.0, v204
	v_rcp_f32_e32 v204, v204
	v_fma_f32 v204, v204, -2.0, 1.0
.LBB25_189:                             ;   in Loop: Header=BB25_183 Depth=2
	s_andn2_saveexec_b64 s[8:9], s[8:9]
; %bb.190:                              ;   in Loop: Header=BB25_183 Depth=2
	v_mul_f32_e32 v204, v19, v19
	v_mov_b32_e32 v205, 0x3ca908c9
	v_fmac_f32_e32 v205, 0xbbbac73d, v204
	v_fma_f32 v205, v204, v205, v178
	v_fma_f32 v205, v204, v205, v179
	;; [unrolled: 1-line block ×3, first 2 shown]
	v_mul_f32_e64 v205, |v19|, v205
	v_fma_f32 v204, v204, v205, |v19|
; %bb.191:                              ;   in Loop: Header=BB25_183 Depth=2
	s_or_b64 exec, exec, s[8:9]
	v_cmp_nlt_f32_e64 s[8:9], |v20|, s43
                                        ; implicit-def: $vgpr205
	s_and_saveexec_b64 s[52:53], s[8:9]
	s_xor_b64 s[8:9], exec, s[52:53]
	s_cbranch_execz .LBB25_193
; %bb.192:                              ;   in Loop: Header=BB25_183 Depth=2
	v_add_f32_e64 v205, |v20|, |v20|
	v_mul_f32_e32 v206, 0x3fb8aa3b, v205
	v_rndne_f32_e32 v207, v206
	v_sub_f32_e32 v208, v206, v207
	v_fma_f32 v206, v205, s67, -v206
	v_fmac_f32_e32 v206, 0x32a5705f, v205
	v_add_f32_e32 v206, v208, v206
	v_cvt_i32_f32_e32 v207, v207
	v_exp_f32_e32 v206, v206
	v_cmp_ngt_f32_e32 vcc, s95, v205
	v_ldexp_f32 v206, v206, v207
	v_cndmask_b32_e32 v206, 0, v206, vcc
	v_cmp_nlt_f32_e32 vcc, s56, v205
	v_cndmask_b32_e32 v205, v181, v206, vcc
	v_add_f32_e32 v205, 1.0, v205
	v_rcp_f32_e32 v205, v205
	v_fma_f32 v205, v205, -2.0, 1.0
.LBB25_193:                             ;   in Loop: Header=BB25_183 Depth=2
	s_andn2_saveexec_b64 s[8:9], s[8:9]
; %bb.194:                              ;   in Loop: Header=BB25_183 Depth=2
	v_mul_f32_e32 v205, v20, v20
	v_mov_b32_e32 v206, 0x3ca908c9
	v_fmac_f32_e32 v206, 0xbbbac73d, v205
	v_fma_f32 v206, v205, v206, v178
	v_fma_f32 v206, v205, v206, v179
	;; [unrolled: 1-line block ×3, first 2 shown]
	v_mul_f32_e64 v206, |v20|, v206
	v_fma_f32 v205, v205, v206, |v20|
; %bb.195:                              ;   in Loop: Header=BB25_183 Depth=2
	s_or_b64 exec, exec, s[8:9]
	v_cmp_nlt_f32_e64 s[8:9], |v21|, s43
                                        ; implicit-def: $vgpr206
	s_and_saveexec_b64 s[52:53], s[8:9]
	s_xor_b64 s[8:9], exec, s[52:53]
	s_cbranch_execz .LBB25_197
; %bb.196:                              ;   in Loop: Header=BB25_183 Depth=2
	v_add_f32_e64 v206, |v21|, |v21|
	v_mul_f32_e32 v207, 0x3fb8aa3b, v206
	v_rndne_f32_e32 v208, v207
	v_sub_f32_e32 v209, v207, v208
	v_fma_f32 v207, v206, s67, -v207
	v_fmac_f32_e32 v207, 0x32a5705f, v206
	v_add_f32_e32 v207, v209, v207
	v_cvt_i32_f32_e32 v208, v208
	v_exp_f32_e32 v207, v207
	v_cmp_ngt_f32_e32 vcc, s95, v206
	v_ldexp_f32 v207, v207, v208
	v_cndmask_b32_e32 v207, 0, v207, vcc
	v_cmp_nlt_f32_e32 vcc, s56, v206
	v_cndmask_b32_e32 v206, v181, v207, vcc
	v_add_f32_e32 v206, 1.0, v206
	v_rcp_f32_e32 v206, v206
	v_fma_f32 v206, v206, -2.0, 1.0
.LBB25_197:                             ;   in Loop: Header=BB25_183 Depth=2
	s_andn2_saveexec_b64 s[8:9], s[8:9]
; %bb.198:                              ;   in Loop: Header=BB25_183 Depth=2
	v_mul_f32_e32 v206, v21, v21
	v_mov_b32_e32 v207, 0x3ca908c9
	v_fmac_f32_e32 v207, 0xbbbac73d, v206
	v_fma_f32 v207, v206, v207, v178
	v_fma_f32 v207, v206, v207, v179
	;; [unrolled: 1-line block ×3, first 2 shown]
	v_mul_f32_e64 v207, |v21|, v207
	v_fma_f32 v206, v206, v207, |v21|
; %bb.199:                              ;   in Loop: Header=BB25_183 Depth=2
	s_or_b64 exec, exec, s[8:9]
	v_bfi_b32 v18, s59, v203, v18
	v_add_u32_e32 v203, 0x4400, v87
	v_bfi_b32 v19, s59, v204, v19
	v_bfi_b32 v20, s59, v205, v20
	ds_read2_b32 v[204:205], v203 offset1:1
	v_bfi_b32 v21, s59, v206, v21
	s_add_i32 s11, s11, -1
	s_cmp_lg_u32 s11, 0
	s_waitcnt lgkmcnt(0)
	v_cvt_f32_f16_e32 v206, v204
	v_cvt_f32_f16_sdwa v207, v204 dst_sel:DWORD dst_unused:UNUSED_PAD src0_sel:WORD_1
	v_pk_fma_f32 v[206:207], v[18:19], s[34:35], v[206:207]
	v_add_f32_e32 v18, 0x40051340, v206
	v_add_f32_e32 v19, 0x40051340, v207
	v_max3_f32 v203, v202, v18, v19
	v_cvt_f32_f16_e32 v18, v205
	v_cvt_f32_f16_sdwa v19, v205 dst_sel:DWORD dst_unused:UNUSED_PAD src0_sel:WORD_1
	v_pk_fma_f32 v[20:21], v[20:21], s[34:35], v[18:19]
	v_add_f32_e32 v18, 0x40051340, v20
	v_add_f32_e32 v19, 0x40051340, v21
	v_max3_f32 v18, v203, v18, v19
	ds_bpermute_b32 v19, v187, v18
	s_waitcnt lgkmcnt(0)
	v_max_f32_e32 v19, v19, v19
	v_max_f32_e32 v18, v18, v19
	ds_bpermute_b32 v19, v188, v18
	s_waitcnt lgkmcnt(0)
	v_max_f32_e32 v19, v19, v19
	v_max_f32_e32 v18, v18, v19
	v_pk_add_f32 v[204:205], v[206:207], v[18:19] op_sel_hi:[1,0] neg_lo:[0,1] neg_hi:[0,1]
	v_mul_f32_e32 v19, 0x3fb8aa3b, v205
	v_fma_f32 v203, v205, s67, -v19
	v_rndne_f32_e32 v206, v19
	v_fmac_f32_e32 v203, 0x32a5705f, v205
	v_sub_f32_e32 v19, v19, v206
	v_add_f32_e32 v19, v19, v203
	v_exp_f32_e32 v19, v19
	v_cvt_i32_f32_e32 v203, v206
	v_cmp_ngt_f32_e32 vcc, s95, v205
	v_ldexp_f32 v19, v19, v203
	v_cndmask_b32_e32 v19, 0, v19, vcc
	v_cmp_nlt_f32_e32 vcc, s56, v205
	v_cndmask_b32_e32 v203, v181, v19, vcc
	v_mul_f32_e32 v19, 0x3fb8aa3b, v204
	v_fma_f32 v205, v204, s67, -v19
	v_rndne_f32_e32 v206, v19
	v_fmac_f32_e32 v205, 0x32a5705f, v204
	v_sub_f32_e32 v19, v19, v206
	v_add_f32_e32 v19, v19, v205
	v_exp_f32_e32 v19, v19
	v_cvt_i32_f32_e32 v205, v206
	v_cmp_ngt_f32_e32 vcc, s95, v204
	v_ldexp_f32 v19, v19, v205
	v_cndmask_b32_e32 v19, 0, v19, vcc
	v_cmp_nlt_f32_e32 vcc, s56, v204
	v_pk_add_f32 v[20:21], v[20:21], v[18:19] op_sel_hi:[1,0] neg_lo:[0,1] neg_hi:[0,1]
	v_cndmask_b32_e32 v204, v181, v19, vcc
	v_mul_f32_e32 v19, 0x3fb8aa3b, v21
	v_fma_f32 v205, v21, s67, -v19
	v_rndne_f32_e32 v206, v19
	v_fmac_f32_e32 v205, 0x32a5705f, v21
	v_sub_f32_e32 v19, v19, v206
	v_add_f32_e32 v19, v19, v205
	v_exp_f32_e32 v19, v19
	v_cvt_i32_f32_e32 v205, v206
	v_cmp_ngt_f32_e32 vcc, s95, v21
	v_ldexp_f32 v19, v19, v205
	v_cndmask_b32_e32 v19, 0, v19, vcc
	v_cmp_nlt_f32_e32 vcc, s56, v21
	v_cndmask_b32_e32 v21, v181, v19, vcc
	v_mul_f32_e32 v19, 0x3fb8aa3b, v20
	v_fma_f32 v205, v20, s67, -v19
	v_rndne_f32_e32 v206, v19
	v_fmac_f32_e32 v205, 0x32a5705f, v20
	v_sub_f32_e32 v19, v19, v206
	v_add_f32_e32 v19, v19, v205
	v_exp_f32_e32 v19, v19
	v_cvt_i32_f32_e32 v205, v206
	v_cmp_ngt_f32_e32 vcc, s95, v20
	v_ldexp_f32 v19, v19, v205
	v_cndmask_b32_e32 v19, 0, v19, vcc
	v_cmp_nlt_f32_e32 vcc, s56, v20
	v_sub_f32_e32 v20, v202, v18
	v_mul_f32_e32 v202, 0x3fb8aa3b, v20
	v_fma_f32 v206, v20, s67, -v202
	v_rndne_f32_e32 v207, v202
	v_fmac_f32_e32 v206, 0x32a5705f, v20
	v_sub_f32_e32 v202, v202, v207
	v_add_f32_e32 v202, v202, v206
	v_exp_f32_e32 v202, v202
	v_cvt_i32_f32_e32 v206, v207
	v_cndmask_b32_e32 v205, v181, v19, vcc
	v_cmp_ngt_f32_e32 vcc, s95, v20
	v_add_f32_e32 v19, v204, v203
	v_ldexp_f32 v202, v202, v206
	v_cndmask_b32_e32 v202, 0, v202, vcc
	v_cmp_nlt_f32_e32 vcc, s56, v20
	v_add_f32_e32 v19, v205, v19
	v_cndmask_b32_e32 v202, v181, v202, vcc
	v_cmp_le_f32_e32 vcc, s66, v20
	v_add_f32_e32 v19, v21, v19
	v_cndmask_b32_e32 v20, 0, v202, vcc
	v_fmac_f32_e32 v19, v201, v20
	v_cvt_f16_f32_e32 v20, v20
	v_cvt_f16_f32_e32 v201, v203
	v_add_co_u32_e32 v202, vcc, v70, v60
	v_pk_mul_f16 v184, v20, v184 op_sel_hi:[0,1]
	v_pk_mul_f16 v183, v20, v183 op_sel_hi:[0,1]
	;; [unrolled: 1-line block ×16, first 2 shown]
	v_cvt_f16_f32_e32 v20, v204
	v_addc_co_u32_e32 v203, vcc, 0, v1, vcc
	v_cvt_f16_f32_e32 v21, v21
	v_pack_b32_f16 v20, v20, v201
	v_cvt_f16_f32_e32 v201, v205
	global_load_dwordx4 v[202:205], v[202:203], off
	v_pack_b32_f16 v21, v201, v21
	s_waitcnt vmcnt(0)
	ds_write_b128 v85, v[202:205]
	v_add_co_u32_e32 v202, vcc, v72, v60
	v_addc_co_u32_e32 v203, vcc, 0, v23, vcc
	global_load_dwordx4 v[202:205], v[202:203], off
	s_waitcnt vmcnt(0)
	ds_write_b128 v156, v[202:205]
	v_add_co_u32_e32 v202, vcc, v74, v60
	v_addc_co_u32_e32 v203, vcc, 0, v25, vcc
	global_load_dwordx4 v[202:205], v[202:203], off
	;; [unrolled: 5-line block ×3, first 2 shown]
	v_add_co_u32_e32 v68, vcc, s88, v68
	v_addc_co_u32_e32 v69, vcc, 0, v69, vcc
	v_add_co_u32_e32 v70, vcc, s68, v70
	s_waitcnt vmcnt(0)
	ds_write_b128 v158, v[202:205]
	s_waitcnt lgkmcnt(0)
	s_barrier
	ds_read_u16 v201, v89 offset:272
	ds_read_u16 v206, v89 offset:544
	v_cvt_f32_f16_e32 v204, v183
	v_cvt_f32_f16_sdwa v205, v183 dst_sel:DWORD dst_unused:UNUSED_PAD src0_sel:WORD_1
	ds_read_u16 v183, v90
	ds_read_u16 v208, v90 offset:32
	v_cvt_f32_f16_e32 v202, v184
	v_cvt_f32_f16_sdwa v203, v184 dst_sel:DWORD dst_unused:UNUSED_PAD src0_sel:WORD_1
	s_waitcnt lgkmcnt(1)
	v_perm_b32 v207, v183, v206, s7
	ds_read_u16 v183, v88
	ds_read_u16 v209, v88 offset:32
	s_waitcnt lgkmcnt(1)
	v_perm_b32 v206, v201, v183, s7
	s_nop 1
	v_mfma_f32_16x16x16f16 v[202:205], v[206:207], v[20:21], v[202:205]
	s_nop 7
	s_nop 2
	v_cvt_f16_f32_e32 v183, v202
	v_cvt_f16_f32_e32 v184, v203
	;; [unrolled: 1-line block ×4, first 2 shown]
	v_cvt_f32_f16_sdwa v203, v186 dst_sel:DWORD dst_unused:UNUSED_PAD src0_sel:WORD_1
	v_pack_b32_f16 v184, v183, v184
	v_cvt_f32_f16_e32 v204, v185
	v_pack_b32_f16 v183, v201, v202
	ds_read_u16 v201, v159 offset:272
	ds_read_u16 v206, v159 offset:544
	v_cvt_f32_f16_e32 v202, v186
	v_cvt_f32_f16_sdwa v205, v185 dst_sel:DWORD dst_unused:UNUSED_PAD src0_sel:WORD_1
	s_waitcnt lgkmcnt(0)
	v_perm_b32 v207, v208, v206, s7
	v_perm_b32 v206, v201, v209, s7
	s_nop 1
	v_mfma_f32_16x16x16f16 v[202:205], v[206:207], v[20:21], v[202:205]
	s_nop 7
	s_nop 2
	v_cvt_f16_f32_e32 v185, v202
	v_cvt_f16_f32_e32 v186, v203
	v_cvt_f16_f32_e32 v201, v204
	v_cvt_f16_f32_e32 v202, v205
	v_cvt_f32_f16_sdwa v203, v190 dst_sel:DWORD dst_unused:UNUSED_PAD src0_sel:WORD_1
	v_pack_b32_f16 v186, v185, v186
	v_cvt_f32_f16_e32 v204, v189
	v_pack_b32_f16 v185, v201, v202
	ds_read_u16 v201, v88 offset:64
	ds_read_u16 v206, v160 offset:272
	ds_read_u16 v207, v160 offset:544
	ds_read_u16 v208, v90 offset:64
	v_cvt_f32_f16_e32 v202, v190
	v_cvt_f32_f16_sdwa v205, v189 dst_sel:DWORD dst_unused:UNUSED_PAD src0_sel:WORD_1
	s_waitcnt lgkmcnt(2)
	v_perm_b32 v206, v206, v201, s7
	s_waitcnt lgkmcnt(0)
	v_perm_b32 v207, v208, v207, s7
	s_nop 1
	v_mfma_f32_16x16x16f16 v[202:205], v[206:207], v[20:21], v[202:205]
	s_nop 7
	s_nop 2
	v_cvt_f16_f32_e32 v189, v202
	v_cvt_f16_f32_e32 v190, v203
	v_cvt_f16_f32_e32 v201, v204
	v_cvt_f16_f32_e32 v202, v205
	v_cvt_f32_f16_sdwa v203, v192 dst_sel:DWORD dst_unused:UNUSED_PAD src0_sel:WORD_1
	v_pack_b32_f16 v190, v189, v190
	v_cvt_f32_f16_e32 v204, v191
	v_pack_b32_f16 v189, v201, v202
	ds_read_u16 v201, v88 offset:96
	ds_read_u16 v206, v161 offset:272
	ds_read_u16 v207, v161 offset:544
	ds_read_u16 v208, v90 offset:96
	v_cvt_f32_f16_e32 v202, v192
	v_cvt_f32_f16_sdwa v205, v191 dst_sel:DWORD dst_unused:UNUSED_PAD src0_sel:WORD_1
	s_waitcnt lgkmcnt(2)
	v_perm_b32 v206, v206, v201, s7
	s_waitcnt lgkmcnt(0)
	;; [unrolled: 22-line block ×6, first 2 shown]
	v_perm_b32 v201, v208, v201, s7
	s_barrier
	s_nop 0
	v_mfma_f32_16x16x16f16 v[200:203], v[200:201], v[20:21], v[202:205]
	s_nop 7
	s_nop 2
	v_cvt_f16_f32_e32 v20, v200
	v_cvt_f16_f32_e32 v21, v201
	;; [unrolled: 1-line block ×4, first 2 shown]
	v_pack_b32_f16 v200, v20, v21
	v_mov_b32_e32 v20, s69
	v_addc_co_u32_e32 v1, vcc, v1, v20, vcc
	v_add_co_u32_e32 v72, vcc, s68, v72
	v_addc_co_u32_e32 v23, vcc, v23, v20, vcc
	v_add_co_u32_e32 v74, vcc, s68, v74
	;; [unrolled: 2-line block ×4, first 2 shown]
	v_mov_b32_e32 v20, s71
	v_addc_co_u32_e32 v47, vcc, v47, v20, vcc
	v_add_co_u32_e32 v80, vcc, s70, v80
	v_addc_co_u32_e32 v49, vcc, v49, v20, vcc
	v_add_co_u32_e32 v82, vcc, s70, v82
	;; [unrolled: 2-line block ×3, first 2 shown]
	v_pack_b32_f16 v199, v199, v201
	v_addc_co_u32_e32 v53, vcc, v53, v20, vcc
	s_cbranch_scc0 .LBB25_201
; %bb.200:                              ;   in Loop: Header=BB25_183 Depth=2
	v_mov_b32_e32 v201, v19
	v_mov_b32_e32 v202, v18
	s_branch .LBB25_183
.LBB25_201:                             ;   in Loop: Header=BB25_14 Depth=1
	v_mad_i64_i32 v[20:21], s[8:9], v71, s42, 0
	s_lshl_b32 s60, s10, 6
	s_lshl_b64 s[8:9], s[60:61], 1
	v_add_co_u32_e32 v1, vcc, s8, v182
	v_mov_b32_e32 v23, s9
	v_addc_co_u32_e32 v23, vcc, v65, v23, vcc
	v_lshlrev_b64 v[20:21], 1, v[20:21]
	v_add_co_u32_e32 v1, vcc, v1, v20
	v_addc_co_u32_e32 v21, vcc, v23, v21, vcc
	v_lshlrev_b32_e32 v20, 1, v24
	v_add_co_u32_e32 v20, vcc, v1, v20
	v_addc_co_u32_e32 v21, vcc, 0, v21, vcc
	global_load_dword v1, v[20:21], off
	s_mul_i32 s8, s41, s60
	s_mul_hi_u32 s9, s40, s60
	s_add_i32 s9, s9, s8
	s_mul_i32 s8, s40, s60
	s_lshl_b64 s[8:9], s[8:9], 2
	s_add_u32 s8, s81, s8
	s_addc_u32 s9, s78, s9
	v_mov_b32_e32 v20, s9
	s_waitcnt vmcnt(0)
	ds_write_b32 v83, v1 offset:17408
	v_add_co_u32_e32 v1, vcc, s8, v36
	v_addc_co_u32_e32 v21, vcc, v20, v37, vcc
	v_add_co_u32_e32 v20, vcc, v1, v92
	v_addc_co_u32_e32 v21, vcc, 0, v21, vcc
	global_load_dwordx4 v[68:71], v[20:21], off
	v_add_co_u32_e32 v1, vcc, s8, v38
	v_mov_b32_e32 v20, s9
	v_addc_co_u32_e32 v21, vcc, v20, v39, vcc
	v_add_co_u32_e32 v20, vcc, v1, v92
	v_addc_co_u32_e32 v21, vcc, 0, v21, vcc
	v_add_co_u32_e32 v1, vcc, s8, v40
	s_waitcnt vmcnt(0)
	ds_write_b128 v85, v[68:71]
	global_load_dwordx4 v[68:71], v[20:21], off
	v_mov_b32_e32 v20, s9
	v_addc_co_u32_e32 v21, vcc, v20, v41, vcc
	v_add_co_u32_e32 v20, vcc, v1, v92
	v_addc_co_u32_e32 v21, vcc, 0, v21, vcc
	v_add_co_u32_e32 v1, vcc, s8, v42
	s_waitcnt vmcnt(0)
	ds_write_b128 v156, v[68:71]
	global_load_dwordx4 v[68:71], v[20:21], off
	v_mov_b32_e32 v20, s9
	v_addc_co_u32_e32 v21, vcc, v20, v43, vcc
	v_add_co_u32_e32 v20, vcc, v1, v92
	v_addc_co_u32_e32 v21, vcc, 0, v21, vcc
                                        ; implicit-def: $vgpr1
	s_waitcnt vmcnt(0)
	ds_write_b128 v157, v[68:71]
	global_load_dwordx4 v[68:71], v[20:21], off
	s_waitcnt vmcnt(0)
	ds_write_b128 v158, v[68:71]
	s_waitcnt lgkmcnt(0)
	s_barrier
	ds_read2_b64 v[68:71], v86 offset1:4
	s_waitcnt lgkmcnt(0)
	v_mfma_f32_16x16x16f16 v[202:205], v[68:69], v[14:15], 0
	v_mfma_f32_16x16x16f16 v[14:17], v[70:71], v[16:17], v[202:205]
	ds_read2_b64 v[68:71], v86 offset0:8 offset1:12
	s_waitcnt lgkmcnt(0)
	v_mfma_f32_16x16x16f16 v[14:17], v[68:69], v[10:11], v[14:17]
	v_mfma_f32_16x16x16f16 v[10:13], v[70:71], v[12:13], v[14:17]
	s_nop 7
	s_nop 1
	ds_read2_b64 v[14:17], v86 offset0:16 offset1:20
	s_waitcnt lgkmcnt(0)
	v_mfma_f32_16x16x16f16 v[10:13], v[14:15], v[6:7], v[10:13]
	v_mfma_f32_16x16x16f16 v[6:9], v[16:17], v[8:9], v[10:13]
	s_nop 7
	s_nop 1
	ds_read2_b64 v[10:13], v86 offset0:24 offset1:28
	s_waitcnt lgkmcnt(0)
	v_mfma_f32_16x16x16f16 v[6:9], v[10:11], v[2:3], v[6:9]
	s_barrier
	v_mfma_f32_16x16x16f16 v[2:5], v[12:13], v[4:5], v[6:9]
	s_nop 7
	s_nop 2
	v_cmp_nlt_f32_e64 s[8:9], |v2|, s43
	s_and_saveexec_b64 s[10:11], s[8:9]
	s_xor_b64 s[8:9], exec, s[10:11]
	s_cbranch_execz .LBB25_203
; %bb.202:                              ;   in Loop: Header=BB25_14 Depth=1
	v_add_f32_e64 v1, |v2|, |v2|
	v_mul_f32_e32 v6, 0x3fb8aa3b, v1
	v_rndne_f32_e32 v7, v6
	v_sub_f32_e32 v8, v6, v7
	v_fma_f32 v6, v1, s67, -v6
	v_fmac_f32_e32 v6, 0x32a5705f, v1
	v_add_f32_e32 v6, v8, v6
	v_cvt_i32_f32_e32 v7, v7
	v_exp_f32_e32 v6, v6
	v_cmp_ngt_f32_e32 vcc, s95, v1
	v_ldexp_f32 v6, v6, v7
	v_cndmask_b32_e32 v6, 0, v6, vcc
	v_cmp_nlt_f32_e32 vcc, s56, v1
	v_cndmask_b32_e32 v1, v181, v6, vcc
	v_add_f32_e32 v1, 1.0, v1
	v_rcp_f32_e32 v1, v1
	v_fma_f32 v1, v1, -2.0, 1.0
.LBB25_203:                             ;   in Loop: Header=BB25_14 Depth=1
	s_andn2_saveexec_b64 s[8:9], s[8:9]
; %bb.204:                              ;   in Loop: Header=BB25_14 Depth=1
	v_mul_f32_e32 v1, v2, v2
	v_mov_b32_e32 v6, 0x3ca908c9
	v_fmac_f32_e32 v6, 0xbbbac73d, v1
	v_fma_f32 v6, v1, v6, v178
	v_fma_f32 v6, v1, v6, v179
	;; [unrolled: 1-line block ×3, first 2 shown]
	v_mul_f32_e64 v6, |v2|, v6
	v_fma_f32 v1, v1, v6, |v2|
; %bb.205:                              ;   in Loop: Header=BB25_14 Depth=1
	s_or_b64 exec, exec, s[8:9]
	v_cmp_nlt_f32_e64 s[8:9], |v3|, s43
                                        ; implicit-def: $vgpr6
	s_and_saveexec_b64 s[10:11], s[8:9]
	s_xor_b64 s[8:9], exec, s[10:11]
	s_cbranch_execz .LBB25_207
; %bb.206:                              ;   in Loop: Header=BB25_14 Depth=1
	v_add_f32_e64 v6, |v3|, |v3|
	v_mul_f32_e32 v7, 0x3fb8aa3b, v6
	v_rndne_f32_e32 v8, v7
	v_sub_f32_e32 v9, v7, v8
	v_fma_f32 v7, v6, s67, -v7
	v_fmac_f32_e32 v7, 0x32a5705f, v6
	v_add_f32_e32 v7, v9, v7
	v_cvt_i32_f32_e32 v8, v8
	v_exp_f32_e32 v7, v7
	v_cmp_ngt_f32_e32 vcc, s95, v6
	v_ldexp_f32 v7, v7, v8
	v_cndmask_b32_e32 v7, 0, v7, vcc
	v_cmp_nlt_f32_e32 vcc, s56, v6
	v_cndmask_b32_e32 v6, v181, v7, vcc
	v_add_f32_e32 v6, 1.0, v6
	v_rcp_f32_e32 v6, v6
	v_fma_f32 v6, v6, -2.0, 1.0
.LBB25_207:                             ;   in Loop: Header=BB25_14 Depth=1
	s_andn2_saveexec_b64 s[8:9], s[8:9]
; %bb.208:                              ;   in Loop: Header=BB25_14 Depth=1
	v_mul_f32_e32 v6, v3, v3
	v_mov_b32_e32 v7, 0x3ca908c9
	v_fmac_f32_e32 v7, 0xbbbac73d, v6
	v_fma_f32 v7, v6, v7, v178
	v_fma_f32 v7, v6, v7, v179
	v_fma_f32 v7, v6, v7, v180
	v_mul_f32_e64 v7, |v3|, v7
	v_fma_f32 v6, v6, v7, |v3|
; %bb.209:                              ;   in Loop: Header=BB25_14 Depth=1
	s_or_b64 exec, exec, s[8:9]
	v_cmp_nlt_f32_e64 s[8:9], |v4|, s43
                                        ; implicit-def: $vgpr7
	s_and_saveexec_b64 s[10:11], s[8:9]
	s_xor_b64 s[8:9], exec, s[10:11]
	s_cbranch_execz .LBB25_211
; %bb.210:                              ;   in Loop: Header=BB25_14 Depth=1
	v_add_f32_e64 v7, |v4|, |v4|
	v_mul_f32_e32 v8, 0x3fb8aa3b, v7
	v_rndne_f32_e32 v9, v8
	v_sub_f32_e32 v10, v8, v9
	v_fma_f32 v8, v7, s67, -v8
	v_fmac_f32_e32 v8, 0x32a5705f, v7
	v_add_f32_e32 v8, v10, v8
	v_cvt_i32_f32_e32 v9, v9
	v_exp_f32_e32 v8, v8
	v_cmp_ngt_f32_e32 vcc, s95, v7
	v_ldexp_f32 v8, v8, v9
	v_cndmask_b32_e32 v8, 0, v8, vcc
	v_cmp_nlt_f32_e32 vcc, s56, v7
	v_cndmask_b32_e32 v7, v181, v8, vcc
	v_add_f32_e32 v7, 1.0, v7
	v_rcp_f32_e32 v7, v7
	v_fma_f32 v7, v7, -2.0, 1.0
.LBB25_211:                             ;   in Loop: Header=BB25_14 Depth=1
	s_andn2_saveexec_b64 s[8:9], s[8:9]
; %bb.212:                              ;   in Loop: Header=BB25_14 Depth=1
	v_mul_f32_e32 v7, v4, v4
	v_mov_b32_e32 v8, 0x3ca908c9
	v_fmac_f32_e32 v8, 0xbbbac73d, v7
	v_fma_f32 v8, v7, v8, v178
	v_fma_f32 v8, v7, v8, v179
	;; [unrolled: 1-line block ×3, first 2 shown]
	v_mul_f32_e64 v8, |v4|, v8
	v_fma_f32 v7, v7, v8, |v4|
; %bb.213:                              ;   in Loop: Header=BB25_14 Depth=1
	s_or_b64 exec, exec, s[8:9]
	v_cmp_nlt_f32_e64 s[8:9], |v5|, s43
                                        ; implicit-def: $vgpr8
	s_and_saveexec_b64 s[10:11], s[8:9]
	s_xor_b64 s[8:9], exec, s[10:11]
	s_cbranch_execz .LBB25_215
; %bb.214:                              ;   in Loop: Header=BB25_14 Depth=1
	v_add_f32_e64 v8, |v5|, |v5|
	v_mul_f32_e32 v9, 0x3fb8aa3b, v8
	v_rndne_f32_e32 v10, v9
	v_sub_f32_e32 v11, v9, v10
	v_fma_f32 v9, v8, s67, -v9
	v_fmac_f32_e32 v9, 0x32a5705f, v8
	v_add_f32_e32 v9, v11, v9
	v_cvt_i32_f32_e32 v10, v10
	v_exp_f32_e32 v9, v9
	v_cmp_ngt_f32_e32 vcc, s95, v8
	v_ldexp_f32 v9, v9, v10
	v_cndmask_b32_e32 v9, 0, v9, vcc
	v_cmp_nlt_f32_e32 vcc, s56, v8
	v_cndmask_b32_e32 v8, v181, v9, vcc
	v_add_f32_e32 v8, 1.0, v8
	v_rcp_f32_e32 v8, v8
	v_fma_f32 v8, v8, -2.0, 1.0
.LBB25_215:                             ;   in Loop: Header=BB25_14 Depth=1
	s_andn2_saveexec_b64 s[8:9], s[8:9]
; %bb.216:                              ;   in Loop: Header=BB25_14 Depth=1
	v_mul_f32_e32 v8, v5, v5
	v_mov_b32_e32 v9, 0x3ca908c9
	v_fmac_f32_e32 v9, 0xbbbac73d, v8
	v_fma_f32 v9, v8, v9, v178
	v_fma_f32 v9, v8, v9, v179
	;; [unrolled: 1-line block ×3, first 2 shown]
	v_mul_f32_e64 v9, |v5|, v9
	v_fma_f32 v8, v8, v9, |v5|
; %bb.217:                              ;   in Loop: Header=BB25_14 Depth=1
	s_or_b64 exec, exec, s[8:9]
	v_bfi_b32 v2, s59, v1, v2
	v_add_u32_e32 v1, 0x4400, v87
	v_bfi_b32 v5, s59, v8, v5
	ds_read2_b32 v[8:9], v1 offset1:1
	v_bfi_b32 v3, s59, v6, v3
	v_bfi_b32 v4, s59, v7, v4
	v_and_b32_e32 v1, 64, v154
	v_add_u32_e32 v1, 64, v1
	s_waitcnt lgkmcnt(0)
	v_cvt_f32_f16_e32 v6, v8
	v_cvt_f32_f16_sdwa v7, v8 dst_sel:DWORD dst_unused:UNUSED_PAD src0_sel:WORD_1
	v_xor_b32_e32 v10, 32, v154
	v_cmp_lt_i32_e32 vcc, v10, v1
	v_cndmask_b32_e32 v8, v154, v10, vcc
	v_pk_fma_f32 v[6:7], v[2:3], s[34:35], v[6:7]
	v_cvt_f32_f16_e32 v2, v9
	v_cvt_f32_f16_sdwa v3, v9 dst_sel:DWORD dst_unused:UNUSED_PAD src0_sel:WORD_1
	v_lshlrev_b32_e32 v20, 2, v8
	v_add_f32_e32 v8, 0x40051340, v6
	v_add_f32_e32 v9, 0x40051340, v7
	v_pk_fma_f32 v[16:17], v[4:5], s[34:35], v[2:3]
	v_max3_f32 v8, v18, v8, v9
	v_add_f32_e32 v2, 0x40051340, v16
	v_add_f32_e32 v3, 0x40051340, v17
	v_max3_f32 v2, v8, v2, v3
	ds_bpermute_b32 v3, v20, v2
	v_xor_b32_e32 v4, 16, v154
	v_cmp_lt_i32_e32 vcc, v4, v1
	v_cndmask_b32_e32 v1, v154, v4, vcc
	v_lshlrev_b32_e32 v21, 2, v1
	s_waitcnt lgkmcnt(0)
	v_max_f32_e32 v1, v3, v3
	v_max_f32_e32 v1, v2, v1
	ds_bpermute_b32 v2, v21, v1
	s_mul_i32 s8, s60, s31
	s_mul_hi_u32 s9, s60, s30
	s_add_i32 s9, s9, s8
	s_mul_i32 s8, s60, s30
	s_waitcnt lgkmcnt(0)
	v_max_f32_e32 v2, v2, v2
	v_max_f32_e32 v2, v1, v2
	v_pk_add_f32 v[202:203], v[6:7], v[2:3] op_sel_hi:[1,0] neg_lo:[0,1] neg_hi:[0,1]
	v_mul_f32_e32 v1, 0x3fb8aa3b, v203
	v_fma_f32 v3, v203, s67, -v1
	v_rndne_f32_e32 v4, v1
	v_fmac_f32_e32 v3, 0x32a5705f, v203
	v_sub_f32_e32 v1, v1, v4
	v_add_f32_e32 v1, v1, v3
	v_exp_f32_e32 v1, v1
	v_cvt_i32_f32_e32 v3, v4
	s_lshl_b64 s[8:9], s[8:9], 2
	s_add_u32 s8, s79, s8
	s_addc_u32 s9, s80, s9
	v_ldexp_f32 v1, v1, v3
	v_mul_f32_e32 v3, 0x3fb8aa3b, v202
	v_fma_f32 v4, v202, s67, -v3
	v_rndne_f32_e32 v5, v3
	v_fmac_f32_e32 v4, 0x32a5705f, v202
	v_sub_f32_e32 v3, v3, v5
	v_add_f32_e32 v3, v3, v4
	v_cvt_i32_f32_e32 v23, v5
	v_mov_b32_e32 v4, s9
	v_add_co_u32_e32 v5, vcc, s8, v28
	v_addc_co_u32_e32 v6, vcc, v4, v29, vcc
	v_add_co_u32_e32 v4, vcc, v5, v92
	v_addc_co_u32_e32 v5, vcc, 0, v6, vcc
	v_mov_b32_e32 v6, s9
	v_add_co_u32_e32 v7, vcc, s8, v30
	v_addc_co_u32_e32 v6, vcc, v6, v31, vcc
	v_add_co_u32_e32 v8, vcc, v7, v92
	v_addc_co_u32_e32 v9, vcc, 0, v6, vcc
	;; [unrolled: 5-line block ×4, first 2 shown]
	global_load_dwordx4 v[4:7], v[4:5], off
	s_nop 0
	global_load_dwordx4 v[8:11], v[8:9], off
	s_nop 0
	;; [unrolled: 2-line block ×3, first 2 shown]
	global_load_dwordx4 v[68:71], v[68:69], off
	v_exp_f32_e32 v3, v3
	v_cmp_ngt_f32_e32 vcc, s95, v203
	v_cndmask_b32_e32 v1, 0, v1, vcc
	v_cmp_nlt_f32_e32 vcc, s56, v203
	v_ldexp_f32 v3, v3, v23
	v_pk_add_f32 v[16:17], v[16:17], v[2:3] op_sel_hi:[1,0] neg_lo:[0,1] neg_hi:[0,1]
	v_mul_f32_e32 v23, 0x3fb8aa3b, v17
	v_fma_f32 v25, v17, s67, -v23
	v_rndne_f32_e32 v45, v23
	v_fmac_f32_e32 v25, 0x32a5705f, v17
	v_sub_f32_e32 v23, v23, v45
	v_add_f32_e32 v23, v23, v25
	v_exp_f32_e32 v23, v23
	v_cvt_i32_f32_e32 v25, v45
	v_cndmask_b32_e32 v1, v181, v1, vcc
	v_cmp_ngt_f32_e32 vcc, s95, v202
	v_cndmask_b32_e32 v3, 0, v3, vcc
	v_ldexp_f32 v23, v23, v25
	v_mul_f32_e32 v25, 0x3fb8aa3b, v16
	v_fma_f32 v45, v16, s67, -v25
	v_rndne_f32_e32 v47, v25
	v_fmac_f32_e32 v45, 0x32a5705f, v16
	v_sub_f32_e32 v25, v25, v47
	v_add_f32_e32 v25, v25, v45
	v_exp_f32_e32 v25, v25
	v_cvt_i32_f32_e32 v45, v47
	v_cmp_nlt_f32_e32 vcc, s56, v202
	v_cndmask_b32_e32 v3, v181, v3, vcc
	v_cmp_ngt_f32_e32 vcc, s95, v17
	v_cndmask_b32_e32 v23, 0, v23, vcc
	v_cmp_nlt_f32_e32 vcc, s56, v17
	v_sub_f32_e32 v18, v18, v2
	v_cndmask_b32_e32 v17, v181, v23, vcc
	v_ldexp_f32 v23, v25, v45
	v_mul_f32_e32 v25, 0x3fb8aa3b, v18
	v_fma_f32 v45, v18, s67, -v25
	v_rndne_f32_e32 v47, v25
	v_fmac_f32_e32 v45, 0x32a5705f, v18
	v_sub_f32_e32 v25, v25, v47
	v_add_f32_e32 v25, v25, v45
	v_exp_f32_e32 v25, v25
	v_cvt_i32_f32_e32 v45, v47
	v_cmp_ngt_f32_e32 vcc, s95, v16
	v_cndmask_b32_e32 v23, 0, v23, vcc
	v_cmp_nlt_f32_e32 vcc, s56, v16
	v_cndmask_b32_e32 v16, v181, v23, vcc
	v_ldexp_f32 v25, v25, v45
	v_cmp_ngt_f32_e32 vcc, s95, v18
	v_cndmask_b32_e32 v25, 0, v25, vcc
	v_cmp_nlt_f32_e32 vcc, s56, v18
	v_cndmask_b32_e32 v25, v181, v25, vcc
	v_cmp_le_f32_e32 vcc, s66, v18
	v_cndmask_b32_e32 v18, 0, v25, vcc
	v_cvt_f16_f32_e32 v25, v18
	v_add_f32_e32 v23, v3, v1
	v_add_f32_e32 v23, v16, v23
	v_add_f32_e32 v23, v17, v23
	v_fmac_f32_e32 v23, v19, v18
	v_pk_mul_f16 v18, v25, v184 op_sel_hi:[0,1]
	s_waitcnt vmcnt(3)
	ds_write_b128 v85, v[4:7]
	s_waitcnt vmcnt(2)
	ds_write_b128 v156, v[8:11]
	;; [unrolled: 2-line block ×4, first 2 shown]
	s_waitcnt lgkmcnt(0)
	s_barrier
	v_cvt_f32_f16_e32 v4, v18
	v_cvt_f32_f16_sdwa v5, v18 dst_sel:DWORD dst_unused:UNUSED_PAD src0_sel:WORD_1
	ds_read_u16 v7, v89 offset:272
	ds_read_u16 v8, v89 offset:544
	ds_read_u16 v9, v90
	ds_read_u16 v11, v90 offset:32
	ds_read_u16 v14, v90 offset:64
	;; [unrolled: 1-line block ×5, first 2 shown]
	v_pk_mul_f16 v45, v25, v186 op_sel_hi:[0,1]
	v_pk_mul_f16 v47, v25, v185 op_sel_hi:[0,1]
	s_waitcnt lgkmcnt(5)
	v_perm_b32 v9, v9, v8, s7
	ds_read_u16 v8, v88
	ds_read_u16 v12, v88 offset:32
	ds_read_u16 v69, v88 offset:64
	;; [unrolled: 1-line block ×7, first 2 shown]
	v_pk_mul_f16 v19, v25, v183 op_sel_hi:[0,1]
	v_cvt_f16_f32_e32 v3, v3
	v_cvt_f16_f32_e32 v1, v1
	;; [unrolled: 1-line block ×4, first 2 shown]
	s_waitcnt lgkmcnt(7)
	v_perm_b32 v8, v7, v8, s7
	v_cvt_f32_f16_e32 v6, v19
	v_cvt_f32_f16_sdwa v7, v19 dst_sel:DWORD dst_unused:UNUSED_PAD src0_sel:WORD_1
	v_pack_b32_f16 v182, v3, v1
	v_pack_b32_f16 v183, v16, v17
	v_cvt_f32_f16_e32 v10, v47
	v_pk_mul_f16 v49, v25, v190 op_sel_hi:[0,1]
	v_mfma_f32_16x16x16f16 v[4:7], v[8:9], v[182:183], v[4:7]
	v_cvt_f32_f16_e32 v8, v45
	v_cvt_f32_f16_sdwa v9, v45 dst_sel:DWORD dst_unused:UNUSED_PAD src0_sel:WORD_1
	v_pk_mul_f16 v51, v25, v189 op_sel_hi:[0,1]
	v_pk_mul_f16 v53, v25, v192 op_sel_hi:[0,1]
	;; [unrolled: 1-line block ×5, first 2 shown]
	s_nop 3
	v_cvt_f16_f32_e32 v1, v4
	v_cvt_f16_f32_e32 v3, v5
	ds_read_u16 v4, v159 offset:272
	ds_read_u16 v5, v159 offset:544
	ds_read_u16 v16, v160 offset:272
	ds_read_u16 v17, v160 offset:544
	ds_read_u16 v19, v161 offset:272
	ds_read_u16 v45, v161 offset:544
	s_waitcnt lgkmcnt(4)
	v_perm_b32 v13, v11, v5, s7
	v_perm_b32 v12, v4, v12, s7
	v_cvt_f32_f16_sdwa v11, v47 dst_sel:DWORD dst_unused:UNUSED_PAD src0_sel:WORD_1
	v_cvt_f16_f32_e32 v5, v6
	v_cvt_f16_f32_e32 v47, v7
	v_mfma_f32_16x16x16f16 v[6:9], v[12:13], v[182:183], v[8:11]
	s_waitcnt lgkmcnt(2)
	v_perm_b32 v13, v14, v17, s7
	v_perm_b32 v12, v16, v69, s7
	v_pack_b32_f16 v4, v1, v3
	s_waitcnt lgkmcnt(0)
	v_perm_b32 v17, v15, v45, s7
	s_nop 0
	v_cvt_f32_f16_e32 v10, v51
	v_cvt_f32_f16_sdwa v11, v51 dst_sel:DWORD dst_unused:UNUSED_PAD src0_sel:WORD_1
	v_perm_b32 v16, v19, v70, s7
	s_nop 0
	v_cvt_f16_f32_e32 v3, v6
	v_cvt_f16_f32_e32 v6, v7
	;; [unrolled: 1-line block ×4, first 2 shown]
	v_cvt_f32_f16_e32 v8, v49
	v_cvt_f32_f16_sdwa v9, v49 dst_sel:DWORD dst_unused:UNUSED_PAD src0_sel:WORD_1
	v_cvt_f32_f16_e32 v14, v65
	v_cvt_f32_f16_sdwa v15, v65 dst_sel:DWORD dst_unused:UNUSED_PAD src0_sel:WORD_1
	v_mfma_f32_16x16x16f16 v[8:11], v[12:13], v[182:183], v[8:11]
	v_cvt_f32_f16_e32 v12, v53
	v_cvt_f32_f16_sdwa v13, v53 dst_sel:DWORD dst_unused:UNUSED_PAD src0_sel:WORD_1
	v_pack_b32_f16 v1, v5, v47
	v_pack_b32_f16 v5, v7, v189
	;; [unrolled: 1-line block ×3, first 2 shown]
	ds_read_u16 v187, v90 offset:192
	ds_read_u16 v188, v90 offset:224
	v_pk_mul_f16 v76, v25, v196 op_sel_hi:[0,1]
	s_nop 2
	v_cvt_f16_f32_e32 v7, v9
	v_cvt_f16_f32_e32 v9, v10
	;; [unrolled: 1-line block ×3, first 2 shown]
	v_mfma_f32_16x16x16f16 v[10:13], v[16:17], v[182:183], v[12:15]
	v_cvt_f16_f32_e32 v3, v8
	v_pk_mul_f16 v78, v25, v195 op_sel_hi:[0,1]
	v_pk_mul_f16 v80, v25, v198 op_sel_hi:[0,1]
	;; [unrolled: 1-line block ×3, first 2 shown]
	v_pack_b32_f16 v8, v3, v7
	s_nop 1
	v_cvt_f32_f16_e32 v14, v74
	v_pk_mul_f16 v84, v25, v200 op_sel_hi:[0,1]
	s_nop 1
	v_cvt_f16_f32_e32 v3, v10
	v_cvt_f16_f32_e32 v10, v11
	;; [unrolled: 1-line block ×4, first 2 shown]
	v_cvt_f32_f16_e32 v12, v72
	v_cvt_f32_f16_sdwa v13, v72 dst_sel:DWORD dst_unused:UNUSED_PAD src0_sel:WORD_1
	ds_read_u16 v7, v162 offset:272
	ds_read_u16 v15, v162 offset:544
	;; [unrolled: 1-line block ×8, first 2 shown]
	s_waitcnt lgkmcnt(6)
	v_perm_b32 v17, v18, v15, s7
	v_perm_b32 v16, v7, v71, s7
	v_cvt_f32_f16_sdwa v15, v74 dst_sel:DWORD dst_unused:UNUSED_PAD src0_sel:WORD_1
	s_waitcnt lgkmcnt(4)
	v_perm_b32 v69, v68, v49, s7
	v_perm_b32 v68, v47, v184, s7
	v_mfma_f32_16x16x16f16 v[12:15], v[16:17], v[182:183], v[12:15]
	v_pack_b32_f16 v7, v9, v19
	v_cvt_f32_f16_e32 v16, v76
	v_cvt_f32_f16_sdwa v17, v76 dst_sel:DWORD dst_unused:UNUSED_PAD src0_sel:WORD_1
	v_cvt_f32_f16_e32 v18, v78
	v_cvt_f32_f16_sdwa v19, v78 dst_sel:DWORD dst_unused:UNUSED_PAD src0_sel:WORD_1
	v_pack_b32_f16 v9, v11, v45
	v_pack_b32_f16 v10, v3, v10
	s_nop 3
	v_cvt_f16_f32_e32 v11, v13
	v_cvt_f16_f32_e32 v13, v14
	;; [unrolled: 1-line block ×3, first 2 shown]
	v_mfma_f32_16x16x16f16 v[14:17], v[68:69], v[182:183], v[16:19]
	v_cvt_f16_f32_e32 v3, v12
	s_waitcnt lgkmcnt(2)
	v_perm_b32 v69, v187, v53, s7
	v_perm_b32 v68, v51, v185, s7
	v_pk_mul_f16 v25, v25, v199 op_sel_hi:[0,1]
	v_pack_b32_f16 v12, v3, v11
	s_nop 0
	v_cvt_f32_f16_e32 v18, v82
	v_cvt_f32_f16_sdwa v19, v82 dst_sel:DWORD dst_unused:UNUSED_PAD src0_sel:WORD_1
	s_nop 1
	v_cvt_f16_f32_e32 v3, v14
	v_cvt_f16_f32_e32 v14, v15
	;; [unrolled: 1-line block ×4, first 2 shown]
	v_cvt_f32_f16_e32 v16, v80
	v_cvt_f32_f16_sdwa v17, v80 dst_sel:DWORD dst_unused:UNUSED_PAD src0_sel:WORD_1
	s_waitcnt lgkmcnt(0)
	v_perm_b32 v185, v188, v72, s7
	v_perm_b32 v184, v65, v186, s7
	v_mfma_f32_16x16x16f16 v[16:19], v[68:69], v[182:183], v[16:19]
	v_cvt_f32_f16_e32 v68, v84
	v_cvt_f32_f16_sdwa v69, v84 dst_sel:DWORD dst_unused:UNUSED_PAD src0_sel:WORD_1
	v_cvt_f32_f16_e32 v70, v25
	v_cvt_f32_f16_sdwa v71, v25 dst_sel:DWORD dst_unused:UNUSED_PAD src0_sel:WORD_1
	v_pack_b32_f16 v11, v13, v45
	v_pack_b32_f16 v14, v3, v14
	;; [unrolled: 1-line block ×3, first 2 shown]
	v_mfma_f32_16x16x16f16 v[68:71], v[184:185], v[182:183], v[68:71]
	s_nop 2
	v_cvt_f16_f32_e32 v3, v16
	v_cvt_f16_f32_e32 v15, v17
	ds_bpermute_b32 v25, v20, v23
	v_cvt_f16_f32_e32 v17, v18
	v_cvt_f16_f32_e32 v18, v19
	v_pack_b32_f16 v16, v3, v15
	s_cmp_eq_u64 s[72:73], 0
	s_nop 0
	v_cvt_f16_f32_e32 v3, v68
	v_cvt_f16_f32_e32 v19, v69
	v_pack_b32_f16 v15, v17, v18
	v_cvt_f16_f32_e32 v17, v70
	v_cvt_f16_f32_e32 v45, v71
	v_pack_b32_f16 v18, v3, v19
	s_waitcnt lgkmcnt(0)
	v_add_f32_e32 v3, v23, v25
	ds_bpermute_b32 v19, v21, v3
	s_cselect_b64 s[8:9], -1, 0
	s_xor_b64 s[10:11], s[0:1], -1
	v_pack_b32_f16 v17, v17, v45
	s_or_b64 s[8:9], s[10:11], s[8:9]
	s_waitcnt lgkmcnt(0)
	v_add_f32_e32 v3, v3, v19
	s_barrier
	s_and_saveexec_b64 s[10:11], s[8:9]
	s_xor_b64 s[8:9], exec, s[10:11]
	s_andn2_saveexec_b64 s[8:9], s[8:9]
	s_cbranch_execz .LBB25_219
; %bb.218:                              ;   in Loop: Header=BB25_14 Depth=1
	v_lshlrev_b32_e32 v19, 2, v62
	global_load_dword v19, v19, s[72:73]
	v_max_f32_e32 v23, v2, v2
	s_waitcnt vmcnt(0)
	v_max_f32_e32 v25, v19, v19
	v_max_f32_e32 v68, v23, v25
	v_sub_f32_e32 v2, v2, v68
	v_sub_f32_e32 v19, v19, v68
	v_mul_f32_e32 v23, 0x3fb8aa3b, v2
	v_mul_f32_e32 v25, 0x3fb8aa3b, v19
	v_fma_f32 v45, v2, s67, -v23
	v_rndne_f32_e32 v47, v23
	v_fma_f32 v49, v19, s67, -v25
	v_rndne_f32_e32 v51, v25
	v_fmac_f32_e32 v45, 0x32a5705f, v2
	v_sub_f32_e32 v23, v23, v47
	v_fmac_f32_e32 v49, 0x32a5705f, v19
	v_sub_f32_e32 v25, v25, v51
	v_add_f32_e32 v23, v23, v45
	v_cvt_i32_f32_e32 v47, v47
	v_add_f32_e32 v25, v25, v49
	v_exp_f32_e32 v23, v23
	v_cvt_i32_f32_e32 v51, v51
	v_exp_f32_e32 v25, v25
	v_cmp_ngt_f32_e32 vcc, s95, v2
	v_ldexp_f32 v23, v23, v47
	v_cndmask_b32_e32 v23, 0, v23, vcc
	v_ldexp_f32 v25, v25, v51
	v_cmp_ngt_f32_e32 vcc, s95, v19
	v_cndmask_b32_e32 v25, 0, v25, vcc
	v_cmp_nlt_f32_e32 vcc, s56, v2
	v_cndmask_b32_e32 v23, v181, v23, vcc
	v_cmp_le_f32_e32 vcc, s66, v2
	v_cndmask_b32_e32 v2, 0, v23, vcc
	v_cvt_f16_f32_e32 v23, v2
	v_cmp_nlt_f32_e32 vcc, s56, v19
	v_cndmask_b32_e32 v69, v181, v25, vcc
	v_fmac_f32_e32 v69, v3, v2
	v_pk_mul_f16 v4, v23, v4 op_sel_hi:[0,1]
	v_pk_mul_f16 v1, v23, v1 op_sel_hi:[0,1]
	;; [unrolled: 1-line block ×16, first 2 shown]
	v_pk_mov_b32 v[2:3], v[68:69], v[68:69] op_sel:[0,1]
.LBB25_219:                             ;   in Loop: Header=BB25_14 Depth=1
	s_or_b64 exec, exec, s[8:9]
	s_and_saveexec_b64 s[8:9], s[4:5]
	s_cbranch_execz .LBB25_221
; %bb.220:                              ;   in Loop: Header=BB25_14 Depth=1
	v_add_u32_e32 v19, 0, v94
	ds_write2_b32 v19, v2, v3 offset0:64 offset1:65
.LBB25_221:                             ;   in Loop: Header=BB25_14 Depth=1
	s_or_b64 exec, exec, s[8:9]
	s_waitcnt lgkmcnt(0)
	s_barrier
	s_and_saveexec_b64 s[8:9], s[2:3]
	s_xor_b64 s[8:9], exec, s[8:9]
	s_cbranch_execz .LBB25_223
; %bb.222:                              ;   in Loop: Header=BB25_14 Depth=1
	s_barrier
	s_waitcnt lgkmcnt(0)
                                        ; implicit-def: $vgpr20
                                        ; implicit-def: $vgpr21
.LBB25_223:                             ;   in Loop: Header=BB25_14 Depth=1
	s_andn2_saveexec_b64 s[8:9], s[8:9]
	s_cbranch_execz .LBB25_225
; %bb.224:                              ;   in Loop: Header=BB25_14 Depth=1
	v_add_u32_e32 v19, 0, v95
	ds_read_b64 v[2:3], v19 offset:256
	s_waitcnt lgkmcnt(0)
	s_barrier
	ds_bpermute_b32 v23, v20, v2
	v_max_f32_e32 v25, v2, v2
	s_waitcnt lgkmcnt(0)
	v_max_f32_e32 v23, v23, v23
	v_max_f32_e32 v23, v25, v23
	ds_bpermute_b32 v25, v21, v23
	s_waitcnt lgkmcnt(0)
	v_max_f32_e32 v25, v25, v25
	v_max_f32_e32 v23, v23, v25
	v_sub_f32_e32 v2, v2, v23
	v_mul_f32_e32 v23, 0x3fb8aa3b, v2
	v_fma_f32 v25, v2, s67, -v23
	v_rndne_f32_e32 v45, v23
	v_fmac_f32_e32 v25, 0x32a5705f, v2
	v_sub_f32_e32 v23, v23, v45
	v_add_f32_e32 v23, v23, v25
	v_cvt_i32_f32_e32 v45, v45
	v_exp_f32_e32 v23, v23
	v_cmp_ngt_f32_e32 vcc, s95, v2
	v_ldexp_f32 v23, v23, v45
	v_cndmask_b32_e32 v23, 0, v23, vcc
	v_cmp_nlt_f32_e32 vcc, s56, v2
	v_cndmask_b32_e32 v2, v181, v23, vcc
	v_mul_f32_e32 v23, v3, v2
	ds_bpermute_b32 v20, v20, v23
	s_waitcnt lgkmcnt(0)
	v_fmac_f32_e32 v20, v3, v2
	ds_bpermute_b32 v3, v21, v20
	s_waitcnt lgkmcnt(0)
	v_add_f32_e32 v3, v20, v3
	ds_write_b64 v19, v[2:3] offset:256
.LBB25_225:                             ;   in Loop: Header=BB25_14 Depth=1
	s_or_b64 exec, exec, s[8:9]
	ds_write2_b32 v96, v4, v1 offset1:1
	ds_write2_b32 v96, v6, v5 offset0:8 offset1:9
	ds_write2_b32 v96, v8, v7 offset0:16 offset1:17
	;; [unrolled: 1-line block ×7, first 2 shown]
	s_waitcnt lgkmcnt(0)
	s_barrier
	s_and_saveexec_b64 s[72:73], s[0:1]
	s_cbranch_execz .LBB25_12
; %bb.226:                              ;   in Loop: Header=BB25_14 Depth=1
	v_add_u32_e32 v2, s63, v169
	v_or_b32_e32 v1, s51, v66
	v_cmp_gt_i32_e32 vcc, s28, v2
	v_cmp_gt_i32_e64 s[8:9], s33, v1
	s_and_b64 s[52:53], vcc, s[8:9]
	v_mov_b32_e32 v1, 0x47
	s_and_saveexec_b64 s[10:11], s[52:53]
	s_cbranch_execz .LBB25_228
; %bb.227:                              ;   in Loop: Header=BB25_14 Depth=1
	v_add_u32_e32 v1, 0, v97
	ds_read2_b32 v[4:5], v1 offset0:64 offset1:65
	ds_read2st64_b32 v[6:7], v98 offset1:17
	ds_read2st64_b32 v[8:9], v1 offset0:18 offset1:35
	ds_read2st64_b32 v[10:11], v98 offset0:34 offset1:51
	ds_read_b32 v12, v1 offset:13312
	v_mad_u64_u32 v[2:3], s[52:53], v2, s29, v[66:67]
	s_waitcnt lgkmcnt(3)
	v_cvt_f32_f16_sdwa v15, v6 dst_sel:DWORD dst_unused:UNUSED_PAD src0_sel:WORD_1
	v_cvt_f32_f16_e32 v14, v6
	v_cvt_f32_f16_sdwa v17, v7 dst_sel:DWORD dst_unused:UNUSED_PAD src0_sel:WORD_1
	v_cvt_f32_f16_e32 v16, v7
	v_lshl_add_u32 v2, v2, 6, v22
	v_pk_fma_f32 v[14:15], v[4:5], v[14:15], 0 op_sel_hi:[0,1,0]
	s_waitcnt lgkmcnt(2)
	v_mov_b32_e32 v4, v9
	v_pk_fma_f32 v[6:7], v[8:9], v[16:17], v[14:15] op_sel_hi:[0,1,1]
	s_waitcnt lgkmcnt(1)
	v_cvt_f32_f16_sdwa v15, v10 dst_sel:DWORD dst_unused:UNUSED_PAD src0_sel:WORD_1
	v_cvt_f32_f16_e32 v14, v10
	v_cvt_f32_f16_sdwa v9, v11 dst_sel:DWORD dst_unused:UNUSED_PAD src0_sel:WORD_1
	v_cvt_f32_f16_e32 v8, v11
	v_ashrrev_i32_e32 v3, 31, v2
	v_lshlrev_b64 v[2:3], 3, v[2:3]
	v_pk_fma_f32 v[6:7], v[4:5], v[14:15], v[6:7] op_sel_hi:[0,1,1]
	v_add_co_u32_e32 v2, vcc, s87, v2
	v_mov_b32_e32 v1, s6
	s_waitcnt lgkmcnt(0)
	v_pk_fma_f32 v[6:7], v[12:13], v[8:9], v[6:7] op_sel_hi:[0,1,1]
	v_addc_co_u32_e32 v3, vcc, v1, v3, vcc
	v_div_scale_f32 v1, s[52:53], v5, v5, v7
	v_rcp_f32_e32 v4, v1
	v_fma_f32 v8, -v1, v4, 1.0
	v_fmac_f32_e32 v4, v8, v4
	v_div_scale_f32 v8, vcc, v7, v5, v7
	v_mul_f32_e32 v9, v8, v4
	v_fma_f32 v10, -v1, v9, v8
	v_fmac_f32_e32 v9, v10, v4
	v_fma_f32 v1, -v1, v9, v8
	v_div_fmas_f32 v1, v1, v4, v9
	v_div_fixup_f32 v7, v1, v5, v7
	v_div_scale_f32 v1, s[52:53], v5, v5, v6
	v_rcp_f32_e32 v4, v1
	v_fma_f32 v8, -v1, v4, 1.0
	v_fmac_f32_e32 v4, v8, v4
	v_div_scale_f32 v8, vcc, v6, v5, v6
	v_mul_f32_e32 v9, v8, v4
	v_fma_f32 v10, -v1, v9, v8
	v_fmac_f32_e32 v9, v10, v4
	v_fma_f32 v1, -v1, v9, v8
	v_div_fmas_f32 v1, v1, v4, v9
	v_div_fixup_f32 v6, v1, v5, v6
	v_mov_b32_e32 v1, 0
	global_store_dwordx2 v[2:3], v[6:7], off
.LBB25_228:                             ;   in Loop: Header=BB25_14 Depth=1
	s_or_b64 exec, exec, s[10:11]
	s_movk_i32 s10, 0x47
	v_cmp_gt_i32_e32 vcc, s10, v1
	s_mov_b64 s[10:11], -1
	s_and_saveexec_b64 s[74:75], vcc
; %bb.229:                              ;   in Loop: Header=BB25_14 Depth=1
	v_cmp_eq_u32_e32 vcc, 0, v1
	s_orn2_b64 s[10:11], vcc, exec
; %bb.230:                              ;   in Loop: Header=BB25_14 Depth=1
	s_or_b64 exec, exec, s[74:75]
	s_and_b64 exec, exec, s[10:11]
	s_cbranch_execz .LBB25_12
; %bb.231:                              ;   in Loop: Header=BB25_14 Depth=1
	v_add_u32_e32 v2, s63, v170
	v_or_b32_e32 v1, s51, v44
	v_cmp_gt_i32_e32 vcc, s28, v2
	v_cmp_gt_i32_e64 s[10:11], s33, v1
	s_and_b64 s[52:53], vcc, s[10:11]
	v_mov_b32_e32 v1, 0x47
	s_and_saveexec_b64 s[10:11], s[52:53]
	s_cbranch_execz .LBB25_233
; %bb.232:                              ;   in Loop: Header=BB25_14 Depth=1
	v_add_u32_e32 v1, 0, v99
	ds_read2_b32 v[4:5], v1 offset0:64 offset1:65
	ds_read2st64_b32 v[6:7], v100 offset1:17
	ds_read2st64_b32 v[8:9], v1 offset0:18 offset1:35
	ds_read2st64_b32 v[10:11], v100 offset0:34 offset1:51
	ds_read_b32 v12, v1 offset:13312
	v_mad_u64_u32 v[2:3], s[52:53], v2, s29, v[44:45]
	s_waitcnt lgkmcnt(3)
	v_cvt_f32_f16_sdwa v15, v6 dst_sel:DWORD dst_unused:UNUSED_PAD src0_sel:WORD_1
	v_cvt_f32_f16_e32 v14, v6
	v_cvt_f32_f16_sdwa v17, v7 dst_sel:DWORD dst_unused:UNUSED_PAD src0_sel:WORD_1
	v_cvt_f32_f16_e32 v16, v7
	v_lshl_add_u32 v2, v2, 6, v22
	v_pk_fma_f32 v[14:15], v[4:5], v[14:15], 0 op_sel_hi:[0,1,0]
	s_waitcnt lgkmcnt(2)
	v_mov_b32_e32 v4, v9
	v_pk_fma_f32 v[6:7], v[8:9], v[16:17], v[14:15] op_sel_hi:[0,1,1]
	s_waitcnt lgkmcnt(1)
	v_cvt_f32_f16_sdwa v15, v10 dst_sel:DWORD dst_unused:UNUSED_PAD src0_sel:WORD_1
	v_cvt_f32_f16_e32 v14, v10
	v_cvt_f32_f16_sdwa v9, v11 dst_sel:DWORD dst_unused:UNUSED_PAD src0_sel:WORD_1
	v_cvt_f32_f16_e32 v8, v11
	v_ashrrev_i32_e32 v3, 31, v2
	v_lshlrev_b64 v[2:3], 3, v[2:3]
	v_pk_fma_f32 v[6:7], v[4:5], v[14:15], v[6:7] op_sel_hi:[0,1,1]
	v_add_co_u32_e32 v2, vcc, s87, v2
	v_mov_b32_e32 v1, s6
	s_waitcnt lgkmcnt(0)
	v_pk_fma_f32 v[6:7], v[12:13], v[8:9], v[6:7] op_sel_hi:[0,1,1]
	v_addc_co_u32_e32 v3, vcc, v1, v3, vcc
	v_div_scale_f32 v1, s[52:53], v5, v5, v7
	v_rcp_f32_e32 v4, v1
	v_fma_f32 v8, -v1, v4, 1.0
	v_fmac_f32_e32 v4, v8, v4
	v_div_scale_f32 v8, vcc, v7, v5, v7
	v_mul_f32_e32 v9, v8, v4
	v_fma_f32 v10, -v1, v9, v8
	v_fmac_f32_e32 v9, v10, v4
	v_fma_f32 v1, -v1, v9, v8
	v_div_fmas_f32 v1, v1, v4, v9
	v_div_fixup_f32 v7, v1, v5, v7
	v_div_scale_f32 v1, s[52:53], v5, v5, v6
	v_rcp_f32_e32 v4, v1
	v_fma_f32 v8, -v1, v4, 1.0
	v_fmac_f32_e32 v4, v8, v4
	v_div_scale_f32 v8, vcc, v6, v5, v6
	v_mul_f32_e32 v9, v8, v4
	v_fma_f32 v10, -v1, v9, v8
	v_fmac_f32_e32 v9, v10, v4
	v_fma_f32 v1, -v1, v9, v8
	v_div_fmas_f32 v1, v1, v4, v9
	v_div_fixup_f32 v6, v1, v5, v6
	v_mov_b32_e32 v1, 0
	global_store_dwordx2 v[2:3], v[6:7], off
.LBB25_233:                             ;   in Loop: Header=BB25_14 Depth=1
	s_or_b64 exec, exec, s[10:11]
	s_movk_i32 s10, 0x47
	v_cmp_gt_i32_e32 vcc, s10, v1
	s_mov_b64 s[10:11], -1
	s_and_saveexec_b64 s[74:75], vcc
; %bb.234:                              ;   in Loop: Header=BB25_14 Depth=1
	v_cmp_eq_u32_e32 vcc, 0, v1
	s_orn2_b64 s[10:11], vcc, exec
; %bb.235:                              ;   in Loop: Header=BB25_14 Depth=1
	s_or_b64 exec, exec, s[74:75]
	s_and_b64 exec, exec, s[10:11]
	s_cbranch_execz .LBB25_12
; %bb.236:                              ;   in Loop: Header=BB25_14 Depth=1
	v_add_u32_e32 v2, s63, v101
	v_cmp_gt_i32_e32 vcc, s28, v2
	s_and_b64 s[52:53], vcc, s[8:9]
	v_mov_b32_e32 v1, 0x47
	s_and_saveexec_b64 s[10:11], s[52:53]
	s_cbranch_execz .LBB25_238
; %bb.237:                              ;   in Loop: Header=BB25_14 Depth=1
	v_add_u32_e32 v1, 0, v102
	ds_read2_b32 v[4:5], v1 offset0:64 offset1:65
	ds_read2st64_b32 v[6:7], v103 offset1:17
	ds_read2st64_b32 v[8:9], v1 offset0:18 offset1:35
	ds_read2st64_b32 v[10:11], v103 offset0:34 offset1:51
	ds_read_b32 v12, v1 offset:13312
	v_mad_u64_u32 v[2:3], s[52:53], v2, s29, v[66:67]
	s_waitcnt lgkmcnt(3)
	v_cvt_f32_f16_sdwa v15, v6 dst_sel:DWORD dst_unused:UNUSED_PAD src0_sel:WORD_1
	v_cvt_f32_f16_e32 v14, v6
	v_cvt_f32_f16_sdwa v17, v7 dst_sel:DWORD dst_unused:UNUSED_PAD src0_sel:WORD_1
	v_cvt_f32_f16_e32 v16, v7
	v_lshl_add_u32 v2, v2, 6, v22
	v_pk_fma_f32 v[14:15], v[4:5], v[14:15], 0 op_sel_hi:[0,1,0]
	s_waitcnt lgkmcnt(2)
	v_mov_b32_e32 v4, v9
	v_pk_fma_f32 v[6:7], v[8:9], v[16:17], v[14:15] op_sel_hi:[0,1,1]
	s_waitcnt lgkmcnt(1)
	v_cvt_f32_f16_sdwa v15, v10 dst_sel:DWORD dst_unused:UNUSED_PAD src0_sel:WORD_1
	v_cvt_f32_f16_e32 v14, v10
	v_cvt_f32_f16_sdwa v9, v11 dst_sel:DWORD dst_unused:UNUSED_PAD src0_sel:WORD_1
	v_cvt_f32_f16_e32 v8, v11
	v_ashrrev_i32_e32 v3, 31, v2
	v_lshlrev_b64 v[2:3], 3, v[2:3]
	v_pk_fma_f32 v[6:7], v[4:5], v[14:15], v[6:7] op_sel_hi:[0,1,1]
	v_add_co_u32_e32 v2, vcc, s87, v2
	v_mov_b32_e32 v1, s6
	s_waitcnt lgkmcnt(0)
	v_pk_fma_f32 v[6:7], v[12:13], v[8:9], v[6:7] op_sel_hi:[0,1,1]
	v_addc_co_u32_e32 v3, vcc, v1, v3, vcc
	v_div_scale_f32 v1, s[52:53], v5, v5, v7
	v_rcp_f32_e32 v4, v1
	v_fma_f32 v8, -v1, v4, 1.0
	v_fmac_f32_e32 v4, v8, v4
	v_div_scale_f32 v8, vcc, v7, v5, v7
	v_mul_f32_e32 v9, v8, v4
	v_fma_f32 v10, -v1, v9, v8
	v_fmac_f32_e32 v9, v10, v4
	v_fma_f32 v1, -v1, v9, v8
	v_div_fmas_f32 v1, v1, v4, v9
	v_div_fixup_f32 v7, v1, v5, v7
	v_div_scale_f32 v1, s[52:53], v5, v5, v6
	v_rcp_f32_e32 v4, v1
	v_fma_f32 v8, -v1, v4, 1.0
	v_fmac_f32_e32 v4, v8, v4
	v_div_scale_f32 v8, vcc, v6, v5, v6
	v_mul_f32_e32 v9, v8, v4
	v_fma_f32 v10, -v1, v9, v8
	v_fmac_f32_e32 v9, v10, v4
	v_fma_f32 v1, -v1, v9, v8
	v_div_fmas_f32 v1, v1, v4, v9
	v_div_fixup_f32 v6, v1, v5, v6
	v_mov_b32_e32 v1, 0
	global_store_dwordx2 v[2:3], v[6:7], off
.LBB25_238:                             ;   in Loop: Header=BB25_14 Depth=1
	s_or_b64 exec, exec, s[10:11]
	s_movk_i32 s10, 0x47
	v_cmp_gt_i32_e32 vcc, s10, v1
	s_mov_b64 s[10:11], -1
	s_and_saveexec_b64 s[74:75], vcc
; %bb.239:                              ;   in Loop: Header=BB25_14 Depth=1
	v_cmp_eq_u32_e32 vcc, 0, v1
	s_orn2_b64 s[10:11], vcc, exec
; %bb.240:                              ;   in Loop: Header=BB25_14 Depth=1
	s_or_b64 exec, exec, s[74:75]
	s_and_b64 exec, exec, s[10:11]
	s_cbranch_execz .LBB25_12
; %bb.241:                              ;   in Loop: Header=BB25_14 Depth=1
	v_add_u32_e32 v2, s63, v171
	v_or_b32_e32 v1, s51, v46
	v_cmp_gt_i32_e32 vcc, s28, v2
	v_cmp_gt_i32_e64 s[10:11], s33, v1
	s_and_b64 s[52:53], vcc, s[10:11]
	v_mov_b32_e32 v1, 0x47
	s_and_saveexec_b64 s[10:11], s[52:53]
	s_cbranch_execz .LBB25_243
; %bb.242:                              ;   in Loop: Header=BB25_14 Depth=1
	v_add_u32_e32 v1, 0, v104
	ds_read2_b32 v[4:5], v1 offset0:64 offset1:65
	ds_read2st64_b32 v[6:7], v105 offset1:17
	ds_read2st64_b32 v[8:9], v1 offset0:18 offset1:35
	ds_read2st64_b32 v[10:11], v105 offset0:34 offset1:51
	ds_read_b32 v12, v1 offset:13312
	v_mad_u64_u32 v[2:3], s[52:53], v2, s29, v[46:47]
	s_waitcnt lgkmcnt(3)
	v_cvt_f32_f16_sdwa v15, v6 dst_sel:DWORD dst_unused:UNUSED_PAD src0_sel:WORD_1
	v_cvt_f32_f16_e32 v14, v6
	v_cvt_f32_f16_sdwa v17, v7 dst_sel:DWORD dst_unused:UNUSED_PAD src0_sel:WORD_1
	v_cvt_f32_f16_e32 v16, v7
	v_lshl_add_u32 v2, v2, 6, v22
	v_pk_fma_f32 v[14:15], v[4:5], v[14:15], 0 op_sel_hi:[0,1,0]
	s_waitcnt lgkmcnt(2)
	v_mov_b32_e32 v4, v9
	v_pk_fma_f32 v[6:7], v[8:9], v[16:17], v[14:15] op_sel_hi:[0,1,1]
	s_waitcnt lgkmcnt(1)
	v_cvt_f32_f16_sdwa v15, v10 dst_sel:DWORD dst_unused:UNUSED_PAD src0_sel:WORD_1
	v_cvt_f32_f16_e32 v14, v10
	v_cvt_f32_f16_sdwa v9, v11 dst_sel:DWORD dst_unused:UNUSED_PAD src0_sel:WORD_1
	v_cvt_f32_f16_e32 v8, v11
	v_ashrrev_i32_e32 v3, 31, v2
	v_lshlrev_b64 v[2:3], 3, v[2:3]
	v_pk_fma_f32 v[6:7], v[4:5], v[14:15], v[6:7] op_sel_hi:[0,1,1]
	v_add_co_u32_e32 v2, vcc, s87, v2
	v_mov_b32_e32 v1, s6
	s_waitcnt lgkmcnt(0)
	v_pk_fma_f32 v[6:7], v[12:13], v[8:9], v[6:7] op_sel_hi:[0,1,1]
	v_addc_co_u32_e32 v3, vcc, v1, v3, vcc
	v_div_scale_f32 v1, s[52:53], v5, v5, v7
	v_rcp_f32_e32 v4, v1
	v_fma_f32 v8, -v1, v4, 1.0
	v_fmac_f32_e32 v4, v8, v4
	v_div_scale_f32 v8, vcc, v7, v5, v7
	v_mul_f32_e32 v9, v8, v4
	v_fma_f32 v10, -v1, v9, v8
	v_fmac_f32_e32 v9, v10, v4
	v_fma_f32 v1, -v1, v9, v8
	v_div_fmas_f32 v1, v1, v4, v9
	v_div_fixup_f32 v7, v1, v5, v7
	v_div_scale_f32 v1, s[52:53], v5, v5, v6
	v_rcp_f32_e32 v4, v1
	v_fma_f32 v8, -v1, v4, 1.0
	v_fmac_f32_e32 v4, v8, v4
	v_div_scale_f32 v8, vcc, v6, v5, v6
	v_mul_f32_e32 v9, v8, v4
	v_fma_f32 v10, -v1, v9, v8
	v_fmac_f32_e32 v9, v10, v4
	v_fma_f32 v1, -v1, v9, v8
	v_div_fmas_f32 v1, v1, v4, v9
	v_div_fixup_f32 v6, v1, v5, v6
	v_mov_b32_e32 v1, 0
	global_store_dwordx2 v[2:3], v[6:7], off
.LBB25_243:                             ;   in Loop: Header=BB25_14 Depth=1
	s_or_b64 exec, exec, s[10:11]
	s_movk_i32 s10, 0x47
	v_cmp_gt_i32_e32 vcc, s10, v1
	s_mov_b64 s[10:11], -1
	s_and_saveexec_b64 s[74:75], vcc
; %bb.244:                              ;   in Loop: Header=BB25_14 Depth=1
	v_cmp_eq_u32_e32 vcc, 0, v1
	s_orn2_b64 s[10:11], vcc, exec
; %bb.245:                              ;   in Loop: Header=BB25_14 Depth=1
	s_or_b64 exec, exec, s[74:75]
	s_and_b64 exec, exec, s[10:11]
	s_cbranch_execz .LBB25_12
; %bb.246:                              ;   in Loop: Header=BB25_14 Depth=1
	v_add_u32_e32 v2, s63, v106
	v_cmp_gt_i32_e32 vcc, s28, v2
	s_and_b64 s[52:53], vcc, s[8:9]
	v_mov_b32_e32 v1, 0x47
	s_and_saveexec_b64 s[10:11], s[52:53]
	s_cbranch_execz .LBB25_248
; %bb.247:                              ;   in Loop: Header=BB25_14 Depth=1
	v_add_u32_e32 v1, 0, v107
	ds_read2_b32 v[4:5], v1 offset0:64 offset1:65
	ds_read2st64_b32 v[6:7], v108 offset1:17
	ds_read2st64_b32 v[8:9], v1 offset0:18 offset1:35
	ds_read2st64_b32 v[10:11], v108 offset0:34 offset1:51
	ds_read_b32 v12, v1 offset:13312
	v_mad_u64_u32 v[2:3], s[52:53], v2, s29, v[66:67]
	s_waitcnt lgkmcnt(3)
	v_cvt_f32_f16_sdwa v15, v6 dst_sel:DWORD dst_unused:UNUSED_PAD src0_sel:WORD_1
	v_cvt_f32_f16_e32 v14, v6
	v_cvt_f32_f16_sdwa v17, v7 dst_sel:DWORD dst_unused:UNUSED_PAD src0_sel:WORD_1
	v_cvt_f32_f16_e32 v16, v7
	v_lshl_add_u32 v2, v2, 6, v22
	v_pk_fma_f32 v[14:15], v[4:5], v[14:15], 0 op_sel_hi:[0,1,0]
	s_waitcnt lgkmcnt(2)
	v_mov_b32_e32 v4, v9
	v_pk_fma_f32 v[6:7], v[8:9], v[16:17], v[14:15] op_sel_hi:[0,1,1]
	s_waitcnt lgkmcnt(1)
	v_cvt_f32_f16_sdwa v15, v10 dst_sel:DWORD dst_unused:UNUSED_PAD src0_sel:WORD_1
	v_cvt_f32_f16_e32 v14, v10
	v_cvt_f32_f16_sdwa v9, v11 dst_sel:DWORD dst_unused:UNUSED_PAD src0_sel:WORD_1
	v_cvt_f32_f16_e32 v8, v11
	v_ashrrev_i32_e32 v3, 31, v2
	v_lshlrev_b64 v[2:3], 3, v[2:3]
	v_pk_fma_f32 v[6:7], v[4:5], v[14:15], v[6:7] op_sel_hi:[0,1,1]
	v_add_co_u32_e32 v2, vcc, s87, v2
	v_mov_b32_e32 v1, s6
	s_waitcnt lgkmcnt(0)
	v_pk_fma_f32 v[6:7], v[12:13], v[8:9], v[6:7] op_sel_hi:[0,1,1]
	v_addc_co_u32_e32 v3, vcc, v1, v3, vcc
	v_div_scale_f32 v1, s[52:53], v5, v5, v7
	v_rcp_f32_e32 v4, v1
	v_fma_f32 v8, -v1, v4, 1.0
	v_fmac_f32_e32 v4, v8, v4
	v_div_scale_f32 v8, vcc, v7, v5, v7
	v_mul_f32_e32 v9, v8, v4
	v_fma_f32 v10, -v1, v9, v8
	v_fmac_f32_e32 v9, v10, v4
	v_fma_f32 v1, -v1, v9, v8
	v_div_fmas_f32 v1, v1, v4, v9
	v_div_fixup_f32 v7, v1, v5, v7
	v_div_scale_f32 v1, s[52:53], v5, v5, v6
	v_rcp_f32_e32 v4, v1
	v_fma_f32 v8, -v1, v4, 1.0
	v_fmac_f32_e32 v4, v8, v4
	v_div_scale_f32 v8, vcc, v6, v5, v6
	v_mul_f32_e32 v9, v8, v4
	v_fma_f32 v10, -v1, v9, v8
	v_fmac_f32_e32 v9, v10, v4
	v_fma_f32 v1, -v1, v9, v8
	v_div_fmas_f32 v1, v1, v4, v9
	v_div_fixup_f32 v6, v1, v5, v6
	v_mov_b32_e32 v1, 0
	global_store_dwordx2 v[2:3], v[6:7], off
.LBB25_248:                             ;   in Loop: Header=BB25_14 Depth=1
	s_or_b64 exec, exec, s[10:11]
	s_movk_i32 s10, 0x47
	v_cmp_gt_i32_e32 vcc, s10, v1
	s_mov_b64 s[10:11], -1
	s_and_saveexec_b64 s[74:75], vcc
; %bb.249:                              ;   in Loop: Header=BB25_14 Depth=1
	v_cmp_eq_u32_e32 vcc, 0, v1
	s_orn2_b64 s[10:11], vcc, exec
; %bb.250:                              ;   in Loop: Header=BB25_14 Depth=1
	s_or_b64 exec, exec, s[74:75]
	s_and_b64 exec, exec, s[10:11]
	s_cbranch_execz .LBB25_12
; %bb.251:                              ;   in Loop: Header=BB25_14 Depth=1
	v_add_u32_e32 v2, s63, v172
	v_or_b32_e32 v1, s51, v48
	v_cmp_gt_i32_e32 vcc, s28, v2
	v_cmp_gt_i32_e64 s[10:11], s33, v1
	s_and_b64 s[52:53], vcc, s[10:11]
	v_mov_b32_e32 v1, 0x47
	s_and_saveexec_b64 s[10:11], s[52:53]
	s_cbranch_execz .LBB25_253
; %bb.252:                              ;   in Loop: Header=BB25_14 Depth=1
	v_add_u32_e32 v1, 0, v109
	ds_read2_b32 v[4:5], v1 offset0:64 offset1:65
	ds_read2st64_b32 v[6:7], v110 offset1:17
	ds_read2st64_b32 v[8:9], v1 offset0:18 offset1:35
	ds_read2st64_b32 v[10:11], v110 offset0:34 offset1:51
	ds_read_b32 v12, v1 offset:13312
	v_mad_u64_u32 v[2:3], s[52:53], v2, s29, v[48:49]
	s_waitcnt lgkmcnt(3)
	v_cvt_f32_f16_sdwa v15, v6 dst_sel:DWORD dst_unused:UNUSED_PAD src0_sel:WORD_1
	v_cvt_f32_f16_e32 v14, v6
	v_cvt_f32_f16_sdwa v17, v7 dst_sel:DWORD dst_unused:UNUSED_PAD src0_sel:WORD_1
	v_cvt_f32_f16_e32 v16, v7
	v_lshl_add_u32 v2, v2, 6, v22
	v_pk_fma_f32 v[14:15], v[4:5], v[14:15], 0 op_sel_hi:[0,1,0]
	s_waitcnt lgkmcnt(2)
	v_mov_b32_e32 v4, v9
	v_pk_fma_f32 v[6:7], v[8:9], v[16:17], v[14:15] op_sel_hi:[0,1,1]
	s_waitcnt lgkmcnt(1)
	v_cvt_f32_f16_sdwa v15, v10 dst_sel:DWORD dst_unused:UNUSED_PAD src0_sel:WORD_1
	v_cvt_f32_f16_e32 v14, v10
	v_cvt_f32_f16_sdwa v9, v11 dst_sel:DWORD dst_unused:UNUSED_PAD src0_sel:WORD_1
	v_cvt_f32_f16_e32 v8, v11
	v_ashrrev_i32_e32 v3, 31, v2
	v_lshlrev_b64 v[2:3], 3, v[2:3]
	v_pk_fma_f32 v[6:7], v[4:5], v[14:15], v[6:7] op_sel_hi:[0,1,1]
	v_add_co_u32_e32 v2, vcc, s87, v2
	v_mov_b32_e32 v1, s6
	s_waitcnt lgkmcnt(0)
	v_pk_fma_f32 v[6:7], v[12:13], v[8:9], v[6:7] op_sel_hi:[0,1,1]
	v_addc_co_u32_e32 v3, vcc, v1, v3, vcc
	v_div_scale_f32 v1, s[52:53], v5, v5, v7
	v_rcp_f32_e32 v4, v1
	v_fma_f32 v8, -v1, v4, 1.0
	v_fmac_f32_e32 v4, v8, v4
	v_div_scale_f32 v8, vcc, v7, v5, v7
	v_mul_f32_e32 v9, v8, v4
	v_fma_f32 v10, -v1, v9, v8
	v_fmac_f32_e32 v9, v10, v4
	v_fma_f32 v1, -v1, v9, v8
	v_div_fmas_f32 v1, v1, v4, v9
	v_div_fixup_f32 v7, v1, v5, v7
	v_div_scale_f32 v1, s[52:53], v5, v5, v6
	v_rcp_f32_e32 v4, v1
	v_fma_f32 v8, -v1, v4, 1.0
	v_fmac_f32_e32 v4, v8, v4
	v_div_scale_f32 v8, vcc, v6, v5, v6
	v_mul_f32_e32 v9, v8, v4
	v_fma_f32 v10, -v1, v9, v8
	v_fmac_f32_e32 v9, v10, v4
	v_fma_f32 v1, -v1, v9, v8
	v_div_fmas_f32 v1, v1, v4, v9
	v_div_fixup_f32 v6, v1, v5, v6
	v_mov_b32_e32 v1, 0
	global_store_dwordx2 v[2:3], v[6:7], off
.LBB25_253:                             ;   in Loop: Header=BB25_14 Depth=1
	s_or_b64 exec, exec, s[10:11]
	s_movk_i32 s10, 0x47
	v_cmp_gt_i32_e32 vcc, s10, v1
	s_mov_b64 s[10:11], -1
	s_and_saveexec_b64 s[74:75], vcc
; %bb.254:                              ;   in Loop: Header=BB25_14 Depth=1
	v_cmp_eq_u32_e32 vcc, 0, v1
	s_orn2_b64 s[10:11], vcc, exec
; %bb.255:                              ;   in Loop: Header=BB25_14 Depth=1
	s_or_b64 exec, exec, s[74:75]
	s_and_b64 exec, exec, s[10:11]
	s_cbranch_execz .LBB25_12
; %bb.256:                              ;   in Loop: Header=BB25_14 Depth=1
	v_add_u32_e32 v2, s63, v111
	v_cmp_gt_i32_e32 vcc, s28, v2
	s_and_b64 s[52:53], vcc, s[8:9]
	v_mov_b32_e32 v1, 0x47
	s_and_saveexec_b64 s[10:11], s[52:53]
	s_cbranch_execz .LBB25_258
; %bb.257:                              ;   in Loop: Header=BB25_14 Depth=1
	v_add_u32_e32 v1, 0, v112
	ds_read2_b32 v[4:5], v1 offset0:64 offset1:65
	ds_read2st64_b32 v[6:7], v113 offset1:17
	ds_read2st64_b32 v[8:9], v1 offset0:18 offset1:35
	ds_read2st64_b32 v[10:11], v113 offset0:34 offset1:51
	ds_read_b32 v12, v1 offset:13312
	v_mad_u64_u32 v[2:3], s[52:53], v2, s29, v[66:67]
	s_waitcnt lgkmcnt(3)
	v_cvt_f32_f16_sdwa v15, v6 dst_sel:DWORD dst_unused:UNUSED_PAD src0_sel:WORD_1
	v_cvt_f32_f16_e32 v14, v6
	v_cvt_f32_f16_sdwa v17, v7 dst_sel:DWORD dst_unused:UNUSED_PAD src0_sel:WORD_1
	v_cvt_f32_f16_e32 v16, v7
	v_lshl_add_u32 v2, v2, 6, v22
	v_pk_fma_f32 v[14:15], v[4:5], v[14:15], 0 op_sel_hi:[0,1,0]
	s_waitcnt lgkmcnt(2)
	v_mov_b32_e32 v4, v9
	v_pk_fma_f32 v[6:7], v[8:9], v[16:17], v[14:15] op_sel_hi:[0,1,1]
	s_waitcnt lgkmcnt(1)
	v_cvt_f32_f16_sdwa v15, v10 dst_sel:DWORD dst_unused:UNUSED_PAD src0_sel:WORD_1
	v_cvt_f32_f16_e32 v14, v10
	v_cvt_f32_f16_sdwa v9, v11 dst_sel:DWORD dst_unused:UNUSED_PAD src0_sel:WORD_1
	v_cvt_f32_f16_e32 v8, v11
	v_ashrrev_i32_e32 v3, 31, v2
	v_lshlrev_b64 v[2:3], 3, v[2:3]
	v_pk_fma_f32 v[6:7], v[4:5], v[14:15], v[6:7] op_sel_hi:[0,1,1]
	v_add_co_u32_e32 v2, vcc, s87, v2
	v_mov_b32_e32 v1, s6
	s_waitcnt lgkmcnt(0)
	v_pk_fma_f32 v[6:7], v[12:13], v[8:9], v[6:7] op_sel_hi:[0,1,1]
	v_addc_co_u32_e32 v3, vcc, v1, v3, vcc
	v_div_scale_f32 v1, s[52:53], v5, v5, v7
	v_rcp_f32_e32 v4, v1
	v_fma_f32 v8, -v1, v4, 1.0
	v_fmac_f32_e32 v4, v8, v4
	v_div_scale_f32 v8, vcc, v7, v5, v7
	v_mul_f32_e32 v9, v8, v4
	v_fma_f32 v10, -v1, v9, v8
	v_fmac_f32_e32 v9, v10, v4
	v_fma_f32 v1, -v1, v9, v8
	v_div_fmas_f32 v1, v1, v4, v9
	v_div_fixup_f32 v7, v1, v5, v7
	v_div_scale_f32 v1, s[52:53], v5, v5, v6
	v_rcp_f32_e32 v4, v1
	v_fma_f32 v8, -v1, v4, 1.0
	v_fmac_f32_e32 v4, v8, v4
	v_div_scale_f32 v8, vcc, v6, v5, v6
	v_mul_f32_e32 v9, v8, v4
	v_fma_f32 v10, -v1, v9, v8
	v_fmac_f32_e32 v9, v10, v4
	v_fma_f32 v1, -v1, v9, v8
	v_div_fmas_f32 v1, v1, v4, v9
	v_div_fixup_f32 v6, v1, v5, v6
	v_mov_b32_e32 v1, 0
	global_store_dwordx2 v[2:3], v[6:7], off
.LBB25_258:                             ;   in Loop: Header=BB25_14 Depth=1
	s_or_b64 exec, exec, s[10:11]
	s_movk_i32 s10, 0x47
	v_cmp_gt_i32_e32 vcc, s10, v1
	s_mov_b64 s[10:11], -1
	s_and_saveexec_b64 s[74:75], vcc
; %bb.259:                              ;   in Loop: Header=BB25_14 Depth=1
	v_cmp_eq_u32_e32 vcc, 0, v1
	s_orn2_b64 s[10:11], vcc, exec
; %bb.260:                              ;   in Loop: Header=BB25_14 Depth=1
	s_or_b64 exec, exec, s[74:75]
	s_and_b64 exec, exec, s[10:11]
	s_cbranch_execz .LBB25_12
; %bb.261:                              ;   in Loop: Header=BB25_14 Depth=1
	v_add_u32_e32 v2, s63, v173
	v_or_b32_e32 v1, s51, v50
	v_cmp_gt_i32_e32 vcc, s28, v2
	v_cmp_gt_i32_e64 s[10:11], s33, v1
	s_and_b64 s[52:53], vcc, s[10:11]
	v_mov_b32_e32 v1, 0x47
	s_and_saveexec_b64 s[10:11], s[52:53]
	s_cbranch_execz .LBB25_263
; %bb.262:                              ;   in Loop: Header=BB25_14 Depth=1
	v_add_u32_e32 v1, 0, v114
	ds_read2_b32 v[4:5], v1 offset0:64 offset1:65
	ds_read2st64_b32 v[6:7], v115 offset1:17
	ds_read2st64_b32 v[8:9], v1 offset0:18 offset1:35
	ds_read2st64_b32 v[10:11], v115 offset0:34 offset1:51
	ds_read_b32 v12, v1 offset:13312
	v_mad_u64_u32 v[2:3], s[52:53], v2, s29, v[50:51]
	s_waitcnt lgkmcnt(3)
	v_cvt_f32_f16_sdwa v15, v6 dst_sel:DWORD dst_unused:UNUSED_PAD src0_sel:WORD_1
	v_cvt_f32_f16_e32 v14, v6
	v_cvt_f32_f16_sdwa v17, v7 dst_sel:DWORD dst_unused:UNUSED_PAD src0_sel:WORD_1
	v_cvt_f32_f16_e32 v16, v7
	v_lshl_add_u32 v2, v2, 6, v22
	v_pk_fma_f32 v[14:15], v[4:5], v[14:15], 0 op_sel_hi:[0,1,0]
	s_waitcnt lgkmcnt(2)
	v_mov_b32_e32 v4, v9
	v_pk_fma_f32 v[6:7], v[8:9], v[16:17], v[14:15] op_sel_hi:[0,1,1]
	s_waitcnt lgkmcnt(1)
	v_cvt_f32_f16_sdwa v15, v10 dst_sel:DWORD dst_unused:UNUSED_PAD src0_sel:WORD_1
	v_cvt_f32_f16_e32 v14, v10
	v_cvt_f32_f16_sdwa v9, v11 dst_sel:DWORD dst_unused:UNUSED_PAD src0_sel:WORD_1
	v_cvt_f32_f16_e32 v8, v11
	v_ashrrev_i32_e32 v3, 31, v2
	v_lshlrev_b64 v[2:3], 3, v[2:3]
	v_pk_fma_f32 v[6:7], v[4:5], v[14:15], v[6:7] op_sel_hi:[0,1,1]
	v_add_co_u32_e32 v2, vcc, s87, v2
	v_mov_b32_e32 v1, s6
	s_waitcnt lgkmcnt(0)
	v_pk_fma_f32 v[6:7], v[12:13], v[8:9], v[6:7] op_sel_hi:[0,1,1]
	v_addc_co_u32_e32 v3, vcc, v1, v3, vcc
	v_div_scale_f32 v1, s[52:53], v5, v5, v7
	v_rcp_f32_e32 v4, v1
	v_fma_f32 v8, -v1, v4, 1.0
	v_fmac_f32_e32 v4, v8, v4
	v_div_scale_f32 v8, vcc, v7, v5, v7
	v_mul_f32_e32 v9, v8, v4
	v_fma_f32 v10, -v1, v9, v8
	v_fmac_f32_e32 v9, v10, v4
	v_fma_f32 v1, -v1, v9, v8
	v_div_fmas_f32 v1, v1, v4, v9
	v_div_fixup_f32 v7, v1, v5, v7
	v_div_scale_f32 v1, s[52:53], v5, v5, v6
	v_rcp_f32_e32 v4, v1
	v_fma_f32 v8, -v1, v4, 1.0
	v_fmac_f32_e32 v4, v8, v4
	v_div_scale_f32 v8, vcc, v6, v5, v6
	v_mul_f32_e32 v9, v8, v4
	v_fma_f32 v10, -v1, v9, v8
	v_fmac_f32_e32 v9, v10, v4
	v_fma_f32 v1, -v1, v9, v8
	v_div_fmas_f32 v1, v1, v4, v9
	v_div_fixup_f32 v6, v1, v5, v6
	v_mov_b32_e32 v1, 0
	global_store_dwordx2 v[2:3], v[6:7], off
.LBB25_263:                             ;   in Loop: Header=BB25_14 Depth=1
	s_or_b64 exec, exec, s[10:11]
	s_movk_i32 s10, 0x47
	v_cmp_gt_i32_e32 vcc, s10, v1
	s_mov_b64 s[10:11], -1
	s_and_saveexec_b64 s[74:75], vcc
; %bb.264:                              ;   in Loop: Header=BB25_14 Depth=1
	v_cmp_eq_u32_e32 vcc, 0, v1
	s_orn2_b64 s[10:11], vcc, exec
; %bb.265:                              ;   in Loop: Header=BB25_14 Depth=1
	s_or_b64 exec, exec, s[74:75]
	s_and_b64 exec, exec, s[10:11]
	s_cbranch_execz .LBB25_12
; %bb.266:                              ;   in Loop: Header=BB25_14 Depth=1
	v_add_u32_e32 v2, s63, v116
	v_cmp_gt_i32_e32 vcc, s28, v2
	s_and_b64 s[52:53], vcc, s[8:9]
	v_mov_b32_e32 v1, 0x47
	s_and_saveexec_b64 s[10:11], s[52:53]
	s_cbranch_execz .LBB25_268
; %bb.267:                              ;   in Loop: Header=BB25_14 Depth=1
	v_add_u32_e32 v1, 0, v117
	ds_read2_b32 v[4:5], v1 offset0:64 offset1:65
	ds_read2st64_b32 v[6:7], v118 offset1:17
	ds_read2st64_b32 v[8:9], v1 offset0:18 offset1:35
	ds_read2st64_b32 v[10:11], v118 offset0:34 offset1:51
	ds_read_b32 v12, v1 offset:13312
	v_mad_u64_u32 v[2:3], s[52:53], v2, s29, v[66:67]
	s_waitcnt lgkmcnt(3)
	v_cvt_f32_f16_sdwa v15, v6 dst_sel:DWORD dst_unused:UNUSED_PAD src0_sel:WORD_1
	v_cvt_f32_f16_e32 v14, v6
	v_cvt_f32_f16_sdwa v17, v7 dst_sel:DWORD dst_unused:UNUSED_PAD src0_sel:WORD_1
	v_cvt_f32_f16_e32 v16, v7
	v_lshl_add_u32 v2, v2, 6, v22
	v_pk_fma_f32 v[14:15], v[4:5], v[14:15], 0 op_sel_hi:[0,1,0]
	s_waitcnt lgkmcnt(2)
	v_mov_b32_e32 v4, v9
	v_pk_fma_f32 v[6:7], v[8:9], v[16:17], v[14:15] op_sel_hi:[0,1,1]
	s_waitcnt lgkmcnt(1)
	v_cvt_f32_f16_sdwa v15, v10 dst_sel:DWORD dst_unused:UNUSED_PAD src0_sel:WORD_1
	v_cvt_f32_f16_e32 v14, v10
	v_cvt_f32_f16_sdwa v9, v11 dst_sel:DWORD dst_unused:UNUSED_PAD src0_sel:WORD_1
	v_cvt_f32_f16_e32 v8, v11
	v_ashrrev_i32_e32 v3, 31, v2
	v_lshlrev_b64 v[2:3], 3, v[2:3]
	v_pk_fma_f32 v[6:7], v[4:5], v[14:15], v[6:7] op_sel_hi:[0,1,1]
	v_add_co_u32_e32 v2, vcc, s87, v2
	v_mov_b32_e32 v1, s6
	s_waitcnt lgkmcnt(0)
	v_pk_fma_f32 v[6:7], v[12:13], v[8:9], v[6:7] op_sel_hi:[0,1,1]
	v_addc_co_u32_e32 v3, vcc, v1, v3, vcc
	v_div_scale_f32 v1, s[52:53], v5, v5, v7
	v_rcp_f32_e32 v4, v1
	v_fma_f32 v8, -v1, v4, 1.0
	v_fmac_f32_e32 v4, v8, v4
	v_div_scale_f32 v8, vcc, v7, v5, v7
	v_mul_f32_e32 v9, v8, v4
	v_fma_f32 v10, -v1, v9, v8
	v_fmac_f32_e32 v9, v10, v4
	v_fma_f32 v1, -v1, v9, v8
	v_div_fmas_f32 v1, v1, v4, v9
	v_div_fixup_f32 v7, v1, v5, v7
	v_div_scale_f32 v1, s[52:53], v5, v5, v6
	v_rcp_f32_e32 v4, v1
	v_fma_f32 v8, -v1, v4, 1.0
	v_fmac_f32_e32 v4, v8, v4
	v_div_scale_f32 v8, vcc, v6, v5, v6
	v_mul_f32_e32 v9, v8, v4
	v_fma_f32 v10, -v1, v9, v8
	v_fmac_f32_e32 v9, v10, v4
	v_fma_f32 v1, -v1, v9, v8
	v_div_fmas_f32 v1, v1, v4, v9
	v_div_fixup_f32 v6, v1, v5, v6
	v_mov_b32_e32 v1, 0
	global_store_dwordx2 v[2:3], v[6:7], off
.LBB25_268:                             ;   in Loop: Header=BB25_14 Depth=1
	s_or_b64 exec, exec, s[10:11]
	s_movk_i32 s10, 0x47
	v_cmp_gt_i32_e32 vcc, s10, v1
	s_mov_b64 s[10:11], -1
	s_and_saveexec_b64 s[74:75], vcc
; %bb.269:                              ;   in Loop: Header=BB25_14 Depth=1
	v_cmp_eq_u32_e32 vcc, 0, v1
	s_orn2_b64 s[10:11], vcc, exec
; %bb.270:                              ;   in Loop: Header=BB25_14 Depth=1
	s_or_b64 exec, exec, s[74:75]
	s_and_b64 exec, exec, s[10:11]
	s_cbranch_execz .LBB25_12
; %bb.271:                              ;   in Loop: Header=BB25_14 Depth=1
	v_add_u32_e32 v2, s63, v174
	v_or_b32_e32 v1, s51, v52
	v_cmp_gt_i32_e32 vcc, s28, v2
	v_cmp_gt_i32_e64 s[10:11], s33, v1
	s_and_b64 s[52:53], vcc, s[10:11]
	v_mov_b32_e32 v1, 0x47
	s_and_saveexec_b64 s[10:11], s[52:53]
	s_cbranch_execz .LBB25_273
; %bb.272:                              ;   in Loop: Header=BB25_14 Depth=1
	v_add_u32_e32 v1, 0, v119
	ds_read2_b32 v[4:5], v1 offset0:64 offset1:65
	ds_read2st64_b32 v[6:7], v120 offset1:17
	ds_read2st64_b32 v[8:9], v1 offset0:18 offset1:35
	ds_read2st64_b32 v[10:11], v120 offset0:34 offset1:51
	ds_read_b32 v12, v1 offset:13312
	v_mad_u64_u32 v[2:3], s[52:53], v2, s29, v[52:53]
	s_waitcnt lgkmcnt(3)
	v_cvt_f32_f16_sdwa v15, v6 dst_sel:DWORD dst_unused:UNUSED_PAD src0_sel:WORD_1
	v_cvt_f32_f16_e32 v14, v6
	v_cvt_f32_f16_sdwa v17, v7 dst_sel:DWORD dst_unused:UNUSED_PAD src0_sel:WORD_1
	v_cvt_f32_f16_e32 v16, v7
	v_lshl_add_u32 v2, v2, 6, v22
	v_pk_fma_f32 v[14:15], v[4:5], v[14:15], 0 op_sel_hi:[0,1,0]
	s_waitcnt lgkmcnt(2)
	v_mov_b32_e32 v4, v9
	v_pk_fma_f32 v[6:7], v[8:9], v[16:17], v[14:15] op_sel_hi:[0,1,1]
	s_waitcnt lgkmcnt(1)
	v_cvt_f32_f16_sdwa v15, v10 dst_sel:DWORD dst_unused:UNUSED_PAD src0_sel:WORD_1
	v_cvt_f32_f16_e32 v14, v10
	v_cvt_f32_f16_sdwa v9, v11 dst_sel:DWORD dst_unused:UNUSED_PAD src0_sel:WORD_1
	v_cvt_f32_f16_e32 v8, v11
	v_ashrrev_i32_e32 v3, 31, v2
	v_lshlrev_b64 v[2:3], 3, v[2:3]
	v_pk_fma_f32 v[6:7], v[4:5], v[14:15], v[6:7] op_sel_hi:[0,1,1]
	v_add_co_u32_e32 v2, vcc, s87, v2
	v_mov_b32_e32 v1, s6
	s_waitcnt lgkmcnt(0)
	v_pk_fma_f32 v[6:7], v[12:13], v[8:9], v[6:7] op_sel_hi:[0,1,1]
	v_addc_co_u32_e32 v3, vcc, v1, v3, vcc
	v_div_scale_f32 v1, s[52:53], v5, v5, v7
	v_rcp_f32_e32 v4, v1
	v_fma_f32 v8, -v1, v4, 1.0
	v_fmac_f32_e32 v4, v8, v4
	v_div_scale_f32 v8, vcc, v7, v5, v7
	v_mul_f32_e32 v9, v8, v4
	v_fma_f32 v10, -v1, v9, v8
	v_fmac_f32_e32 v9, v10, v4
	v_fma_f32 v1, -v1, v9, v8
	v_div_fmas_f32 v1, v1, v4, v9
	v_div_fixup_f32 v7, v1, v5, v7
	v_div_scale_f32 v1, s[52:53], v5, v5, v6
	v_rcp_f32_e32 v4, v1
	v_fma_f32 v8, -v1, v4, 1.0
	v_fmac_f32_e32 v4, v8, v4
	v_div_scale_f32 v8, vcc, v6, v5, v6
	v_mul_f32_e32 v9, v8, v4
	v_fma_f32 v10, -v1, v9, v8
	v_fmac_f32_e32 v9, v10, v4
	v_fma_f32 v1, -v1, v9, v8
	v_div_fmas_f32 v1, v1, v4, v9
	v_div_fixup_f32 v6, v1, v5, v6
	v_mov_b32_e32 v1, 0
	global_store_dwordx2 v[2:3], v[6:7], off
.LBB25_273:                             ;   in Loop: Header=BB25_14 Depth=1
	s_or_b64 exec, exec, s[10:11]
	s_movk_i32 s10, 0x47
	v_cmp_gt_i32_e32 vcc, s10, v1
	s_mov_b64 s[10:11], -1
	s_and_saveexec_b64 s[74:75], vcc
; %bb.274:                              ;   in Loop: Header=BB25_14 Depth=1
	v_cmp_eq_u32_e32 vcc, 0, v1
	s_orn2_b64 s[10:11], vcc, exec
; %bb.275:                              ;   in Loop: Header=BB25_14 Depth=1
	s_or_b64 exec, exec, s[74:75]
	s_and_b64 exec, exec, s[10:11]
	s_cbranch_execz .LBB25_12
; %bb.276:                              ;   in Loop: Header=BB25_14 Depth=1
	v_add_u32_e32 v2, s63, v121
	v_cmp_gt_i32_e32 vcc, s28, v2
	s_and_b64 s[52:53], vcc, s[8:9]
	v_mov_b32_e32 v1, 0x47
	s_and_saveexec_b64 s[10:11], s[52:53]
	s_cbranch_execz .LBB25_278
; %bb.277:                              ;   in Loop: Header=BB25_14 Depth=1
	v_add_u32_e32 v1, 0, v122
	ds_read2_b32 v[4:5], v1 offset0:64 offset1:65
	ds_read2st64_b32 v[6:7], v123 offset1:17
	ds_read2st64_b32 v[8:9], v1 offset0:18 offset1:35
	ds_read2st64_b32 v[10:11], v123 offset0:34 offset1:51
	ds_read_b32 v12, v1 offset:13312
	v_mad_u64_u32 v[2:3], s[52:53], v2, s29, v[66:67]
	s_waitcnt lgkmcnt(3)
	v_cvt_f32_f16_sdwa v15, v6 dst_sel:DWORD dst_unused:UNUSED_PAD src0_sel:WORD_1
	v_cvt_f32_f16_e32 v14, v6
	v_cvt_f32_f16_sdwa v17, v7 dst_sel:DWORD dst_unused:UNUSED_PAD src0_sel:WORD_1
	v_cvt_f32_f16_e32 v16, v7
	v_lshl_add_u32 v2, v2, 6, v22
	v_pk_fma_f32 v[14:15], v[4:5], v[14:15], 0 op_sel_hi:[0,1,0]
	s_waitcnt lgkmcnt(2)
	v_mov_b32_e32 v4, v9
	v_pk_fma_f32 v[6:7], v[8:9], v[16:17], v[14:15] op_sel_hi:[0,1,1]
	s_waitcnt lgkmcnt(1)
	v_cvt_f32_f16_sdwa v15, v10 dst_sel:DWORD dst_unused:UNUSED_PAD src0_sel:WORD_1
	v_cvt_f32_f16_e32 v14, v10
	v_cvt_f32_f16_sdwa v9, v11 dst_sel:DWORD dst_unused:UNUSED_PAD src0_sel:WORD_1
	v_cvt_f32_f16_e32 v8, v11
	v_ashrrev_i32_e32 v3, 31, v2
	v_lshlrev_b64 v[2:3], 3, v[2:3]
	v_pk_fma_f32 v[6:7], v[4:5], v[14:15], v[6:7] op_sel_hi:[0,1,1]
	v_add_co_u32_e32 v2, vcc, s87, v2
	v_mov_b32_e32 v1, s6
	s_waitcnt lgkmcnt(0)
	v_pk_fma_f32 v[6:7], v[12:13], v[8:9], v[6:7] op_sel_hi:[0,1,1]
	v_addc_co_u32_e32 v3, vcc, v1, v3, vcc
	v_div_scale_f32 v1, s[52:53], v5, v5, v7
	v_rcp_f32_e32 v4, v1
	v_fma_f32 v8, -v1, v4, 1.0
	v_fmac_f32_e32 v4, v8, v4
	v_div_scale_f32 v8, vcc, v7, v5, v7
	v_mul_f32_e32 v9, v8, v4
	v_fma_f32 v10, -v1, v9, v8
	v_fmac_f32_e32 v9, v10, v4
	v_fma_f32 v1, -v1, v9, v8
	v_div_fmas_f32 v1, v1, v4, v9
	v_div_fixup_f32 v7, v1, v5, v7
	v_div_scale_f32 v1, s[52:53], v5, v5, v6
	v_rcp_f32_e32 v4, v1
	v_fma_f32 v8, -v1, v4, 1.0
	v_fmac_f32_e32 v4, v8, v4
	v_div_scale_f32 v8, vcc, v6, v5, v6
	v_mul_f32_e32 v9, v8, v4
	v_fma_f32 v10, -v1, v9, v8
	v_fmac_f32_e32 v9, v10, v4
	v_fma_f32 v1, -v1, v9, v8
	v_div_fmas_f32 v1, v1, v4, v9
	v_div_fixup_f32 v6, v1, v5, v6
	v_mov_b32_e32 v1, 0
	global_store_dwordx2 v[2:3], v[6:7], off
.LBB25_278:                             ;   in Loop: Header=BB25_14 Depth=1
	s_or_b64 exec, exec, s[10:11]
	s_movk_i32 s10, 0x47
	v_cmp_gt_i32_e32 vcc, s10, v1
	s_mov_b64 s[10:11], -1
	s_and_saveexec_b64 s[74:75], vcc
; %bb.279:                              ;   in Loop: Header=BB25_14 Depth=1
	v_cmp_eq_u32_e32 vcc, 0, v1
	s_orn2_b64 s[10:11], vcc, exec
; %bb.280:                              ;   in Loop: Header=BB25_14 Depth=1
	s_or_b64 exec, exec, s[74:75]
	s_and_b64 exec, exec, s[10:11]
	s_cbranch_execz .LBB25_12
; %bb.281:                              ;   in Loop: Header=BB25_14 Depth=1
	v_add_u32_e32 v2, s63, v175
	v_or_b32_e32 v1, s51, v54
	v_cmp_gt_i32_e32 vcc, s28, v2
	v_cmp_gt_i32_e64 s[10:11], s33, v1
	s_and_b64 s[52:53], vcc, s[10:11]
	v_mov_b32_e32 v1, 0x47
	s_and_saveexec_b64 s[10:11], s[52:53]
	s_cbranch_execz .LBB25_283
; %bb.282:                              ;   in Loop: Header=BB25_14 Depth=1
	v_add_u32_e32 v1, 0, v124
	ds_read2_b32 v[4:5], v1 offset0:64 offset1:65
	ds_read2st64_b32 v[6:7], v125 offset1:17
	ds_read2st64_b32 v[8:9], v1 offset0:18 offset1:35
	ds_read2st64_b32 v[10:11], v125 offset0:34 offset1:51
	ds_read_b32 v12, v1 offset:13312
	v_mad_u64_u32 v[2:3], s[52:53], v2, s29, v[54:55]
	s_waitcnt lgkmcnt(3)
	v_cvt_f32_f16_sdwa v15, v6 dst_sel:DWORD dst_unused:UNUSED_PAD src0_sel:WORD_1
	v_cvt_f32_f16_e32 v14, v6
	v_cvt_f32_f16_sdwa v17, v7 dst_sel:DWORD dst_unused:UNUSED_PAD src0_sel:WORD_1
	v_cvt_f32_f16_e32 v16, v7
	v_lshl_add_u32 v2, v2, 6, v22
	v_pk_fma_f32 v[14:15], v[4:5], v[14:15], 0 op_sel_hi:[0,1,0]
	s_waitcnt lgkmcnt(2)
	v_mov_b32_e32 v4, v9
	v_pk_fma_f32 v[6:7], v[8:9], v[16:17], v[14:15] op_sel_hi:[0,1,1]
	s_waitcnt lgkmcnt(1)
	v_cvt_f32_f16_sdwa v15, v10 dst_sel:DWORD dst_unused:UNUSED_PAD src0_sel:WORD_1
	v_cvt_f32_f16_e32 v14, v10
	v_cvt_f32_f16_sdwa v9, v11 dst_sel:DWORD dst_unused:UNUSED_PAD src0_sel:WORD_1
	v_cvt_f32_f16_e32 v8, v11
	v_ashrrev_i32_e32 v3, 31, v2
	v_lshlrev_b64 v[2:3], 3, v[2:3]
	v_pk_fma_f32 v[6:7], v[4:5], v[14:15], v[6:7] op_sel_hi:[0,1,1]
	v_add_co_u32_e32 v2, vcc, s87, v2
	v_mov_b32_e32 v1, s6
	s_waitcnt lgkmcnt(0)
	v_pk_fma_f32 v[6:7], v[12:13], v[8:9], v[6:7] op_sel_hi:[0,1,1]
	v_addc_co_u32_e32 v3, vcc, v1, v3, vcc
	v_div_scale_f32 v1, s[52:53], v5, v5, v7
	v_rcp_f32_e32 v4, v1
	v_fma_f32 v8, -v1, v4, 1.0
	v_fmac_f32_e32 v4, v8, v4
	v_div_scale_f32 v8, vcc, v7, v5, v7
	v_mul_f32_e32 v9, v8, v4
	v_fma_f32 v10, -v1, v9, v8
	v_fmac_f32_e32 v9, v10, v4
	v_fma_f32 v1, -v1, v9, v8
	v_div_fmas_f32 v1, v1, v4, v9
	v_div_fixup_f32 v7, v1, v5, v7
	v_div_scale_f32 v1, s[52:53], v5, v5, v6
	v_rcp_f32_e32 v4, v1
	v_fma_f32 v8, -v1, v4, 1.0
	v_fmac_f32_e32 v4, v8, v4
	v_div_scale_f32 v8, vcc, v6, v5, v6
	v_mul_f32_e32 v9, v8, v4
	v_fma_f32 v10, -v1, v9, v8
	v_fmac_f32_e32 v9, v10, v4
	v_fma_f32 v1, -v1, v9, v8
	v_div_fmas_f32 v1, v1, v4, v9
	v_div_fixup_f32 v6, v1, v5, v6
	v_mov_b32_e32 v1, 0
	global_store_dwordx2 v[2:3], v[6:7], off
.LBB25_283:                             ;   in Loop: Header=BB25_14 Depth=1
	s_or_b64 exec, exec, s[10:11]
	s_movk_i32 s10, 0x47
	v_cmp_gt_i32_e32 vcc, s10, v1
	s_mov_b64 s[10:11], -1
	s_and_saveexec_b64 s[74:75], vcc
; %bb.284:                              ;   in Loop: Header=BB25_14 Depth=1
	v_cmp_eq_u32_e32 vcc, 0, v1
	s_orn2_b64 s[10:11], vcc, exec
; %bb.285:                              ;   in Loop: Header=BB25_14 Depth=1
	s_or_b64 exec, exec, s[74:75]
	s_and_b64 exec, exec, s[10:11]
	s_cbranch_execz .LBB25_12
; %bb.286:                              ;   in Loop: Header=BB25_14 Depth=1
	v_add_u32_e32 v2, s63, v126
	v_cmp_gt_i32_e32 vcc, s28, v2
	s_and_b64 s[52:53], vcc, s[8:9]
	v_mov_b32_e32 v1, 0x47
	s_and_saveexec_b64 s[10:11], s[52:53]
	s_cbranch_execz .LBB25_288
; %bb.287:                              ;   in Loop: Header=BB25_14 Depth=1
	v_add_u32_e32 v1, 0, v127
	ds_read2_b32 v[4:5], v1 offset0:64 offset1:65
	ds_read2st64_b32 v[6:7], v128 offset1:17
	ds_read2st64_b32 v[8:9], v1 offset0:18 offset1:35
	ds_read2st64_b32 v[10:11], v128 offset0:34 offset1:51
	ds_read_b32 v12, v1 offset:13312
	v_mad_u64_u32 v[2:3], s[52:53], v2, s29, v[66:67]
	s_waitcnt lgkmcnt(3)
	v_cvt_f32_f16_sdwa v15, v6 dst_sel:DWORD dst_unused:UNUSED_PAD src0_sel:WORD_1
	v_cvt_f32_f16_e32 v14, v6
	v_cvt_f32_f16_sdwa v17, v7 dst_sel:DWORD dst_unused:UNUSED_PAD src0_sel:WORD_1
	v_cvt_f32_f16_e32 v16, v7
	v_lshl_add_u32 v2, v2, 6, v22
	v_pk_fma_f32 v[14:15], v[4:5], v[14:15], 0 op_sel_hi:[0,1,0]
	s_waitcnt lgkmcnt(2)
	v_mov_b32_e32 v4, v9
	v_pk_fma_f32 v[6:7], v[8:9], v[16:17], v[14:15] op_sel_hi:[0,1,1]
	s_waitcnt lgkmcnt(1)
	v_cvt_f32_f16_sdwa v15, v10 dst_sel:DWORD dst_unused:UNUSED_PAD src0_sel:WORD_1
	v_cvt_f32_f16_e32 v14, v10
	v_cvt_f32_f16_sdwa v9, v11 dst_sel:DWORD dst_unused:UNUSED_PAD src0_sel:WORD_1
	v_cvt_f32_f16_e32 v8, v11
	v_ashrrev_i32_e32 v3, 31, v2
	v_lshlrev_b64 v[2:3], 3, v[2:3]
	v_pk_fma_f32 v[6:7], v[4:5], v[14:15], v[6:7] op_sel_hi:[0,1,1]
	v_add_co_u32_e32 v2, vcc, s87, v2
	v_mov_b32_e32 v1, s6
	s_waitcnt lgkmcnt(0)
	v_pk_fma_f32 v[6:7], v[12:13], v[8:9], v[6:7] op_sel_hi:[0,1,1]
	v_addc_co_u32_e32 v3, vcc, v1, v3, vcc
	v_div_scale_f32 v1, s[52:53], v5, v5, v7
	v_rcp_f32_e32 v4, v1
	v_fma_f32 v8, -v1, v4, 1.0
	v_fmac_f32_e32 v4, v8, v4
	v_div_scale_f32 v8, vcc, v7, v5, v7
	v_mul_f32_e32 v9, v8, v4
	v_fma_f32 v10, -v1, v9, v8
	v_fmac_f32_e32 v9, v10, v4
	v_fma_f32 v1, -v1, v9, v8
	v_div_fmas_f32 v1, v1, v4, v9
	v_div_fixup_f32 v7, v1, v5, v7
	v_div_scale_f32 v1, s[52:53], v5, v5, v6
	v_rcp_f32_e32 v4, v1
	v_fma_f32 v8, -v1, v4, 1.0
	v_fmac_f32_e32 v4, v8, v4
	v_div_scale_f32 v8, vcc, v6, v5, v6
	v_mul_f32_e32 v9, v8, v4
	v_fma_f32 v10, -v1, v9, v8
	v_fmac_f32_e32 v9, v10, v4
	v_fma_f32 v1, -v1, v9, v8
	v_div_fmas_f32 v1, v1, v4, v9
	v_div_fixup_f32 v6, v1, v5, v6
	v_mov_b32_e32 v1, 0
	global_store_dwordx2 v[2:3], v[6:7], off
.LBB25_288:                             ;   in Loop: Header=BB25_14 Depth=1
	s_or_b64 exec, exec, s[10:11]
	s_movk_i32 s10, 0x47
	v_cmp_gt_i32_e32 vcc, s10, v1
	s_mov_b64 s[10:11], -1
	s_and_saveexec_b64 s[74:75], vcc
; %bb.289:                              ;   in Loop: Header=BB25_14 Depth=1
	v_cmp_eq_u32_e32 vcc, 0, v1
	s_orn2_b64 s[10:11], vcc, exec
; %bb.290:                              ;   in Loop: Header=BB25_14 Depth=1
	s_or_b64 exec, exec, s[74:75]
	s_and_b64 exec, exec, s[10:11]
	s_cbranch_execz .LBB25_12
; %bb.291:                              ;   in Loop: Header=BB25_14 Depth=1
	v_add_u32_e32 v2, s63, v176
	v_or_b32_e32 v1, s51, v56
	v_cmp_gt_i32_e32 vcc, s28, v2
	v_cmp_gt_i32_e64 s[10:11], s33, v1
	s_and_b64 s[52:53], vcc, s[10:11]
	v_mov_b32_e32 v1, 0x47
	s_and_saveexec_b64 s[10:11], s[52:53]
	s_cbranch_execz .LBB25_293
; %bb.292:                              ;   in Loop: Header=BB25_14 Depth=1
	v_add_u32_e32 v1, 0, v129
	ds_read2_b32 v[4:5], v1 offset0:64 offset1:65
	ds_read2st64_b32 v[6:7], v130 offset1:17
	ds_read2st64_b32 v[8:9], v1 offset0:18 offset1:35
	ds_read2st64_b32 v[10:11], v130 offset0:34 offset1:51
	ds_read_b32 v12, v1 offset:13312
	v_mad_u64_u32 v[2:3], s[52:53], v2, s29, v[56:57]
	s_waitcnt lgkmcnt(3)
	v_cvt_f32_f16_sdwa v15, v6 dst_sel:DWORD dst_unused:UNUSED_PAD src0_sel:WORD_1
	v_cvt_f32_f16_e32 v14, v6
	v_cvt_f32_f16_sdwa v17, v7 dst_sel:DWORD dst_unused:UNUSED_PAD src0_sel:WORD_1
	v_cvt_f32_f16_e32 v16, v7
	v_lshl_add_u32 v2, v2, 6, v22
	v_pk_fma_f32 v[14:15], v[4:5], v[14:15], 0 op_sel_hi:[0,1,0]
	s_waitcnt lgkmcnt(2)
	v_mov_b32_e32 v4, v9
	v_pk_fma_f32 v[6:7], v[8:9], v[16:17], v[14:15] op_sel_hi:[0,1,1]
	s_waitcnt lgkmcnt(1)
	v_cvt_f32_f16_sdwa v15, v10 dst_sel:DWORD dst_unused:UNUSED_PAD src0_sel:WORD_1
	v_cvt_f32_f16_e32 v14, v10
	v_cvt_f32_f16_sdwa v9, v11 dst_sel:DWORD dst_unused:UNUSED_PAD src0_sel:WORD_1
	v_cvt_f32_f16_e32 v8, v11
	v_ashrrev_i32_e32 v3, 31, v2
	v_lshlrev_b64 v[2:3], 3, v[2:3]
	v_pk_fma_f32 v[6:7], v[4:5], v[14:15], v[6:7] op_sel_hi:[0,1,1]
	v_add_co_u32_e32 v2, vcc, s87, v2
	v_mov_b32_e32 v1, s6
	s_waitcnt lgkmcnt(0)
	v_pk_fma_f32 v[6:7], v[12:13], v[8:9], v[6:7] op_sel_hi:[0,1,1]
	v_addc_co_u32_e32 v3, vcc, v1, v3, vcc
	v_div_scale_f32 v1, s[52:53], v5, v5, v7
	v_rcp_f32_e32 v4, v1
	v_fma_f32 v8, -v1, v4, 1.0
	v_fmac_f32_e32 v4, v8, v4
	v_div_scale_f32 v8, vcc, v7, v5, v7
	v_mul_f32_e32 v9, v8, v4
	v_fma_f32 v10, -v1, v9, v8
	v_fmac_f32_e32 v9, v10, v4
	v_fma_f32 v1, -v1, v9, v8
	v_div_fmas_f32 v1, v1, v4, v9
	v_div_fixup_f32 v7, v1, v5, v7
	v_div_scale_f32 v1, s[52:53], v5, v5, v6
	v_rcp_f32_e32 v4, v1
	v_fma_f32 v8, -v1, v4, 1.0
	v_fmac_f32_e32 v4, v8, v4
	v_div_scale_f32 v8, vcc, v6, v5, v6
	v_mul_f32_e32 v9, v8, v4
	v_fma_f32 v10, -v1, v9, v8
	v_fmac_f32_e32 v9, v10, v4
	v_fma_f32 v1, -v1, v9, v8
	v_div_fmas_f32 v1, v1, v4, v9
	v_div_fixup_f32 v6, v1, v5, v6
	v_mov_b32_e32 v1, 0
	global_store_dwordx2 v[2:3], v[6:7], off
.LBB25_293:                             ;   in Loop: Header=BB25_14 Depth=1
	s_or_b64 exec, exec, s[10:11]
	s_movk_i32 s10, 0x47
	v_cmp_gt_i32_e32 vcc, s10, v1
	s_mov_b64 s[10:11], -1
	s_and_saveexec_b64 s[74:75], vcc
; %bb.294:                              ;   in Loop: Header=BB25_14 Depth=1
	v_cmp_eq_u32_e32 vcc, 0, v1
	s_orn2_b64 s[10:11], vcc, exec
; %bb.295:                              ;   in Loop: Header=BB25_14 Depth=1
	s_or_b64 exec, exec, s[74:75]
	s_and_b64 exec, exec, s[10:11]
	s_cbranch_execz .LBB25_12
; %bb.296:                              ;   in Loop: Header=BB25_14 Depth=1
	v_add_u32_e32 v2, s63, v131
	v_cmp_gt_i32_e32 vcc, s28, v2
	s_and_b64 s[10:11], vcc, s[8:9]
	v_mov_b32_e32 v1, 0x47
	s_and_saveexec_b64 s[8:9], s[10:11]
	s_cbranch_execz .LBB25_298
; %bb.297:                              ;   in Loop: Header=BB25_14 Depth=1
	v_add_u32_e32 v1, 0, v132
	ds_read2st64_b32 v[4:5], v133 offset1:17
	ds_read2st64_b32 v[6:7], v1 offset0:18 offset1:35
	ds_read2st64_b32 v[8:9], v133 offset0:34 offset1:51
	ds_read2_b32 v[10:11], v1 offset0:64 offset1:65
	ds_read_b32 v12, v1 offset:13312
	s_waitcnt lgkmcnt(4)
	v_cvt_f32_f16_sdwa v15, v4 dst_sel:DWORD dst_unused:UNUSED_PAD src0_sel:WORD_1
	v_cvt_f32_f16_e32 v14, v4
	v_cvt_f32_f16_sdwa v17, v5 dst_sel:DWORD dst_unused:UNUSED_PAD src0_sel:WORD_1
	v_cvt_f32_f16_e32 v16, v5
	s_waitcnt lgkmcnt(2)
	v_cvt_f32_f16_sdwa v5, v8 dst_sel:DWORD dst_unused:UNUSED_PAD src0_sel:WORD_1
	v_cvt_f32_f16_e32 v4, v8
	v_cvt_f32_f16_sdwa v19, v9 dst_sel:DWORD dst_unused:UNUSED_PAD src0_sel:WORD_1
	v_cvt_f32_f16_e32 v18, v9
	s_waitcnt lgkmcnt(1)
	v_pk_fma_f32 v[14:15], v[10:11], v[14:15], 0 op_sel_hi:[0,1,0]
	v_pk_fma_f32 v[8:9], v[6:7], v[16:17], v[14:15] op_sel_hi:[0,1,1]
	v_mov_b32_e32 v6, v7
	v_pk_fma_f32 v[4:5], v[6:7], v[4:5], v[8:9] op_sel_hi:[0,1,1]
	s_waitcnt lgkmcnt(0)
	v_pk_fma_f32 v[4:5], v[12:13], v[18:19], v[4:5] op_sel_hi:[0,1,1]
	v_mad_u64_u32 v[2:3], s[10:11], v2, s29, v[66:67]
	v_div_scale_f32 v6, s[10:11], v11, v11, v5
	v_lshl_add_u32 v2, v2, 6, v22
	v_rcp_f32_e32 v7, v6
	v_ashrrev_i32_e32 v3, 31, v2
	v_lshlrev_b64 v[2:3], 3, v[2:3]
	v_mov_b32_e32 v1, s6
	v_add_co_u32_e32 v2, vcc, s87, v2
	v_addc_co_u32_e32 v3, vcc, v1, v3, vcc
	v_fma_f32 v1, -v6, v7, 1.0
	v_fmac_f32_e32 v7, v1, v7
	v_div_scale_f32 v1, vcc, v5, v11, v5
	v_mul_f32_e32 v8, v1, v7
	v_fma_f32 v9, -v6, v8, v1
	v_fmac_f32_e32 v8, v9, v7
	v_fma_f32 v1, -v6, v8, v1
	v_div_scale_f32 v6, s[10:11], v11, v11, v4
	v_rcp_f32_e32 v9, v6
	v_div_fmas_f32 v1, v1, v7, v8
	v_div_fixup_f32 v5, v1, v11, v5
	v_fma_f32 v1, -v6, v9, 1.0
	v_fmac_f32_e32 v9, v1, v9
	v_div_scale_f32 v1, vcc, v4, v11, v4
	v_mul_f32_e32 v7, v1, v9
	v_fma_f32 v8, -v6, v7, v1
	v_fmac_f32_e32 v7, v8, v9
	v_fma_f32 v1, -v6, v7, v1
	v_div_fmas_f32 v1, v1, v9, v7
	v_div_fixup_f32 v4, v1, v11, v4
	v_mov_b32_e32 v1, 0
	global_store_dwordx2 v[2:3], v[4:5], off
.LBB25_298:                             ;   in Loop: Header=BB25_14 Depth=1
	s_or_b64 exec, exec, s[8:9]
	s_movk_i32 s8, 0x47
	v_cmp_gt_i32_e32 vcc, s8, v1
	s_mov_b64 s[8:9], -1
	s_and_saveexec_b64 s[10:11], vcc
; %bb.299:                              ;   in Loop: Header=BB25_14 Depth=1
	v_cmp_eq_u32_e32 vcc, 0, v1
	s_orn2_b64 s[8:9], vcc, exec
; %bb.300:                              ;   in Loop: Header=BB25_14 Depth=1
	s_or_b64 exec, exec, s[10:11]
	s_and_b64 exec, exec, s[8:9]
	s_cbranch_execz .LBB25_12
; %bb.301:                              ;   in Loop: Header=BB25_14 Depth=1
	v_add_u32_e32 v1, s63, v177
	v_or_b32_e32 v2, s51, v58
	v_cmp_gt_i32_e32 vcc, s28, v1
	v_cmp_gt_i32_e64 s[8:9], s33, v2
	s_and_b64 s[8:9], vcc, s[8:9]
	s_and_b64 exec, exec, s[8:9]
	s_cbranch_execz .LBB25_12
; %bb.302:                              ;   in Loop: Header=BB25_14 Depth=1
	v_add_u32_e32 v12, 0, v134
	ds_read2st64_b32 v[4:5], v135 offset1:17
	ds_read2st64_b32 v[6:7], v12 offset0:18 offset1:35
	ds_read2st64_b32 v[8:9], v135 offset0:34 offset1:51
	ds_read2_b32 v[10:11], v12 offset0:64 offset1:65
	ds_read_b32 v12, v12 offset:13312
	s_waitcnt lgkmcnt(4)
	v_cvt_f32_f16_sdwa v15, v4 dst_sel:DWORD dst_unused:UNUSED_PAD src0_sel:WORD_1
	v_cvt_f32_f16_e32 v14, v4
	v_cvt_f32_f16_sdwa v17, v5 dst_sel:DWORD dst_unused:UNUSED_PAD src0_sel:WORD_1
	v_cvt_f32_f16_e32 v16, v5
	s_waitcnt lgkmcnt(2)
	v_cvt_f32_f16_sdwa v5, v8 dst_sel:DWORD dst_unused:UNUSED_PAD src0_sel:WORD_1
	v_cvt_f32_f16_e32 v4, v8
	v_cvt_f32_f16_sdwa v19, v9 dst_sel:DWORD dst_unused:UNUSED_PAD src0_sel:WORD_1
	v_cvt_f32_f16_e32 v18, v9
	s_waitcnt lgkmcnt(1)
	v_pk_fma_f32 v[14:15], v[10:11], v[14:15], 0 op_sel_hi:[0,1,0]
	v_pk_fma_f32 v[8:9], v[6:7], v[16:17], v[14:15] op_sel_hi:[0,1,1]
	v_mov_b32_e32 v6, v7
	v_pk_fma_f32 v[4:5], v[6:7], v[4:5], v[8:9] op_sel_hi:[0,1,1]
	s_waitcnt lgkmcnt(0)
	v_pk_fma_f32 v[4:5], v[12:13], v[18:19], v[4:5] op_sel_hi:[0,1,1]
	v_mad_u64_u32 v[2:3], s[8:9], v1, s29, v[58:59]
	v_div_scale_f32 v6, s[8:9], v11, v11, v5
	v_lshl_add_u32 v2, v2, 6, v22
	v_rcp_f32_e32 v7, v6
	v_ashrrev_i32_e32 v3, 31, v2
	v_lshlrev_b64 v[2:3], 3, v[2:3]
	v_mov_b32_e32 v1, s6
	v_add_co_u32_e32 v2, vcc, s87, v2
	v_addc_co_u32_e32 v3, vcc, v1, v3, vcc
	v_fma_f32 v1, -v6, v7, 1.0
	v_fmac_f32_e32 v7, v1, v7
	v_div_scale_f32 v1, vcc, v5, v11, v5
	v_mul_f32_e32 v8, v1, v7
	v_fma_f32 v9, -v6, v8, v1
	v_fmac_f32_e32 v8, v9, v7
	v_fma_f32 v1, -v6, v8, v1
	v_div_scale_f32 v6, s[8:9], v11, v11, v4
	v_rcp_f32_e32 v9, v6
	v_div_fmas_f32 v1, v1, v7, v8
	v_div_fixup_f32 v5, v1, v11, v5
	v_fma_f32 v1, -v6, v9, 1.0
	v_fmac_f32_e32 v9, v1, v9
	v_div_scale_f32 v1, vcc, v4, v11, v4
	v_mul_f32_e32 v7, v1, v9
	v_fma_f32 v8, -v6, v7, v1
	v_fmac_f32_e32 v7, v8, v9
	v_fma_f32 v1, -v6, v7, v1
	v_div_fmas_f32 v1, v1, v9, v7
	v_div_fixup_f32 v4, v1, v11, v4
	global_store_dwordx2 v[2:3], v[4:5], off
	s_branch .LBB25_12
.LBB25_303:
	v_readlane_b32 s51, v210, 13
	v_readlane_b32 s41, v210, 8
	;; [unrolled: 1-line block ×5, first 2 shown]
	s_andn2_b64 vcc, exec, s[8:9]
	s_cbranch_vccnz .LBB25_10
.LBB25_304:
	v_readlane_b32 s6, v210, 3
	s_abs_i32 s0, s6
	v_cvt_f32_u32_e32 v1, s0
	s_sub_i32 s3, 0, s0
	s_abs_i32 s2, s54
	s_xor_b32 s1, s54, s6
	v_rcp_iflag_f32_e32 v1, v1
	s_ashr_i32 s1, s1, 31
	v_readlane_b32 s8, v210, 2
	v_readlane_b32 s9, v210, 1
	v_mul_f32_e32 v1, 0x4f7ffffe, v1
	v_cvt_u32_f32_e32 v1, v1
	v_mov_b32_e32 v16, s62
	v_readfirstlane_b32 s4, v1
	s_mul_i32 s3, s3, s4
	s_mul_hi_u32 s3, s4, s3
	s_add_i32 s4, s4, s3
	s_mul_hi_u32 s3, s2, s4
	s_mul_i32 s4, s3, s0
	s_sub_i32 s2, s2, s4
	s_add_i32 s5, s3, 1
	s_sub_i32 s4, s2, s0
	s_cmp_ge_u32 s2, s0
	s_cselect_b32 s3, s5, s3
	s_cselect_b32 s2, s4, s2
	s_add_i32 s4, s3, 1
	s_cmp_ge_u32 s2, s0
	s_cselect_b32 s0, s4, s3
	s_abs_i32 s2, s8
	v_cvt_f32_u32_e32 v1, s2
	s_xor_b32 s0, s0, s1
	s_sub_i32 s4, s0, s1
	s_sub_i32 s3, 0, s2
	v_rcp_iflag_f32_e32 v1, v1
	s_mul_i32 s0, s4, s6
	s_sub_i32 s0, s54, s0
	s_abs_i32 s5, s0
	v_mul_f32_e32 v1, 0x4f7ffffe, v1
	v_cvt_u32_f32_e32 v1, v1
	s_xor_b32 s1, s0, s8
	s_ashr_i32 s1, s1, 31
	v_readfirstlane_b32 s6, v1
	s_mul_i32 s3, s3, s6
	s_mul_hi_u32 s3, s6, s3
	s_add_i32 s6, s6, s3
	s_mul_hi_u32 s3, s5, s6
	s_mul_i32 s6, s3, s2
	s_sub_i32 s5, s5, s6
	s_add_i32 s7, s3, 1
	s_sub_i32 s6, s5, s2
	s_cmp_ge_u32 s5, s2
	s_cselect_b32 s3, s7, s3
	s_cselect_b32 s5, s6, s5
	s_add_i32 s6, s3, 1
	s_cmp_ge_u32 s5, s2
	s_cselect_b32 s2, s6, s3
	s_abs_i32 s3, s9
	v_cvt_f32_u32_e32 v1, s3
	s_xor_b32 s2, s2, s1
	s_sub_i32 s6, 0, s3
	s_sub_i32 s5, s2, s1
	v_rcp_iflag_f32_e32 v1, v1
	s_mul_i32 s1, s5, s8
	s_sub_i32 s1, s0, s1
	s_abs_i32 s2, s1
	v_mul_f32_e32 v1, 0x4f7ffffe, v1
	v_cvt_u32_f32_e32 v1, v1
	s_xor_b32 s0, s1, s9
	s_ashr_i32 s0, s0, 31
	v_readfirstlane_b32 s7, v1
	s_mul_i32 s6, s6, s7
	s_mul_hi_u32 s6, s7, s6
	s_add_i32 s7, s7, s6
	s_mul_hi_u32 s6, s2, s7
	s_mul_i32 s7, s6, s3
	s_sub_i32 s2, s2, s7
	s_add_i32 s8, s6, 1
	s_sub_i32 s7, s2, s3
	s_cmp_ge_u32 s2, s3
	s_cselect_b32 s6, s8, s6
	s_cselect_b32 s2, s7, s2
	s_add_i32 s7, s6, 1
	s_cmp_ge_u32 s2, s3
	s_cselect_b32 s2, s7, s6
	s_xor_b32 s2, s2, s0
	s_sub_i32 s0, s2, s0
	s_mul_i32 s2, s0, s9
	s_sub_i32 s1, s1, s2
	s_ashr_i32 s2, s1, 31
	s_abs_i32 s1, s1
	s_mul_hi_u32 s3, s1, s50
	s_mul_i32 s6, s3, s83
	s_sub_i32 s1, s1, s6
	s_xor_b32 s2, s2, s38
	s_add_i32 s6, s3, 1
	s_sub_i32 s7, s1, s83
	s_cmp_ge_u32 s1, s83
	s_cselect_b32 s3, s6, s3
	s_cselect_b32 s1, s7, s1
	s_add_i32 s6, s3, 1
	s_cmp_ge_u32 s1, s83
	s_cselect_b32 s1, s6, s3
	s_abs_i32 s6, s10
	v_cvt_f32_u32_e32 v1, s6
	s_xor_b32 s1, s1, s2
	s_sub_i32 s1, s1, s2
	s_cmp_eq_u64 s[22:23], 0
	v_rcp_iflag_f32_e32 v1, v1
	v_mul_f32_e32 v1, 0x4f7ffffe, v1
	v_cvt_u32_f32_e32 v1, v1
	v_readfirstlane_b32 s9, v1
	s_cbranch_scc1 .LBB25_306
; %bb.305:
	v_readlane_b32 s2, v210, 0
	s_mul_i32 s2, s4, s2
	s_add_i32 s2, s1, s2
	s_ashr_i32 s3, s2, 31
	s_lshl_b64 s[2:3], s[2:3], 2
	s_add_u32 s2, s22, s2
	s_addc_u32 s3, s23, s3
	v_mov_b32_e32 v1, 0
	global_load_dword v1, v1, s[2:3]
	s_waitcnt vmcnt(0)
	v_ashrrev_i32_e32 v2, 31, v1
	v_lshrrev_b32_e32 v2, 26, v2
	v_add_u32_e32 v1, v1, v2
	v_ashrrev_i32_e32 v1, 6, v1
	v_min_i32_e32 v16, s62, v1
.LBB25_306:
	v_readlane_b32 s10, v210, 4
	v_readlane_b32 s11, v210, 5
	s_mul_i32 s2, s5, s33
	s_lshl_b32 s0, s0, 1
	s_mul_i32 s3, s4, s11
	s_add_i32 s2, s0, s2
	s_ashr_i32 s7, s3, 31
	s_add_u32 s3, s12, s3
	s_mul_i32 s2, s2, s10
	s_addc_u32 s8, s13, s7
	s_ashr_i32 s10, s2, 31
	s_add_u32 s7, s3, s2
	s_addc_u32 s8, s8, s10
	s_lshl_b32 s12, s1, 3
	v_or_b32_e32 v1, s0, v67
	v_and_b32_e32 v42, 0x3ff, v0
	v_add_u32_e32 v0, s12, v77
	v_cmp_gt_i32_e64 s[0:1], s33, v1
	v_cmp_le_i32_e32 vcc, s28, v0
	s_xor_b64 s[0:1], s[0:1], -1
	s_or_b64 s[2:3], vcc, s[0:1]
	s_and_saveexec_b64 s[10:11], s[2:3]
	s_xor_b64 s[2:3], exec, s[10:11]
	s_cbranch_execz .LBB25_308
; %bb.307:
	s_movk_i32 s10, 0x44
	v_mad_u32_u24 v0, v55, s10, v42
	v_lshl_add_u32 v0, v0, 2, 0
	v_mov_b32_e32 v1, 0
	ds_write_b32 v0, v1
                                        ; implicit-def: $vgpr0
.LBB25_308:
	s_andn2_saveexec_b64 s[2:3], s[2:3]
	s_cbranch_execz .LBB25_310
; %bb.309:
	v_mul_lo_u32 v0, v0, s55
	v_mul_lo_u32 v1, v67, s53
	v_add3_u32 v0, v1, v42, v0
	v_ashrrev_i32_e32 v1, 31, v0
	v_lshlrev_b64 v[0:1], 3, v[0:1]
	v_mov_b32_e32 v2, s8
	v_add_co_u32_e32 v0, vcc, s7, v0
	v_addc_co_u32_e32 v1, vcc, v2, v1, vcc
	global_load_dwordx2 v[0:1], v[0:1], off
	s_movk_i32 s10, 0x44
	v_mad_u32_u24 v2, v55, s10, v42
	s_waitcnt vmcnt(0)
	v_cvt_f16_f32_e32 v0, v0
	v_cvt_f16_f32_e32 v1, v1
	v_pack_b32_f16 v0, v0, v1
	v_pk_mul_f16 v0, v61, v0
	v_lshl_add_u32 v1, v2, 2, 0
	ds_write_b32 v1, v0
.LBB25_310:
	s_or_b64 exec, exec, s[2:3]
	v_lshrrev_b32_e32 v0, 1, v75
	v_add_u32_e32 v0, s12, v0
	v_cmp_le_i32_e32 vcc, s28, v0
	s_sub_i32 s10, 0, s6
	s_or_b64 s[2:3], vcc, s[0:1]
	s_and_saveexec_b64 s[20:21], s[2:3]
	s_xor_b64 s[2:3], exec, s[20:21]
	s_cbranch_execz .LBB25_312
; %bb.311:
	s_movk_i32 s11, 0x44
	v_mad_u32_u24 v0, v75, s11, v42
	v_lshl_add_u32 v0, v0, 2, 0
	v_mov_b32_e32 v1, 0
	ds_write_b32 v0, v1
                                        ; implicit-def: $vgpr0
                                        ; implicit-def: $vgpr75
.LBB25_312:
	s_or_saveexec_b64 s[2:3], s[2:3]
	s_mul_i32 s10, s10, s9
	s_xor_b64 exec, exec, s[2:3]
	s_cbranch_execz .LBB25_314
; %bb.313:
	v_mul_lo_u32 v0, v0, s55
	v_mul_lo_u32 v1, v67, s53
	v_add3_u32 v0, v1, v42, v0
	v_ashrrev_i32_e32 v1, 31, v0
	v_lshlrev_b64 v[0:1], 3, v[0:1]
	v_mov_b32_e32 v2, s8
	v_add_co_u32_e32 v0, vcc, s7, v0
	v_addc_co_u32_e32 v1, vcc, v2, v1, vcc
	global_load_dwordx2 v[0:1], v[0:1], off
	s_movk_i32 s11, 0x44
	v_mad_u32_u24 v2, v75, s11, v42
	s_waitcnt vmcnt(0)
	v_cvt_f16_f32_e32 v0, v0
	v_cvt_f16_f32_e32 v1, v1
	v_pack_b32_f16 v0, v0, v1
	v_pk_mul_f16 v0, v61, v0
	v_lshl_add_u32 v1, v2, 2, 0
	ds_write_b32 v1, v0
.LBB25_314:
	s_or_b64 exec, exec, s[2:3]
	v_lshrrev_b32_e32 v0, 1, v73
	v_add_u32_e32 v0, s12, v0
	v_cmp_le_i32_e32 vcc, s28, v0
	s_mul_hi_u32 s11, s9, s10
	s_or_b64 s[2:3], vcc, s[0:1]
	s_and_saveexec_b64 s[20:21], s[2:3]
	s_xor_b64 s[2:3], exec, s[20:21]
	s_cbranch_execz .LBB25_316
; %bb.315:
	s_movk_i32 s10, 0x44
	v_mad_u32_u24 v0, v73, s10, v42
	v_lshl_add_u32 v0, v0, 2, 0
	v_mov_b32_e32 v1, 0
	ds_write_b32 v0, v1
                                        ; implicit-def: $vgpr0
                                        ; implicit-def: $vgpr73
.LBB25_316:
	s_or_saveexec_b64 s[2:3], s[2:3]
	s_abs_i32 s10, s4
	s_add_i32 s9, s9, s11
	s_xor_b64 exec, exec, s[2:3]
	s_cbranch_execz .LBB25_318
; %bb.317:
	v_mul_lo_u32 v0, v0, s55
	v_mul_lo_u32 v1, v67, s53
	v_add3_u32 v0, v1, v42, v0
	v_ashrrev_i32_e32 v1, 31, v0
	v_lshlrev_b64 v[0:1], 3, v[0:1]
	v_mov_b32_e32 v2, s8
	v_add_co_u32_e32 v0, vcc, s7, v0
	v_addc_co_u32_e32 v1, vcc, v2, v1, vcc
	global_load_dwordx2 v[0:1], v[0:1], off
	s_movk_i32 s11, 0x44
	v_mad_u32_u24 v2, v73, s11, v42
	s_waitcnt vmcnt(0)
	v_cvt_f16_f32_e32 v0, v0
	v_cvt_f16_f32_e32 v1, v1
	v_pack_b32_f16 v0, v0, v1
	v_pk_mul_f16 v0, v61, v0
	v_lshl_add_u32 v1, v2, 2, 0
	ds_write_b32 v1, v0
.LBB25_318:
	s_or_b64 exec, exec, s[2:3]
	v_lshrrev_b32_e32 v0, 1, v63
	v_add_u32_e32 v0, s12, v0
	v_cmp_le_i32_e32 vcc, s28, v0
	s_mul_hi_u32 s2, s10, s9
	s_or_b64 s[0:1], vcc, s[0:1]
	s_and_saveexec_b64 s[20:21], s[0:1]
	s_xor_b64 s[0:1], exec, s[20:21]
	s_cbranch_execz .LBB25_320
; %bb.319:
	s_movk_i32 s3, 0x44
	v_mad_u32_u24 v0, v63, s3, v42
	v_lshl_add_u32 v0, v0, 2, 0
	v_mov_b32_e32 v1, 0
	ds_write_b32 v0, v1
                                        ; implicit-def: $vgpr0
                                        ; implicit-def: $vgpr67
                                        ; implicit-def: $vgpr61
                                        ; implicit-def: $vgpr63
.LBB25_320:
	s_or_saveexec_b64 s[0:1], s[0:1]
	s_ashr_i32 s3, s4, 31
	s_xor_b64 exec, exec, s[0:1]
	s_cbranch_execz .LBB25_322
; %bb.321:
	v_mul_lo_u32 v0, v0, s55
	v_mul_lo_u32 v1, v67, s53
	v_add3_u32 v0, v1, v42, v0
	v_ashrrev_i32_e32 v1, 31, v0
	v_lshlrev_b64 v[0:1], 3, v[0:1]
	v_mov_b32_e32 v2, s8
	v_add_co_u32_e32 v0, vcc, s7, v0
	v_addc_co_u32_e32 v1, vcc, v2, v1, vcc
	global_load_dwordx2 v[0:1], v[0:1], off
	s_movk_i32 s7, 0x44
	v_mad_u32_u24 v2, v63, s7, v42
	s_waitcnt vmcnt(0)
	v_cvt_f16_f32_e32 v0, v0
	v_cvt_f16_f32_e32 v1, v1
	v_pack_b32_f16 v0, v0, v1
	v_pk_mul_f16 v0, v61, v0
	v_lshl_add_u32 v1, v2, 2, 0
	ds_write_b32 v1, v0
.LBB25_322:
	s_or_b64 exec, exec, s[0:1]
	s_mul_i32 s0, s4, s37
	s_mul_hi_u32 s1, s4, s36
	s_add_i32 s0, s1, s0
	s_mul_i32 s1, s3, s36
	v_readlane_b32 s8, v210, 6
	s_add_i32 s0, s0, s1
	s_mul_i32 s1, s4, s36
	v_readlane_b32 s9, v210, 7
	s_add_u32 s1, s14, s1
	s_mul_i32 s7, s5, s9
	s_addc_u32 s0, s15, s0
	s_ashr_i32 s9, s7, 31
	s_add_u32 s8, s1, s7
	s_mul_i32 s2, s2, s6
	s_addc_u32 s9, s0, s9
	s_sub_i32 s0, s10, s2
	s_sub_i32 s1, s0, s6
	s_cmp_ge_u32 s0, s6
	s_cselect_b32 s0, s1, s0
	s_sub_i32 s1, s0, s6
	s_cmp_ge_u32 s0, s6
	s_cselect_b32 s0, s1, s0
	s_xor_b32 s0, s0, s3
	s_sub_i32 s0, s0, s3
	s_ashr_i32 s1, s0, 31
	s_mul_i32 s2, s0, s49
	s_mul_hi_u32 s6, s0, s48
	s_add_i32 s2, s6, s2
	s_mul_i32 s1, s1, s48
	s_add_i32 s2, s2, s1
	s_mul_i32 s0, s0, s48
	s_add_u32 s10, s18, s0
	s_mul_i32 s0, s4, s47
	s_mul_hi_u32 s1, s4, s46
	s_addc_u32 s11, s19, s2
	s_add_i32 s0, s1, s0
	s_mul_i32 s3, s3, s46
	s_add_i32 s0, s0, s3
	s_mul_i32 s4, s4, s46
	s_add_u32 s1, s16, s4
	s_mul_i32 s5, s5, s39
	s_addc_u32 s0, s17, s0
	s_ashr_i32 s2, s5, 31
	s_add_u32 s6, s1, s5
	v_lshrrev_b32_e32 v1, 3, v42
	s_addc_u32 s7, s0, s2
	v_and_b32_e32 v18, 0xff0, v57
	s_movk_i32 s0, 0x110
	v_and_b32_e32 v43, 15, v42
	v_and_b32_e32 v44, 0x7e, v1
	v_mad_u32_u24 v0, v18, s0, 0
	v_mul_u32_u24_e32 v71, 0x110, v43
	v_lshlrev_b32_e32 v72, 2, v44
	v_add3_u32 v0, v0, v71, v72
	v_add_u32_e32 v83, -1, v16
	v_lshrrev_b32_e32 v16, 5, v42
	s_waitcnt lgkmcnt(0)
	s_barrier
	ds_read2_b64 v[12:15], v0 offset1:4
	ds_read2_b64 v[8:11], v0 offset0:8 offset1:12
	ds_read2_b64 v[4:7], v0 offset0:16 offset1:20
	;; [unrolled: 1-line block ×3, first 2 shown]
	v_lshl_add_u32 v16, v55, 1, v16
	v_add_u32_e32 v17, s12, v16
	v_mul_hi_u32 v19, s44, v17
	v_add_u32_e32 v19, v17, v19
	v_lshrrev_b32_e32 v19, s45, v19
	v_cmp_lt_i32_e32 vcc, s74, v83
	v_mul_lo_u32 v19, v19, s28
	v_sub_u32_e32 v17, v17, v19
	s_waitcnt lgkmcnt(0)
	s_barrier
	s_cbranch_vccnz .LBB25_325
; %bb.323:
	v_lshlrev_b32_e32 v19, 1, v42
	v_and_b32_e32 v20, 62, v19
	v_lshrrev_b32_e32 v19, 4, v42
	v_mad_i64_i32 v[24:25], s[2:3], v17, s42, 0
	v_add_u32_e32 v48, v19, v57
	v_lshlrev_b32_e32 v19, 2, v42
	v_mul_lo_u32 v26, s40, v48
	s_lshl_b32 s2, s40, 4
	v_and_b32_e32 v22, 60, v19
	v_mov_b32_e32 v19, 0x1100
	v_add_u32_e32 v28, s2, v26
	v_mad_u32_u24 v77, v48, s0, v19
	v_mov_b32_e32 v19, 0x2200
	v_add_u32_e32 v30, s2, v28
	v_lshlrev_b32_e32 v45, 4, v55
	v_mov_b32_e32 v21, 0
	v_mad_u32_u24 v78, v48, s0, v19
	v_mov_b32_e32 v19, 0x3300
	v_add_u32_e32 v32, s2, v30
	v_and_b32_e32 v68, 48, v45
	s_mov_b32 s4, 0
	s_ashr_i32 s1, s40, 31
	v_mul_u32_u24_e32 v76, 0x110, v48
	v_mov_b32_e32 v23, v21
	v_ashrrev_i32_e32 v27, 31, v26
	v_add_u32_e32 v49, 16, v48
	v_ashrrev_i32_e32 v29, 31, v28
	v_add_u32_e32 v50, 32, v48
	;; [unrolled: 2-line block ×3, first 2 shown]
	v_mad_u32_u24 v80, v48, s0, v19
	v_ashrrev_i32_e32 v33, 31, v32
	v_mul_u32_u24_e32 v81, 0x110, v68
	s_mov_b64 s[2:3], 0
	s_mov_b32 s5, 0xfeffffff
	s_branch .LBB25_326
.LBB25_324:
                                        ; implicit-def: $sgpr58_sgpr59
	s_load_dwordx2 s[44:45], s[4:5], 0x5c
	s_branch .LBB25_7
.LBB25_325:
	s_mov_b64 s[2:3], -1
                                        ; implicit-def: $sgpr4
                                        ; implicit-def: $sgpr5
                                        ; implicit-def: $vgpr20
                                        ; implicit-def: $vgpr24_vgpr25
                                        ; implicit-def: $vgpr48
                                        ; implicit-def: $vgpr76
                                        ; implicit-def: $vgpr22
                                        ; implicit-def: $vgpr26_vgpr27
                                        ; implicit-def: $vgpr49
                                        ; implicit-def: $vgpr77
                                        ; implicit-def: $vgpr28_vgpr29
                                        ; implicit-def: $vgpr50
                                        ; implicit-def: $vgpr78
                                        ; implicit-def: $vgpr30_vgpr31
                                        ; implicit-def: $vgpr51
                                        ; implicit-def: $vgpr80
                                        ; implicit-def: $vgpr32_vgpr33
                                        ; implicit-def: $vgpr45
                                        ; implicit-def: $vgpr68
                                        ; implicit-def: $vgpr81
                                        ; implicit-def: $sgpr0_sgpr1
.LBB25_326:
	v_mul_u32_u24_e32 v82, 0x90, v16
	s_andn2_b64 vcc, exec, s[2:3]
	v_mov_b32_e32 v74, s4
	v_mov_b32_e32 v79, s4
	;; [unrolled: 1-line block ×3, first 2 shown]
	v_lshrrev_b32_e32 v47, 2, v42
	v_and_or_b32 v70, v42, 14, v18
	v_mbcnt_lo_u32_b32 v69, -1, 0
	v_lshlrev_b32_e32 v46, 1, v43
	v_mov_b32_e32 v73, s4
	v_mov_b32_e32 v53, s4
	;; [unrolled: 1-line block ×15, first 2 shown]
	s_cbranch_vccnz .LBB25_346
; %bb.327:
	v_lshlrev_b32_e32 v16, 1, v42
	v_mad_i64_i32 v[24:25], s[0:1], v17, s42, 0
	v_and_b32_e32 v20, 62, v16
	v_lshlrev_b64 v[16:17], 1, v[24:25]
	v_mov_b32_e32 v19, s11
	v_add_co_u32_e32 v16, vcc, s10, v16
	v_lshlrev_b32_e32 v18, 1, v20
	v_addc_co_u32_e32 v17, vcc, v19, v17, vcc
	v_add_co_u32_e32 v85, vcc, v16, v18
	v_lshrrev_b32_e32 v16, 4, v42
	v_add_u32_e32 v48, v16, v57
	v_lshlrev_b32_e32 v16, 2, v42
	v_and_b32_e32 v22, 60, v16
	v_mul_u32_u24_e32 v76, 0x110, v48
	v_lshlrev_b32_e32 v16, 2, v22
	s_movk_i32 s0, 0x110
	v_add3_u32 v87, 0, v76, v16
	v_mov_b32_e32 v16, 0x1100
	v_lshlrev_b32_e32 v45, 4, v55
	v_mad_u32_u24 v77, v48, s0, v16
	v_mov_b32_e32 v16, 0x2200
	v_and_b32_e32 v68, 48, v45
	v_and_b32_e32 v35, 0xfc, v47
	v_addc_co_u32_e32 v86, vcc, 0, v17, vcc
	v_mad_u32_u24 v78, v48, s0, v16
	v_mov_b32_e32 v16, 0x3300
	v_add_u16_e32 v17, v68, v35
	v_mad_u32_u24 v80, v48, s0, v16
	v_lshrrev_b32_e32 v16, 1, v70
	v_lshrrev_b16_e32 v17, 1, v17
	v_mul_u32_u24_e32 v16, 0x90, v16
	v_lshlrev_b32_e32 v17, 2, v17
	v_add3_u32 v36, 0, v16, v17
	v_mbcnt_hi_u32_b32 v16, -1, v69
	v_and_b32_e32 v17, 64, v16
	v_add3_u32 v84, 0, v82, v18
	v_add_u32_e32 v17, 64, v17
	v_xor_b32_e32 v18, 32, v16
	v_cmp_lt_i32_e32 vcc, v18, v17
	v_cndmask_b32_e32 v18, v16, v18, vcc
	v_lshlrev_b32_e32 v92, 2, v18
	v_xor_b32_e32 v18, 16, v16
	v_cmp_lt_i32_e32 vcc, v18, v17
	v_cndmask_b32_e32 v16, v16, v18, vcc
	v_mad_u32_u24 v34, v68, s0, 0
	v_lshlrev_b32_e32 v93, 2, v16
	v_mul_lo_u32 v16, s30, v48
	s_lshl_b32 s0, s30, 4
	v_mul_lo_u32 v26, s40, v48
	s_lshl_b32 s2, s40, 4
	v_add_u32_e32 v18, s0, v16
	v_add_u32_e32 v28, s2, v26
	;; [unrolled: 1-line block ×5, first 2 shown]
	v_mul_u32_u24_e32 v37, 0x88, v35
	v_mul_u32_u24_e32 v35, 0x110, v35
	v_or_b32_e32 v52, 3, v47
	v_mov_b32_e32 v21, 0
	v_add_u32_e32 v32, s2, v30
	v_ashrrev_i32_e32 v17, 31, v16
	v_ashrrev_i32_e32 v19, 31, v18
	;; [unrolled: 1-line block ×4, first 2 shown]
	v_or_b32_e32 v37, v37, v43
	v_mul_u32_u24_e32 v52, 0x110, v52
	v_add3_u32 v95, v34, v35, v46
	s_ashr_i32 s1, s40, 31
	v_mov_b32_e32 v23, v21
	v_ashrrev_i32_e32 v27, 31, v26
	v_add_u32_e32 v49, 16, v48
	v_add_u32_e32 v88, 0x1100, v87
	v_ashrrev_i32_e32 v29, 31, v28
	v_add_u32_e32 v50, 32, v48
	v_add_u32_e32 v89, 0x2200, v87
	;; [unrolled: 3-line block ×3, first 2 shown]
	v_ashrrev_i32_e32 v33, 31, v32
	v_mul_u32_u24_e32 v81, 0x110, v68
	v_add3_u32 v91, v34, v71, v72
	v_lshl_add_u32 v94, v37, 1, v34
	v_add3_u32 v96, v34, v52, v46
	v_add_u32_e32 v97, 32, v95
	v_add_u32_e32 v98, 64, v95
	;; [unrolled: 1-line block ×7, first 2 shown]
	s_mov_b32 s35, s34
	s_lshl_b32 s2, s74, 6
	v_mov_b32_e32 v79, 0xfeffffff
	v_lshlrev_b32_e32 v104, 2, v22
	s_mov_b32 s0, 0x3f200000
	s_mov_b32 s12, 0x3fb8aa3b
	;; [unrolled: 1-line block ×4, first 2 shown]
	v_mov_b32_e32 v105, 0xbd5c1c4e
	v_mov_b32_e32 v106, 0x3e088382
	;; [unrolled: 1-line block ×3, first 2 shown]
	s_brev_b32 s15, -2
	v_add_u32_e32 v108, 0x4400, v36
	s_mov_b32 s16, 0xc1a00000
	v_lshlrev_b64 v[34:35], 2, v[16:17]
	v_lshlrev_b64 v[36:37], 2, v[18:19]
	;; [unrolled: 1-line block ×4, first 2 shown]
	s_mov_b32 s17, 0x5040100
	v_mov_b32_e32 v109, 0x7f800000
	v_mov_b32_e32 v110, v21
	;; [unrolled: 1-line block ×18, first 2 shown]
.LBB25_328:                             ; =>This Inner Loop Header: Depth=1
	s_ashr_i32 s3, s2, 31
	s_lshl_b64 s[4:5], s[2:3], 1
	v_mov_b32_e32 v17, s5
	v_add_co_u32_e32 v16, vcc, s4, v85
	s_mul_hi_i32 s5, s2, s40
	s_mul_i32 s4, s2, s40
	s_lshl_b64 s[4:5], s[4:5], 2
	v_addc_co_u32_e32 v17, vcc, v86, v17, vcc
	s_add_u32 s3, s8, s4
	global_load_dword v111, v[16:17], off
	s_addc_u32 s4, s9, s5
	v_lshlrev_b64 v[16:17], 2, v[26:27]
	v_mov_b32_e32 v18, s4
	v_add_co_u32_e32 v16, vcc, s3, v16
	v_addc_co_u32_e32 v17, vcc, v18, v17, vcc
	v_add_co_u32_e32 v116, vcc, v16, v104
	v_addc_co_u32_e32 v117, vcc, 0, v17, vcc
	v_lshlrev_b64 v[16:17], 2, v[28:29]
	v_add_co_u32_e32 v16, vcc, s3, v16
	v_addc_co_u32_e32 v17, vcc, v18, v17, vcc
	v_add_co_u32_e32 v118, vcc, v16, v104
	v_addc_co_u32_e32 v119, vcc, 0, v17, vcc
	global_load_dwordx4 v[16:19], v[116:117], off
	global_load_dwordx4 v[112:115], v[118:119], off
	v_lshlrev_b64 v[116:117], 2, v[30:31]
	v_mov_b32_e32 v118, s4
	v_add_co_u32_e32 v116, vcc, s3, v116
	v_addc_co_u32_e32 v117, vcc, v118, v117, vcc
	v_add_co_u32_e32 v124, vcc, v116, v104
	v_addc_co_u32_e32 v125, vcc, 0, v117, vcc
	v_lshlrev_b64 v[116:117], 2, v[32:33]
	v_add_co_u32_e32 v116, vcc, s3, v116
	v_addc_co_u32_e32 v117, vcc, v118, v117, vcc
	v_add_co_u32_e32 v126, vcc, v116, v104
	v_addc_co_u32_e32 v127, vcc, 0, v117, vcc
	global_load_dwordx4 v[116:119], v[124:125], off
	global_load_dwordx4 v[120:123], v[126:127], off
	s_waitcnt vmcnt(4)
	ds_write_b32 v84, v111 offset:17408
	s_waitcnt vmcnt(3)
	ds_write_b128 v87, v[16:19]
	s_waitcnt vmcnt(2)
	ds_write_b128 v88, v[112:115]
	;; [unrolled: 2-line block ×4, first 2 shown]
	s_waitcnt lgkmcnt(0)
	s_barrier
	ds_read2_b64 v[16:19], v91 offset1:4
	s_waitcnt lgkmcnt(0)
	v_mfma_f32_16x16x16f16 v[112:115], v[16:17], v[12:13], 0
                                        ; implicit-def: $vgpr111
	v_mfma_f32_16x16x16f16 v[16:19], v[18:19], v[14:15], v[112:115]
	s_nop 7
	s_nop 1
	ds_read2_b64 v[112:115], v91 offset0:8 offset1:12
	s_waitcnt lgkmcnt(0)
	v_mfma_f32_16x16x16f16 v[16:19], v[112:113], v[8:9], v[16:19]
	v_mfma_f32_16x16x16f16 v[16:19], v[114:115], v[10:11], v[16:19]
	ds_read2_b64 v[112:115], v91 offset0:16 offset1:20
	s_waitcnt lgkmcnt(0)
	v_mfma_f32_16x16x16f16 v[16:19], v[112:113], v[4:5], v[16:19]
	v_mfma_f32_16x16x16f16 v[16:19], v[114:115], v[6:7], v[16:19]
	ds_read2_b64 v[112:115], v91 offset0:24 offset1:28
	s_waitcnt lgkmcnt(0)
	s_barrier
	v_mfma_f32_16x16x16f16 v[16:19], v[112:113], v[0:1], v[16:19]
	v_mfma_f32_16x16x16f16 v[16:19], v[114:115], v[2:3], v[16:19]
	s_nop 7
	s_nop 2
	v_cmp_nlt_f32_e64 s[4:5], |v16|, s0
	s_and_saveexec_b64 s[18:19], s[4:5]
	s_xor_b64 s[4:5], exec, s[18:19]
	s_cbranch_execz .LBB25_330
; %bb.329:                              ;   in Loop: Header=BB25_328 Depth=1
	v_add_f32_e64 v111, |v16|, |v16|
	v_mul_f32_e32 v112, 0x3fb8aa3b, v111
	v_rndne_f32_e32 v113, v112
	v_sub_f32_e32 v114, v112, v113
	v_fma_f32 v112, v111, s12, -v112
	v_fmac_f32_e32 v112, 0x32a5705f, v111
	v_add_f32_e32 v112, v114, v112
	v_cvt_i32_f32_e32 v113, v113
	v_exp_f32_e32 v112, v112
	v_cmp_ngt_f32_e32 vcc, s13, v111
	v_ldexp_f32 v112, v112, v113
	v_cndmask_b32_e32 v112, 0, v112, vcc
	v_cmp_nlt_f32_e32 vcc, s14, v111
	v_cndmask_b32_e32 v111, v109, v112, vcc
	v_add_f32_e32 v111, 1.0, v111
	v_rcp_f32_e32 v111, v111
	v_fma_f32 v111, v111, -2.0, 1.0
.LBB25_330:                             ;   in Loop: Header=BB25_328 Depth=1
	s_andn2_saveexec_b64 s[4:5], s[4:5]
; %bb.331:                              ;   in Loop: Header=BB25_328 Depth=1
	v_mul_f32_e32 v111, v16, v16
	v_mov_b32_e32 v112, 0x3ca908c9
	v_fmac_f32_e32 v112, 0xbbbac73d, v111
	v_fma_f32 v112, v111, v112, v105
	v_fma_f32 v112, v111, v112, v106
	;; [unrolled: 1-line block ×3, first 2 shown]
	v_mul_f32_e64 v112, |v16|, v112
	v_fma_f32 v111, v111, v112, |v16|
; %bb.332:                              ;   in Loop: Header=BB25_328 Depth=1
	s_or_b64 exec, exec, s[4:5]
	v_cmp_nlt_f32_e64 s[4:5], |v17|, s0
                                        ; implicit-def: $vgpr112
	s_and_saveexec_b64 s[18:19], s[4:5]
	s_xor_b64 s[4:5], exec, s[18:19]
	s_cbranch_execz .LBB25_334
; %bb.333:                              ;   in Loop: Header=BB25_328 Depth=1
	v_add_f32_e64 v112, |v17|, |v17|
	v_mul_f32_e32 v113, 0x3fb8aa3b, v112
	v_rndne_f32_e32 v114, v113
	v_sub_f32_e32 v115, v113, v114
	v_fma_f32 v113, v112, s12, -v113
	v_fmac_f32_e32 v113, 0x32a5705f, v112
	v_add_f32_e32 v113, v115, v113
	v_cvt_i32_f32_e32 v114, v114
	v_exp_f32_e32 v113, v113
	v_cmp_ngt_f32_e32 vcc, s13, v112
	v_ldexp_f32 v113, v113, v114
	v_cndmask_b32_e32 v113, 0, v113, vcc
	v_cmp_nlt_f32_e32 vcc, s14, v112
	v_cndmask_b32_e32 v112, v109, v113, vcc
	v_add_f32_e32 v112, 1.0, v112
	v_rcp_f32_e32 v112, v112
	v_fma_f32 v112, v112, -2.0, 1.0
.LBB25_334:                             ;   in Loop: Header=BB25_328 Depth=1
	s_andn2_saveexec_b64 s[4:5], s[4:5]
; %bb.335:                              ;   in Loop: Header=BB25_328 Depth=1
	v_mul_f32_e32 v112, v17, v17
	v_mov_b32_e32 v113, 0x3ca908c9
	v_fmac_f32_e32 v113, 0xbbbac73d, v112
	v_fma_f32 v113, v112, v113, v105
	v_fma_f32 v113, v112, v113, v106
	;; [unrolled: 1-line block ×3, first 2 shown]
	v_mul_f32_e64 v113, |v17|, v113
	v_fma_f32 v112, v112, v113, |v17|
; %bb.336:                              ;   in Loop: Header=BB25_328 Depth=1
	s_or_b64 exec, exec, s[4:5]
	v_cmp_nlt_f32_e64 s[4:5], |v18|, s0
                                        ; implicit-def: $vgpr113
	s_and_saveexec_b64 s[18:19], s[4:5]
	s_xor_b64 s[4:5], exec, s[18:19]
	s_cbranch_execz .LBB25_338
; %bb.337:                              ;   in Loop: Header=BB25_328 Depth=1
	v_add_f32_e64 v113, |v18|, |v18|
	v_mul_f32_e32 v114, 0x3fb8aa3b, v113
	v_rndne_f32_e32 v115, v114
	v_sub_f32_e32 v116, v114, v115
	v_fma_f32 v114, v113, s12, -v114
	v_fmac_f32_e32 v114, 0x32a5705f, v113
	v_add_f32_e32 v114, v116, v114
	v_cvt_i32_f32_e32 v115, v115
	v_exp_f32_e32 v114, v114
	v_cmp_ngt_f32_e32 vcc, s13, v113
	v_ldexp_f32 v114, v114, v115
	v_cndmask_b32_e32 v114, 0, v114, vcc
	v_cmp_nlt_f32_e32 vcc, s14, v113
	v_cndmask_b32_e32 v113, v109, v114, vcc
	v_add_f32_e32 v113, 1.0, v113
	v_rcp_f32_e32 v113, v113
	v_fma_f32 v113, v113, -2.0, 1.0
.LBB25_338:                             ;   in Loop: Header=BB25_328 Depth=1
	s_andn2_saveexec_b64 s[4:5], s[4:5]
; %bb.339:                              ;   in Loop: Header=BB25_328 Depth=1
	v_mul_f32_e32 v113, v18, v18
	v_mov_b32_e32 v114, 0x3ca908c9
	v_fmac_f32_e32 v114, 0xbbbac73d, v113
	v_fma_f32 v114, v113, v114, v105
	v_fma_f32 v114, v113, v114, v106
	v_fma_f32 v114, v113, v114, v107
	v_mul_f32_e64 v114, |v18|, v114
	v_fma_f32 v113, v113, v114, |v18|
; %bb.340:                              ;   in Loop: Header=BB25_328 Depth=1
	s_or_b64 exec, exec, s[4:5]
	v_cmp_nlt_f32_e64 s[4:5], |v19|, s0
                                        ; implicit-def: $vgpr114
	s_and_saveexec_b64 s[18:19], s[4:5]
	s_xor_b64 s[4:5], exec, s[18:19]
	s_cbranch_execz .LBB25_342
; %bb.341:                              ;   in Loop: Header=BB25_328 Depth=1
	v_add_f32_e64 v114, |v19|, |v19|
	v_mul_f32_e32 v115, 0x3fb8aa3b, v114
	v_rndne_f32_e32 v116, v115
	v_sub_f32_e32 v117, v115, v116
	v_fma_f32 v115, v114, s12, -v115
	v_fmac_f32_e32 v115, 0x32a5705f, v114
	v_add_f32_e32 v115, v117, v115
	v_cvt_i32_f32_e32 v116, v116
	v_exp_f32_e32 v115, v115
	v_cmp_ngt_f32_e32 vcc, s13, v114
	v_ldexp_f32 v115, v115, v116
	v_cndmask_b32_e32 v115, 0, v115, vcc
	v_cmp_nlt_f32_e32 vcc, s14, v114
	v_cndmask_b32_e32 v114, v109, v115, vcc
	v_add_f32_e32 v114, 1.0, v114
	v_rcp_f32_e32 v114, v114
	v_fma_f32 v114, v114, -2.0, 1.0
.LBB25_342:                             ;   in Loop: Header=BB25_328 Depth=1
	s_andn2_saveexec_b64 s[4:5], s[4:5]
; %bb.343:                              ;   in Loop: Header=BB25_328 Depth=1
	v_mul_f32_e32 v114, v19, v19
	v_mov_b32_e32 v115, 0x3ca908c9
	v_fmac_f32_e32 v115, 0xbbbac73d, v114
	v_fma_f32 v115, v114, v115, v105
	v_fma_f32 v115, v114, v115, v106
	;; [unrolled: 1-line block ×3, first 2 shown]
	v_mul_f32_e64 v115, |v19|, v115
	v_fma_f32 v114, v114, v115, |v19|
; %bb.344:                              ;   in Loop: Header=BB25_328 Depth=1
	s_or_b64 exec, exec, s[4:5]
	ds_read2_b32 v[116:117], v108 offset1:1
	v_bfi_b32 v19, s15, v114, v19
	v_bfi_b32 v17, s15, v112, v17
	;; [unrolled: 1-line block ×4, first 2 shown]
	s_waitcnt lgkmcnt(0)
	v_cvt_f32_f16_e32 v114, v116
	v_cvt_f32_f16_sdwa v115, v116 dst_sel:DWORD dst_unused:UNUSED_PAD src0_sel:WORD_1
	v_cvt_f32_f16_e32 v112, v117
	v_cvt_f32_f16_sdwa v113, v117 dst_sel:DWORD dst_unused:UNUSED_PAD src0_sel:WORD_1
	s_mul_hi_i32 s5, s2, s30
	v_pk_fma_f32 v[114:115], v[16:17], s[34:35], v[114:115]
	v_add_f32_e32 v16, 0x40051340, v114
	v_add_f32_e32 v17, 0x40051340, v115
	v_pk_fma_f32 v[18:19], v[18:19], s[34:35], v[112:113]
	v_max3_f32 v16, v79, v16, v17
	v_add_f32_e32 v17, 0x40051340, v18
	v_add_f32_e32 v111, 0x40051340, v19
	v_max3_f32 v16, v16, v17, v111
	ds_bpermute_b32 v17, v92, v16
	s_mul_i32 s4, s2, s30
	s_lshl_b64 s[4:5], s[4:5], 2
	s_add_u32 s3, s6, s4
	s_addc_u32 s4, s7, s5
	s_waitcnt lgkmcnt(0)
	v_max_f32_e32 v17, v17, v17
	v_max_f32_e32 v16, v16, v17
	ds_bpermute_b32 v17, v93, v16
	s_add_i32 s74, s74, 1
	s_add_i32 s2, s2, 64
	s_waitcnt lgkmcnt(0)
	v_max_f32_e32 v17, v17, v17
	v_max_f32_e32 v16, v16, v17
	v_pk_add_f32 v[128:129], v[114:115], v[16:17] op_sel_hi:[1,0] neg_lo:[0,1] neg_hi:[0,1]
	v_mul_f32_e32 v17, 0x3fb8aa3b, v129
	v_fma_f32 v112, v129, s12, -v17
	v_rndne_f32_e32 v113, v17
	v_fmac_f32_e32 v112, 0x32a5705f, v129
	v_sub_f32_e32 v17, v17, v113
	v_add_f32_e32 v17, v17, v112
	v_cvt_i32_f32_e32 v113, v113
	v_exp_f32_e32 v17, v17
	v_mul_f32_e32 v111, 0x3fb8aa3b, v128
	v_fma_f32 v112, v128, s12, -v111
	v_rndne_f32_e32 v114, v111
	v_fmac_f32_e32 v112, 0x32a5705f, v128
	v_sub_f32_e32 v111, v111, v114
	v_ldexp_f32 v17, v17, v113
	v_add_f32_e32 v111, v111, v112
	v_mov_b32_e32 v112, s4
	v_add_co_u32_e32 v113, vcc, s3, v34
	v_addc_co_u32_e32 v112, vcc, v112, v35, vcc
	v_add_co_u32_e32 v120, vcc, v113, v104
	v_addc_co_u32_e32 v121, vcc, 0, v112, vcc
	v_mov_b32_e32 v112, s4
	v_add_co_u32_e32 v113, vcc, s3, v36
	v_addc_co_u32_e32 v112, vcc, v112, v37, vcc
	v_add_co_u32_e32 v122, vcc, v113, v104
	v_addc_co_u32_e32 v123, vcc, 0, v112, vcc
	v_cvt_i32_f32_e32 v130, v114
	global_load_dwordx4 v[112:115], v[120:121], off
	global_load_dwordx4 v[116:119], v[122:123], off
	v_mov_b32_e32 v120, s4
	v_add_co_u32_e32 v121, vcc, s3, v38
	v_addc_co_u32_e32 v122, vcc, v120, v39, vcc
	v_add_co_u32_e32 v120, vcc, v121, v104
	v_addc_co_u32_e32 v121, vcc, 0, v122, vcc
	v_mov_b32_e32 v122, s4
	v_add_co_u32_e32 v123, vcc, s3, v40
	v_addc_co_u32_e32 v122, vcc, v122, v41, vcc
	v_add_co_u32_e32 v124, vcc, v123, v104
	v_addc_co_u32_e32 v125, vcc, 0, v122, vcc
	global_load_dwordx4 v[120:123], v[120:121], off
	s_nop 0
	global_load_dwordx4 v[124:127], v[124:125], off
	v_cmp_ngt_f32_e32 vcc, s13, v129
	v_exp_f32_e32 v111, v111
	v_cndmask_b32_e32 v17, 0, v17, vcc
	v_cmp_nlt_f32_e32 vcc, s14, v129
	v_cndmask_b32_e32 v17, v109, v17, vcc
	v_pk_add_f32 v[18:19], v[18:19], v[16:17] op_sel_hi:[1,0] neg_lo:[0,1] neg_hi:[0,1]
	v_mul_f32_e32 v129, 0x3fb8aa3b, v19
	v_ldexp_f32 v111, v111, v130
	v_fma_f32 v130, v19, s12, -v129
	v_rndne_f32_e32 v131, v129
	v_fmac_f32_e32 v130, 0x32a5705f, v19
	v_sub_f32_e32 v129, v129, v131
	v_add_f32_e32 v129, v129, v130
	v_exp_f32_e32 v129, v129
	v_cvt_i32_f32_e32 v130, v131
	v_cmp_ngt_f32_e32 vcc, s13, v128
	v_cndmask_b32_e32 v111, 0, v111, vcc
	v_cmp_nlt_f32_e32 vcc, s14, v128
	v_ldexp_f32 v128, v129, v130
	v_mul_f32_e32 v129, 0x3fb8aa3b, v18
	v_fma_f32 v130, v18, s12, -v129
	v_rndne_f32_e32 v131, v129
	v_fmac_f32_e32 v130, 0x32a5705f, v18
	v_sub_f32_e32 v129, v129, v131
	v_add_f32_e32 v129, v129, v130
	v_exp_f32_e32 v129, v129
	v_cvt_i32_f32_e32 v130, v131
	v_cndmask_b32_e32 v111, v109, v111, vcc
	v_cmp_ngt_f32_e32 vcc, s13, v19
	v_cndmask_b32_e32 v128, 0, v128, vcc
	v_cmp_nlt_f32_e32 vcc, s14, v19
	v_sub_f32_e32 v79, v79, v16
	v_cndmask_b32_e32 v19, v109, v128, vcc
	v_ldexp_f32 v128, v129, v130
	v_mul_f32_e32 v129, 0x3fb8aa3b, v79
	v_fma_f32 v130, v79, s12, -v129
	v_rndne_f32_e32 v131, v129
	v_fmac_f32_e32 v130, 0x32a5705f, v79
	v_sub_f32_e32 v129, v129, v131
	v_add_f32_e32 v129, v129, v130
	v_exp_f32_e32 v129, v129
	v_cvt_i32_f32_e32 v130, v131
	v_cmp_ngt_f32_e32 vcc, s13, v18
	v_cndmask_b32_e32 v128, 0, v128, vcc
	v_cmp_nlt_f32_e32 vcc, s14, v18
	v_cndmask_b32_e32 v18, v109, v128, vcc
	v_ldexp_f32 v129, v129, v130
	v_cmp_ngt_f32_e32 vcc, s13, v79
	v_cndmask_b32_e32 v129, 0, v129, vcc
	v_cmp_nlt_f32_e32 vcc, s14, v79
	v_cndmask_b32_e32 v129, v109, v129, vcc
	v_cmp_le_f32_e32 vcc, s16, v79
	v_cndmask_b32_e32 v129, 0, v129, vcc
	v_cvt_f16_f32_e32 v130, v129
	v_add_f32_e32 v128, v111, v17
	v_add_f32_e32 v79, v18, v128
	;; [unrolled: 1-line block ×3, first 2 shown]
	v_fmac_f32_e32 v79, v110, v129
	v_pk_mul_f16 v73, v130, v73 op_sel_hi:[0,1]
	v_pk_mul_f16 v110, v130, v64 op_sel_hi:[0,1]
	;; [unrolled: 1-line block ×6, first 2 shown]
	v_cvt_f16_f32_e32 v64, v111
	v_cvt_f16_f32_e32 v65, v19
	;; [unrolled: 1-line block ×3, first 2 shown]
	s_waitcnt vmcnt(3)
	ds_write_b128 v87, v[112:115]
	s_waitcnt vmcnt(2)
	ds_write_b128 v88, v[116:119]
	;; [unrolled: 2-line block ×4, first 2 shown]
	s_waitcnt lgkmcnt(0)
	s_barrier
	ds_read_u16 v18, v95 offset:272
	ds_read_u16 v19, v95 offset:544
	ds_read_u16 v63, v96
	ds_read_u16 v67, v96 offset:32
	ds_read_u16 v111, v96 offset:64
	;; [unrolled: 1-line block ×5, first 2 shown]
	v_pk_mul_f16 v74, v130, v74 op_sel_hi:[0,1]
	v_pk_mul_f16 v128, v130, v60 op_sel_hi:[0,1]
	v_pk_mul_f16 v132, v130, v61 op_sel_hi:[0,1]
	v_cvt_f16_f32_e32 v17, v17
	v_cvt_f32_f16_e32 v60, v73
	v_cvt_f32_f16_sdwa v61, v73 dst_sel:DWORD dst_unused:UNUSED_PAD src0_sel:WORD_1
	s_waitcnt lgkmcnt(5)
	v_perm_b32 v19, v63, v19, s17
	ds_read_u16 v63, v94
	ds_read_u16 v73, v94 offset:32
	ds_read_u16 v115, v94 offset:64
	;; [unrolled: 1-line block ×7, first 2 shown]
	s_waitcnt lgkmcnt(7)
	v_perm_b32 v18, v18, v63, s17
	v_pk_mul_f16 v131, v130, v62 op_sel_hi:[0,1]
	v_cvt_f32_f16_e32 v62, v74
	v_cvt_f32_f16_sdwa v63, v74 dst_sel:DWORD dst_unused:UNUSED_PAD src0_sel:WORD_1
	v_pack_b32_f16 v118, v64, v17
	v_pack_b32_f16 v119, v66, v65
	v_pk_mul_f16 v75, v130, v75 op_sel_hi:[0,1]
	v_cvt_f32_f16_e32 v64, v75
	v_mfma_f32_16x16x16f16 v[60:63], v[18:19], v[118:119], v[60:63]
	v_cvt_f32_f16_sdwa v65, v75 dst_sel:DWORD dst_unused:UNUSED_PAD src0_sel:WORD_1
	ds_read_u16 v18, v97 offset:272
	ds_read_u16 v19, v97 offset:544
	;; [unrolled: 1-line block ×6, first 2 shown]
	v_pk_mul_f16 v53, v130, v53 op_sel_hi:[0,1]
	s_waitcnt lgkmcnt(4)
	v_perm_b32 v19, v67, v19, s17
	v_perm_b32 v18, v18, v73, s17
	v_cvt_f32_f16_e32 v66, v53
	v_cvt_f32_f16_sdwa v67, v53 dst_sel:DWORD dst_unused:UNUSED_PAD src0_sel:WORD_1
	v_cvt_f16_f32_e32 v17, v60
	v_cvt_f16_f32_e32 v60, v61
	;; [unrolled: 1-line block ×4, first 2 shown]
	v_pk_mul_f16 v54, v130, v54 op_sel_hi:[0,1]
	v_pack_b32_f16 v73, v17, v60
	v_mfma_f32_16x16x16f16 v[60:63], v[18:19], v[118:119], v[64:67]
	s_waitcnt lgkmcnt(2)
	v_perm_b32 v19, v111, v75, s17
	v_perm_b32 v18, v74, v115, s17
	v_pk_mul_f16 v58, v130, v58 op_sel_hi:[0,1]
	v_pk_mul_f16 v56, v130, v56 op_sel_hi:[0,1]
	v_pack_b32_f16 v74, v53, v127
	s_nop 0
	v_cvt_f32_f16_sdwa v67, v56 dst_sel:DWORD dst_unused:UNUSED_PAD src0_sel:WORD_1
	ds_read_u16 v125, v96 offset:192
	ds_read_u16 v126, v96 offset:224
	s_nop 0
	v_cvt_f16_f32_e32 v17, v60
	v_cvt_f16_f32_e32 v64, v61
	;; [unrolled: 1-line block ×4, first 2 shown]
	v_cvt_f32_f16_e32 v60, v54
	v_cvt_f32_f16_sdwa v61, v54 dst_sel:DWORD dst_unused:UNUSED_PAD src0_sel:WORD_1
	v_cvt_f32_f16_e32 v62, v110
	v_cvt_f32_f16_sdwa v63, v110 dst_sel:DWORD dst_unused:UNUSED_PAD src0_sel:WORD_1
	v_pack_b32_f16 v75, v17, v64
	v_pack_b32_f16 v53, v65, v66
	v_mfma_f32_16x16x16f16 v[60:63], v[18:19], v[118:119], v[60:63]
	s_waitcnt lgkmcnt(2)
	v_perm_b32 v19, v112, v124, s17
	v_perm_b32 v18, v123, v116, s17
	v_cvt_f32_f16_e32 v64, v58
	v_cvt_f32_f16_sdwa v65, v58 dst_sel:DWORD dst_unused:UNUSED_PAD src0_sel:WORD_1
	v_cvt_f32_f16_e32 v66, v56
	v_cvt_f32_f16_e32 v110, v131
	v_cvt_f32_f16_sdwa v111, v131 dst_sel:DWORD dst_unused:UNUSED_PAD src0_sel:WORD_1
	s_nop 2
	v_cvt_f16_f32_e32 v17, v60
	v_cvt_f16_f32_e32 v54, v61
	;; [unrolled: 1-line block ×4, first 2 shown]
	v_mfma_f32_16x16x16f16 v[60:63], v[18:19], v[118:119], v[64:67]
	v_pack_b32_f16 v54, v17, v54
	v_cvt_f32_f16_e32 v112, v132
	v_pk_mul_f16 v52, v130, v52 op_sel_hi:[0,1]
	v_cmp_lt_i32_e32 vcc, s74, v83
	s_and_b64 vcc, exec, vcc
	s_nop 1
	v_pack_b32_f16 v64, v56, v58
	s_nop 2
	v_cvt_f16_f32_e32 v17, v60
	v_cvt_f16_f32_e32 v65, v61
	v_cvt_f32_f16_e32 v60, v128
	v_cvt_f32_f16_sdwa v61, v128 dst_sel:DWORD dst_unused:UNUSED_PAD src0_sel:WORD_1
	ds_read_u16 v18, v100 offset:272
	ds_read_u16 v19, v100 offset:544
	;; [unrolled: 1-line block ×8, first 2 shown]
	s_waitcnt lgkmcnt(6)
	v_perm_b32 v19, v113, v19, s17
	v_perm_b32 v18, v18, v117, s17
	v_cvt_f16_f32_e32 v66, v62
	v_cvt_f16_f32_e32 v67, v63
	v_cvt_f32_f16_e32 v62, v129
	v_cvt_f32_f16_sdwa v63, v129 dst_sel:DWORD dst_unused:UNUSED_PAD src0_sel:WORD_1
	v_cvt_f32_f16_sdwa v113, v132 dst_sel:DWORD dst_unused:UNUSED_PAD src0_sel:WORD_1
	v_pack_b32_f16 v58, v17, v65
	v_mfma_f32_16x16x16f16 v[60:63], v[18:19], v[118:119], v[60:63]
	s_waitcnt lgkmcnt(4)
	v_perm_b32 v19, v114, v116, s17
	v_perm_b32 v18, v115, v120, s17
	v_pack_b32_f16 v56, v66, v67
	v_cvt_f32_f16_e32 v114, v135
	v_cvt_f32_f16_sdwa v115, v135 dst_sel:DWORD dst_unused:UNUSED_PAD src0_sel:WORD_1
	v_cvt_f32_f16_e32 v116, v52
	v_cvt_f32_f16_sdwa v117, v52 dst_sel:DWORD dst_unused:UNUSED_PAD src0_sel:WORD_1
	v_mfma_f32_16x16x16f16 v[110:113], v[18:19], v[118:119], v[110:113]
	s_nop 1
	v_cvt_f16_f32_e32 v17, v60
	v_cvt_f16_f32_e32 v60, v61
	s_waitcnt lgkmcnt(2)
	v_perm_b32 v19, v125, v124, s17
	v_perm_b32 v18, v123, v121, s17
	v_cvt_f16_f32_e32 v61, v62
	v_cvt_f16_f32_e32 v62, v63
	v_pack_b32_f16 v60, v17, v60
	s_nop 0
	v_cvt_f16_f32_e32 v17, v110
	v_cvt_f16_f32_e32 v63, v111
	;; [unrolled: 1-line block ×4, first 2 shown]
	v_cvt_f32_f16_e32 v110, v133
	v_cvt_f32_f16_sdwa v111, v133 dst_sel:DWORD dst_unused:UNUSED_PAD src0_sel:WORD_1
	v_cvt_f32_f16_e32 v112, v134
	v_cvt_f32_f16_sdwa v113, v134 dst_sel:DWORD dst_unused:UNUSED_PAD src0_sel:WORD_1
	v_pack_b32_f16 v65, v61, v62
	v_pack_b32_f16 v62, v17, v63
	v_mfma_f32_16x16x16f16 v[110:113], v[18:19], v[118:119], v[110:113]
	s_waitcnt lgkmcnt(0)
	v_perm_b32 v19, v126, v128, s17
	v_perm_b32 v18, v127, v122, s17
	v_pack_b32_f16 v61, v66, v67
	s_barrier
	s_nop 5
	v_cvt_f16_f32_e32 v17, v110
	v_cvt_f16_f32_e32 v52, v111
	v_cvt_f16_f32_e32 v63, v112
	v_cvt_f16_f32_e32 v66, v113
	v_mfma_f32_16x16x16f16 v[110:113], v[18:19], v[118:119], v[114:117]
	v_pack_b32_f16 v67, v17, v52
	v_pack_b32_f16 v66, v63, v66
	s_nop 7
	s_nop 0
	v_cvt_f16_f32_e32 v18, v110
	v_cvt_f16_f32_e32 v19, v111
	;; [unrolled: 1-line block ×4, first 2 shown]
	v_pack_b32_f16 v63, v18, v19
	v_pack_b32_f16 v52, v110, v111
	s_cbranch_vccz .LBB25_346
; %bb.345:                              ;   in Loop: Header=BB25_328 Depth=1
	v_mov_b32_e32 v110, v79
	v_mov_b32_e32 v79, v16
	s_branch .LBB25_328
.LBB25_346:
	s_lshl_b32 s2, s74, 6
	s_ashr_i32 s3, s2, 31
	s_lshl_b64 s[4:5], s[2:3], 1
	s_add_u32 s0, s10, s4
	v_lshlrev_b64 v[18:19], 1, v[24:25]
	s_addc_u32 s4, s11, s5
	v_add_co_u32_e32 v24, vcc, s0, v18
	s_mul_i32 s0, s40, s3
	s_mul_hi_u32 s3, s40, s2
	v_mov_b32_e32 v17, s4
	s_add_i32 s0, s3, s0
	s_mul_i32 s1, s1, s2
	v_addc_co_u32_e32 v17, vcc, v17, v19, vcc
	v_lshlrev_b64 v[18:19], 1, v[20:21]
	s_add_i32 s1, s0, s1
	s_mul_i32 s0, s40, s2
	v_add_co_u32_e32 v18, vcc, v24, v18
	s_lshl_b64 s[0:1], s[0:1], 2
	v_addc_co_u32_e32 v19, vcc, v17, v19, vcc
	s_add_u32 s0, s8, s0
	global_load_dword v83, v[18:19], off
	s_addc_u32 s1, s9, s1
	v_lshlrev_b64 v[18:19], 2, v[26:27]
	v_mov_b32_e32 v17, s1
	v_add_co_u32_e32 v21, vcc, s0, v18
	v_addc_co_u32_e32 v17, vcc, v17, v19, vcc
	v_lshlrev_b64 v[18:19], 2, v[22:23]
	v_add_co_u32_e32 v38, vcc, v21, v18
	v_addc_co_u32_e32 v39, vcc, v17, v19, vcc
	v_lshlrev_b64 v[24:25], 2, v[28:29]
	v_mov_b32_e32 v17, s1
	v_add_co_u32_e32 v21, vcc, s0, v24
	v_addc_co_u32_e32 v17, vcc, v17, v25, vcc
	v_add_co_u32_e32 v28, vcc, v21, v18
	v_addc_co_u32_e32 v29, vcc, v17, v19, vcc
	global_load_dwordx4 v[24:27], v[38:39], off
	global_load_dwordx4 v[34:37], v[28:29], off
	v_lshlrev_b64 v[28:29], 2, v[30:31]
	v_mov_b32_e32 v17, s1
	v_add_co_u32_e32 v21, vcc, s0, v28
	v_addc_co_u32_e32 v17, vcc, v17, v29, vcc
	v_add_co_u32_e32 v84, vcc, v21, v18
	v_addc_co_u32_e32 v85, vcc, v17, v19, vcc
	v_lshlrev_b64 v[28:29], 2, v[32:33]
	v_mov_b32_e32 v17, s1
	v_add_co_u32_e32 v21, vcc, s0, v28
	v_addc_co_u32_e32 v17, vcc, v17, v29, vcc
	v_add_co_u32_e32 v32, vcc, v21, v18
	v_addc_co_u32_e32 v33, vcc, v17, v19, vcc
	global_load_dwordx4 v[28:31], v[84:85], off
	global_load_dwordx4 v[38:41], v[32:33], off
	v_lshlrev_b32_e32 v20, 1, v20
	v_add_u32_e32 v17, 0, v81
	v_lshlrev_b32_e32 v23, 2, v22
	v_add3_u32 v32, 0, v82, v20
	v_add3_u32 v33, v17, v71, v72
	;; [unrolled: 1-line block ×6, first 2 shown]
	s_mov_b32 s0, 0x3f200000
	s_waitcnt vmcnt(4)
	ds_write_b32 v32, v83 offset:17408
	s_waitcnt vmcnt(3)
	ds_write_b128 v20, v[24:27]
	s_waitcnt vmcnt(2)
	ds_write_b128 v21, v[34:37]
	;; [unrolled: 2-line block ×4, first 2 shown]
	s_waitcnt lgkmcnt(0)
	s_barrier
	ds_read2_b64 v[24:27], v33 offset1:4
	s_waitcnt lgkmcnt(0)
	v_mfma_f32_16x16x16f16 v[28:31], v[24:25], v[12:13], 0
	v_mfma_f32_16x16x16f16 v[12:15], v[26:27], v[14:15], v[28:31]
	ds_read2_b64 v[24:27], v33 offset0:8 offset1:12
	s_waitcnt lgkmcnt(0)
	v_mfma_f32_16x16x16f16 v[12:15], v[24:25], v[8:9], v[12:15]
	v_mfma_f32_16x16x16f16 v[8:11], v[26:27], v[10:11], v[12:15]
	s_nop 7
	s_nop 1
	ds_read2_b64 v[12:15], v33 offset0:16 offset1:20
	s_waitcnt lgkmcnt(0)
	v_mfma_f32_16x16x16f16 v[8:11], v[12:13], v[4:5], v[8:11]
	v_mfma_f32_16x16x16f16 v[4:7], v[14:15], v[6:7], v[8:11]
	s_nop 7
	s_nop 1
	ds_read2_b64 v[8:11], v33 offset0:24 offset1:28
	s_waitcnt lgkmcnt(0)
	v_mfma_f32_16x16x16f16 v[4:7], v[8:9], v[0:1], v[4:7]
	s_barrier
	v_mfma_f32_16x16x16f16 v[0:3], v[10:11], v[2:3], v[4:7]
                                        ; implicit-def: $vgpr4
	s_nop 7
	s_nop 2
	v_cmp_nlt_f32_e64 s[0:1], |v0|, s0
	s_and_saveexec_b64 s[4:5], s[0:1]
	s_xor_b64 s[0:1], exec, s[4:5]
	s_cbranch_execz .LBB25_348
; %bb.347:
	v_add_f32_e64 v4, |v0|, |v0|
	v_mul_f32_e32 v5, 0x3fb8aa3b, v4
	s_mov_b32 s3, 0x3fb8aa3b
	v_rndne_f32_e32 v6, v5
	v_sub_f32_e32 v7, v5, v6
	v_fma_f32 v5, v4, s3, -v5
	v_fmac_f32_e32 v5, 0x32a5705f, v4
	v_add_f32_e32 v5, v7, v5
	v_exp_f32_e32 v5, v5
	v_cvt_i32_f32_e32 v6, v6
	s_mov_b32 s3, 0xc2ce8ed0
	v_cmp_ngt_f32_e32 vcc, s3, v4
	s_mov_b32 s3, 0x42b17218
	v_ldexp_f32 v5, v5, v6
	v_cndmask_b32_e32 v5, 0, v5, vcc
	v_mov_b32_e32 v6, 0x7f800000
	v_cmp_nlt_f32_e32 vcc, s3, v4
	v_cndmask_b32_e32 v4, v6, v5, vcc
	v_add_f32_e32 v4, 1.0, v4
	v_rcp_f32_e32 v4, v4
	v_fma_f32 v4, v4, -2.0, 1.0
.LBB25_348:
	s_andn2_saveexec_b64 s[0:1], s[0:1]
; %bb.349:
	v_mul_f32_e32 v4, v0, v0
	v_mov_b32_e32 v5, 0x3ca908c9
	v_fmac_f32_e32 v5, 0xbbbac73d, v4
	v_mov_b32_e32 v6, 0xbd5c1c4e
	v_fmac_f32_e32 v6, v4, v5
	;; [unrolled: 2-line block ×4, first 2 shown]
	v_mul_f32_e64 v5, |v0|, v6
	v_fma_f32 v4, v4, v5, |v0|
; %bb.350:
	s_or_b64 exec, exec, s[0:1]
	s_mov_b32 s0, 0x3f200000
	v_cmp_nlt_f32_e64 s[0:1], |v1|, s0
                                        ; implicit-def: $vgpr5
	s_and_saveexec_b64 s[4:5], s[0:1]
	s_xor_b64 s[0:1], exec, s[4:5]
	s_cbranch_execz .LBB25_352
; %bb.351:
	v_add_f32_e64 v5, |v1|, |v1|
	v_mul_f32_e32 v6, 0x3fb8aa3b, v5
	s_mov_b32 s3, 0x3fb8aa3b
	v_rndne_f32_e32 v7, v6
	v_sub_f32_e32 v8, v6, v7
	v_fma_f32 v6, v5, s3, -v6
	v_fmac_f32_e32 v6, 0x32a5705f, v5
	v_add_f32_e32 v6, v8, v6
	v_exp_f32_e32 v6, v6
	v_cvt_i32_f32_e32 v7, v7
	s_mov_b32 s3, 0xc2ce8ed0
	v_cmp_ngt_f32_e32 vcc, s3, v5
	s_mov_b32 s3, 0x42b17218
	v_ldexp_f32 v6, v6, v7
	v_cndmask_b32_e32 v6, 0, v6, vcc
	v_mov_b32_e32 v7, 0x7f800000
	v_cmp_nlt_f32_e32 vcc, s3, v5
	v_cndmask_b32_e32 v5, v7, v6, vcc
	v_add_f32_e32 v5, 1.0, v5
	v_rcp_f32_e32 v5, v5
	v_fma_f32 v5, v5, -2.0, 1.0
.LBB25_352:
	s_andn2_saveexec_b64 s[0:1], s[0:1]
; %bb.353:
	v_mul_f32_e32 v5, v1, v1
	v_mov_b32_e32 v6, 0x3ca908c9
	v_fmac_f32_e32 v6, 0xbbbac73d, v5
	v_mov_b32_e32 v7, 0xbd5c1c4e
	v_fmac_f32_e32 v7, v5, v6
	;; [unrolled: 2-line block ×4, first 2 shown]
	v_mul_f32_e64 v6, |v1|, v7
	v_fma_f32 v5, v5, v6, |v1|
; %bb.354:
	s_or_b64 exec, exec, s[0:1]
	s_mov_b32 s0, 0x3f200000
	v_cmp_nlt_f32_e64 s[0:1], |v2|, s0
                                        ; implicit-def: $vgpr6
	s_and_saveexec_b64 s[4:5], s[0:1]
	s_xor_b64 s[0:1], exec, s[4:5]
	s_cbranch_execz .LBB25_356
; %bb.355:
	v_add_f32_e64 v6, |v2|, |v2|
	v_mul_f32_e32 v7, 0x3fb8aa3b, v6
	s_mov_b32 s3, 0x3fb8aa3b
	v_rndne_f32_e32 v8, v7
	v_sub_f32_e32 v9, v7, v8
	v_fma_f32 v7, v6, s3, -v7
	v_fmac_f32_e32 v7, 0x32a5705f, v6
	v_add_f32_e32 v7, v9, v7
	v_exp_f32_e32 v7, v7
	v_cvt_i32_f32_e32 v8, v8
	s_mov_b32 s3, 0xc2ce8ed0
	v_cmp_ngt_f32_e32 vcc, s3, v6
	s_mov_b32 s3, 0x42b17218
	v_ldexp_f32 v7, v7, v8
	v_cndmask_b32_e32 v7, 0, v7, vcc
	v_mov_b32_e32 v8, 0x7f800000
	v_cmp_nlt_f32_e32 vcc, s3, v6
	v_cndmask_b32_e32 v6, v8, v7, vcc
	v_add_f32_e32 v6, 1.0, v6
	v_rcp_f32_e32 v6, v6
	v_fma_f32 v6, v6, -2.0, 1.0
.LBB25_356:
	s_andn2_saveexec_b64 s[0:1], s[0:1]
; %bb.357:
	v_mul_f32_e32 v6, v2, v2
	v_mov_b32_e32 v7, 0x3ca908c9
	v_fmac_f32_e32 v7, 0xbbbac73d, v6
	v_mov_b32_e32 v8, 0xbd5c1c4e
	v_fmac_f32_e32 v8, v6, v7
	;; [unrolled: 2-line block ×4, first 2 shown]
	v_mul_f32_e64 v7, |v2|, v8
	v_fma_f32 v6, v6, v7, |v2|
; %bb.358:
	s_or_b64 exec, exec, s[0:1]
	s_mov_b32 s0, 0x3f200000
	v_cmp_nlt_f32_e64 s[0:1], |v3|, s0
                                        ; implicit-def: $vgpr7
	s_and_saveexec_b64 s[4:5], s[0:1]
	s_xor_b64 s[0:1], exec, s[4:5]
	s_cbranch_execz .LBB25_360
; %bb.359:
	v_add_f32_e64 v7, |v3|, |v3|
	v_mul_f32_e32 v8, 0x3fb8aa3b, v7
	s_mov_b32 s3, 0x3fb8aa3b
	v_rndne_f32_e32 v9, v8
	v_sub_f32_e32 v10, v8, v9
	v_fma_f32 v8, v7, s3, -v8
	v_fmac_f32_e32 v8, 0x32a5705f, v7
	v_add_f32_e32 v8, v10, v8
	v_exp_f32_e32 v8, v8
	v_cvt_i32_f32_e32 v9, v9
	s_mov_b32 s3, 0xc2ce8ed0
	v_cmp_ngt_f32_e32 vcc, s3, v7
	s_mov_b32 s3, 0x42b17218
	v_ldexp_f32 v8, v8, v9
	v_cndmask_b32_e32 v8, 0, v8, vcc
	v_mov_b32_e32 v9, 0x7f800000
	v_cmp_nlt_f32_e32 vcc, s3, v7
	v_cndmask_b32_e32 v7, v9, v8, vcc
	v_add_f32_e32 v7, 1.0, v7
	v_rcp_f32_e32 v7, v7
	v_fma_f32 v7, v7, -2.0, 1.0
.LBB25_360:
	s_andn2_saveexec_b64 s[0:1], s[0:1]
; %bb.361:
	v_mul_f32_e32 v7, v3, v3
	v_mov_b32_e32 v8, 0x3ca908c9
	v_fmac_f32_e32 v8, 0xbbbac73d, v7
	v_mov_b32_e32 v9, 0xbd5c1c4e
	v_fmac_f32_e32 v9, v7, v8
	;; [unrolled: 2-line block ×4, first 2 shown]
	v_mul_f32_e64 v8, |v3|, v9
	v_fma_f32 v7, v7, v8, |v3|
; %bb.362:
	s_or_b64 exec, exec, s[0:1]
	s_brev_b32 s0, -2
	v_bfi_b32 v1, s0, v5, v1
	v_bfi_b32 v0, s0, v4, v0
	;; [unrolled: 1-line block ×4, first 2 shown]
	v_and_b32_e32 v30, 0xfc, v47
	v_lshrrev_b32_e32 v4, 1, v70
	s_movk_i32 s0, 0x90
	v_mad_u32_u24 v4, v4, s0, 0
	v_add_lshl_u32 v5, v68, v30, 1
	s_movk_i32 s0, 0x4400
	v_add3_u32 v4, v4, v5, s0
	ds_read2_b32 v[4:5], v4 offset1:1
	v_mbcnt_hi_u32_b32 v10, -1, v69
	v_and_b32_e32 v6, 64, v10
	v_add_u32_e32 v11, 64, v6
	v_xor_b32_e32 v6, 32, v10
	v_cmp_lt_i32_e32 vcc, v6, v11
	v_cndmask_b32_e32 v8, v10, v6, vcc
	v_lshlrev_b32_e32 v33, 2, v8
	s_waitcnt lgkmcnt(0)
	v_cvt_f32_f16_e32 v8, v4
	v_cvt_f32_f16_sdwa v9, v4 dst_sel:DWORD dst_unused:UNUSED_PAD src0_sel:WORD_1
	v_cvt_f32_f16_e32 v6, v5
	v_cvt_f32_f16_sdwa v7, v5 dst_sel:DWORD dst_unused:UNUSED_PAD src0_sel:WORD_1
	s_mov_b32 s0, 0x3fb8aa3b
	v_pk_fma_f32 v[0:1], v[0:1], s[34:35], v[8:9] op_sel_hi:[1,0,1]
	v_add_f32_e32 v4, 0x40051340, v0
	v_pk_fma_f32 v[24:25], v[2:3], s[34:35], v[6:7] op_sel_hi:[1,0,1]
	v_add_f32_e32 v5, 0x40051340, v1
	v_add_f32_e32 v2, 0x40051340, v24
	;; [unrolled: 1-line block ×3, first 2 shown]
	v_max3_f32 v4, v16, v4, v5
	v_max3_f32 v2, v4, v2, v3
	ds_bpermute_b32 v3, v33, v2
	v_xor_b32_e32 v4, 16, v10
	v_cmp_lt_i32_e32 vcc, v4, v11
	v_cndmask_b32_e32 v4, v10, v4, vcc
	v_lshlrev_b32_e32 v35, 2, v4
	s_waitcnt lgkmcnt(0)
	v_max_f32_e32 v3, v3, v3
	v_max_f32_e32 v2, v2, v3
	ds_bpermute_b32 v3, v35, v2
	s_mul_hi_i32 s3, s2, s30
	s_mul_i32 s2, s2, s30
	s_lshl_b64 s[2:3], s[2:3], 2
	s_add_u32 s1, s6, s2
	s_waitcnt lgkmcnt(0)
	v_max_f32_e32 v3, v3, v3
	v_max_f32_e32 v32, v2, v3
	v_pk_add_f32 v[26:27], v[0:1], v[32:33] op_sel_hi:[1,0] neg_lo:[0,1] neg_hi:[0,1]
	v_mul_f32_e32 v0, 0x3fb8aa3b, v27
	v_fma_f32 v1, v27, s0, -v0
	v_rndne_f32_e32 v2, v0
	v_fmac_f32_e32 v1, 0x32a5705f, v27
	v_sub_f32_e32 v0, v0, v2
	v_add_f32_e32 v0, v0, v1
	v_exp_f32_e32 v31, v0
	v_mul_lo_u32 v0, v48, s30
	v_ashrrev_i32_e32 v1, 31, v0
	s_addc_u32 s2, s7, s3
	v_lshlrev_b64 v[0:1], 2, v[0:1]
	v_cvt_i32_f32_e32 v34, v2
	v_mov_b32_e32 v2, s2
	v_add_co_u32_e32 v0, vcc, s1, v0
	v_addc_co_u32_e32 v1, vcc, v2, v1, vcc
	v_add_co_u32_e32 v8, vcc, v0, v18
	v_mul_lo_u32 v0, v49, s30
	v_addc_co_u32_e32 v9, vcc, v1, v19, vcc
	v_ashrrev_i32_e32 v1, 31, v0
	v_lshlrev_b64 v[0:1], 2, v[0:1]
	v_add_co_u32_e32 v0, vcc, s1, v0
	v_addc_co_u32_e32 v1, vcc, v2, v1, vcc
	v_add_co_u32_e32 v10, vcc, v0, v18
	v_addc_co_u32_e32 v11, vcc, v1, v19, vcc
	global_load_dwordx4 v[0:3], v[8:9], off
	global_load_dwordx4 v[4:7], v[10:11], off
	v_mul_lo_u32 v8, v50, s30
	v_ashrrev_i32_e32 v9, 31, v8
	v_lshlrev_b64 v[8:9], 2, v[8:9]
	v_mov_b32_e32 v10, s2
	v_add_co_u32_e32 v8, vcc, s1, v8
	v_addc_co_u32_e32 v9, vcc, v10, v9, vcc
	v_add_co_u32_e32 v28, vcc, v8, v18
	v_mul_lo_u32 v8, v51, s30
	v_addc_co_u32_e32 v29, vcc, v9, v19, vcc
	v_ashrrev_i32_e32 v9, 31, v8
	v_lshlrev_b64 v[8:9], 2, v[8:9]
	v_add_co_u32_e32 v8, vcc, s1, v8
	v_addc_co_u32_e32 v9, vcc, v10, v9, vcc
	v_add_co_u32_e32 v18, vcc, v8, v18
	v_addc_co_u32_e32 v19, vcc, v9, v19, vcc
	global_load_dwordx4 v[8:11], v[28:29], off
	global_load_dwordx4 v[12:15], v[18:19], off
	v_mul_f32_e32 v19, 0x3fb8aa3b, v26
	v_fma_f32 v28, v26, s0, -v19
	v_rndne_f32_e32 v29, v19
	v_fmac_f32_e32 v28, 0x32a5705f, v26
	v_sub_f32_e32 v19, v19, v29
	v_add_f32_e32 v19, v19, v28
	v_exp_f32_e32 v19, v19
	v_cvt_i32_f32_e32 v28, v29
	s_mov_b32 s1, 0xc2ce8ed0
	v_ldexp_f32 v18, v31, v34
	v_cmp_ngt_f32_e32 vcc, s1, v27
	s_mov_b32 s2, 0x42b17218
	v_cndmask_b32_e32 v18, 0, v18, vcc
	v_mov_b32_e32 v29, 0x7f800000
	v_cmp_nlt_f32_e32 vcc, s2, v27
	v_cndmask_b32_e32 v27, v29, v18, vcc
	v_ldexp_f32 v28, v19, v28
	v_pk_add_f32 v[18:19], v[24:25], v[32:33] op_sel_hi:[1,0] neg_lo:[0,1] neg_hi:[0,1]
	v_mul_f32_e32 v24, 0x3fb8aa3b, v19
	v_fma_f32 v25, v19, s0, -v24
	v_rndne_f32_e32 v31, v24
	v_fmac_f32_e32 v25, 0x32a5705f, v19
	v_sub_f32_e32 v24, v24, v31
	v_add_f32_e32 v24, v24, v25
	v_exp_f32_e32 v24, v24
	v_cvt_i32_f32_e32 v25, v31
	v_cmp_ngt_f32_e32 vcc, s1, v26
	v_cndmask_b32_e32 v28, 0, v28, vcc
	v_cmp_nlt_f32_e32 vcc, s2, v26
	v_ldexp_f32 v24, v24, v25
	v_mul_f32_e32 v25, 0x3fb8aa3b, v18
	v_cndmask_b32_e32 v26, v29, v28, vcc
	v_fma_f32 v28, v18, s0, -v25
	v_rndne_f32_e32 v31, v25
	v_fmac_f32_e32 v28, 0x32a5705f, v18
	v_sub_f32_e32 v25, v25, v31
	v_sub_f32_e32 v16, v16, v32
	v_add_f32_e32 v25, v25, v28
	v_cvt_i32_f32_e32 v28, v31
	v_mul_f32_e32 v31, 0x3fb8aa3b, v16
	v_fma_f32 v34, v16, s0, -v31
	v_rndne_f32_e32 v36, v31
	v_fmac_f32_e32 v34, 0x32a5705f, v16
	v_sub_f32_e32 v31, v31, v36
	v_add_f32_e32 v31, v31, v34
	v_exp_f32_e32 v31, v31
	v_cvt_i32_f32_e32 v34, v36
	v_cmp_ngt_f32_e32 vcc, s1, v19
	v_cndmask_b32_e32 v24, 0, v24, vcc
	v_cmp_nlt_f32_e32 vcc, s2, v19
	v_cndmask_b32_e32 v38, v29, v24, vcc
	v_ldexp_f32 v24, v31, v34
	v_cmp_ngt_f32_e32 vcc, s1, v16
	v_cndmask_b32_e32 v24, 0, v24, vcc
	v_cmp_nlt_f32_e32 vcc, s2, v16
	s_mov_b32 s0, 0xc1a00000
	v_exp_f32_e32 v25, v25
	v_cndmask_b32_e32 v24, v29, v24, vcc
	v_cmp_le_f32_e32 vcc, s0, v16
	v_cndmask_b32_e32 v31, 0, v24, vcc
	v_cvt_f16_f32_e32 v34, v31
	v_ldexp_f32 v19, v25, v28
	v_cmp_ngt_f32_e32 vcc, s1, v18
	v_cndmask_b32_e32 v16, 0, v19, vcc
	v_cmp_nlt_f32_e32 vcc, s2, v18
	s_waitcnt vmcnt(3)
	ds_write_b128 v20, v[0:3]
	s_waitcnt vmcnt(2)
	ds_write_b128 v21, v[4:7]
	;; [unrolled: 2-line block ×4, first 2 shown]
	v_mul_u32_u24_e32 v0, 0x88, v30
	v_mul_u32_u24_e32 v1, 0x110, v30
	v_or_b32_e32 v2, 3, v47
	v_cndmask_b32_e32 v24, v29, v16, vcc
	v_pk_mul_f16 v16, v34, v73 op_sel_hi:[0,1]
	v_or_b32_e32 v0, v0, v43
	v_mul_u32_u24_e32 v2, 0x110, v2
	v_add3_u32 v4, v17, v1, v46
	s_waitcnt lgkmcnt(0)
	s_barrier
	v_lshl_add_u32 v3, v0, 1, v17
	v_add3_u32 v5, v17, v2, v46
	v_cvt_f32_f16_e32 v0, v16
	v_cvt_f32_f16_sdwa v1, v16 dst_sel:DWORD dst_unused:UNUSED_PAD src0_sel:WORD_1
	s_mov_b32 s0, 0x5040100
	ds_read_u16 v6, v4 offset:544
	ds_read_u16 v7, v4 offset:576
	;; [unrolled: 1-line block ×8, first 2 shown]
	ds_read_u16 v8, v5
	ds_read_u16 v9, v5 offset:32
	ds_read_u16 v12, v5 offset:64
	;; [unrolled: 1-line block ×7, first 2 shown]
	v_pk_mul_f16 v18, v34, v74 op_sel_hi:[0,1]
	v_cvt_f16_f32_e32 v25, v27
	v_cvt_f16_f32_e32 v28, v26
	;; [unrolled: 1-line block ×4, first 2 shown]
	s_waitcnt lgkmcnt(7)
	v_perm_b32 v5, v8, v6, s0
	ds_read_u16 v6, v3
	ds_read_u16 v8, v3 offset:32
	ds_read_u16 v14, v3 offset:64
	;; [unrolled: 1-line block ×15, first 2 shown]
	s_waitcnt lgkmcnt(7)
	v_perm_b32 v4, v3, v6, s0
	v_cvt_f32_f16_e32 v2, v18
	v_cvt_f32_f16_sdwa v3, v18 dst_sel:DWORD dst_unused:UNUSED_PAD src0_sel:WORD_1
	v_pk_mul_f16 v19, v34, v75 op_sel_hi:[0,1]
	v_pk_mul_f16 v13, v34, v53 op_sel_hi:[0,1]
	v_pack_b32_f16 v36, v28, v25
	v_pack_b32_f16 v37, v37, v29
	v_perm_b32 v9, v9, v7, s0
	s_waitcnt lgkmcnt(6)
	v_perm_b32 v8, v10, v8, s0
	v_mfma_f32_16x16x16f16 v[0:3], v[4:5], v[36:37], v[0:3]
	v_cvt_f32_f16_e32 v4, v19
	v_cvt_f32_f16_sdwa v5, v19 dst_sel:DWORD dst_unused:UNUSED_PAD src0_sel:WORD_1
	v_cvt_f32_f16_e32 v6, v13
	v_cvt_f32_f16_sdwa v7, v13 dst_sel:DWORD dst_unused:UNUSED_PAD src0_sel:WORD_1
	v_pk_mul_f16 v10, v34, v54 op_sel_hi:[0,1]
	v_pk_mul_f16 v18, v34, v64 op_sel_hi:[0,1]
	v_perm_b32 v13, v12, v11, s0
	s_waitcnt lgkmcnt(5)
	v_perm_b32 v12, v17, v14, s0
	v_mfma_f32_16x16x16f16 v[4:7], v[8:9], v[36:37], v[4:7]
	v_cvt_f32_f16_e32 v8, v10
	v_cvt_f32_f16_sdwa v9, v10 dst_sel:DWORD dst_unused:UNUSED_PAD src0_sel:WORD_1
	v_cvt_f32_f16_e32 v10, v18
	v_cvt_f32_f16_sdwa v11, v18 dst_sel:DWORD dst_unused:UNUSED_PAD src0_sel:WORD_1
	v_pk_mul_f16 v14, v34, v58 op_sel_hi:[0,1]
	v_pk_mul_f16 v18, v34, v56 op_sel_hi:[0,1]
	;; [unrolled: 10-line block ×3, first 2 shown]
	v_perm_b32 v21, v21, v20, s0
	s_waitcnt lgkmcnt(3)
	v_perm_b32 v20, v68, v47, s0
	v_mfma_f32_16x16x16f16 v[12:15], v[16:17], v[36:37], v[12:15]
	v_cvt_f32_f16_e32 v16, v18
	v_cvt_f32_f16_sdwa v17, v18 dst_sel:DWORD dst_unused:UNUSED_PAD src0_sel:WORD_1
	v_cvt_f32_f16_e32 v18, v19
	v_cvt_f32_f16_sdwa v19, v19 dst_sel:DWORD dst_unused:UNUSED_PAD src0_sel:WORD_1
	v_add_f32_e32 v22, v26, v27
	v_add_f32_e32 v26, v24, v22
	v_pk_mul_f16 v22, v34, v62 op_sel_hi:[0,1]
	v_pk_mul_f16 v27, v34, v61 op_sel_hi:[0,1]
	v_perm_b32 v25, v40, v23, s0
	s_waitcnt lgkmcnt(2)
	v_perm_b32 v24, v69, v48, s0
	v_mfma_f32_16x16x16f16 v[16:19], v[20:21], v[36:37], v[16:19]
	v_cvt_f32_f16_e32 v20, v22
	v_cvt_f32_f16_sdwa v21, v22 dst_sel:DWORD dst_unused:UNUSED_PAD src0_sel:WORD_1
	v_cvt_f32_f16_e32 v22, v27
	v_cvt_f32_f16_sdwa v23, v27 dst_sel:DWORD dst_unused:UNUSED_PAD src0_sel:WORD_1
	v_add_f32_e32 v40, v38, v26
	v_pk_mul_f16 v26, v34, v67 op_sel_hi:[0,1]
	v_pk_mul_f16 v27, v34, v66 op_sel_hi:[0,1]
	v_perm_b32 v29, v41, v30, s0
	s_waitcnt lgkmcnt(1)
	v_perm_b32 v28, v70, v49, s0
	v_mfma_f32_16x16x16f16 v[20:23], v[24:25], v[36:37], v[20:23]
	v_cvt_f32_f16_e32 v24, v26
	v_cvt_f32_f16_sdwa v25, v26 dst_sel:DWORD dst_unused:UNUSED_PAD src0_sel:WORD_1
	v_cvt_f32_f16_e32 v26, v27
	v_cvt_f32_f16_sdwa v27, v27 dst_sel:DWORD dst_unused:UNUSED_PAD src0_sel:WORD_1
	v_fmac_f32_e32 v40, v79, v31
	v_pk_mul_f16 v30, v34, v63 op_sel_hi:[0,1]
	v_pk_mul_f16 v31, v34, v52 op_sel_hi:[0,1]
	v_perm_b32 v39, v46, v39, s0
	s_waitcnt lgkmcnt(0)
	v_perm_b32 v38, v71, v50, s0
	v_mfma_f32_16x16x16f16 v[24:27], v[28:29], v[36:37], v[24:27]
	v_cvt_f32_f16_e32 v28, v30
	v_cvt_f32_f16_sdwa v29, v30 dst_sel:DWORD dst_unused:UNUSED_PAD src0_sel:WORD_1
	v_cvt_f32_f16_e32 v30, v31
	v_cvt_f32_f16_sdwa v31, v31 dst_sel:DWORD dst_unused:UNUSED_PAD src0_sel:WORD_1
	ds_bpermute_b32 v34, v33, v40
	s_movk_i32 s4, 0x110
	v_cmp_gt_u32_e64 s[0:1], 16, v42
	v_mfma_f32_16x16x16f16 v[28:31], v[38:39], v[36:37], v[28:31]
	s_waitcnt lgkmcnt(0)
	v_add_f32_e32 v34, v40, v34
	ds_bpermute_b32 v36, v35, v34
	s_barrier
	s_waitcnt lgkmcnt(0)
	s_and_saveexec_b64 s[2:3], s[0:1]
	s_cbranch_execz .LBB25_364
; %bb.363:
	v_add_f32_e32 v34, v34, v36
	v_or_b32_e32 v36, v45, v42
	v_mad_i32_i24 v36, v36, s4, 0
	ds_write2_b32 v36, v32, v34 offset0:64 offset1:65
.LBB25_364:
	s_or_b64 exec, exec, s[2:3]
	v_cmp_eq_u32_e32 vcc, 0, v59
	v_cmp_ne_u32_e64 s[2:3], 0, v59
	s_waitcnt lgkmcnt(0)
	s_barrier
	s_and_saveexec_b64 s[4:5], s[2:3]
	s_xor_b64 s[2:3], exec, s[4:5]
	s_cbranch_execz .LBB25_366
; %bb.365:
	s_barrier
	s_waitcnt lgkmcnt(0)
                                        ; implicit-def: $vgpr33
                                        ; implicit-def: $vgpr35
                                        ; implicit-def: $vgpr57
.LBB25_366:
	s_andn2_saveexec_b64 s[4:5], s[2:3]
	s_cbranch_execz .LBB25_370
; %bb.367:
	v_add_u32_e32 v32, v45, v42
	s_movk_i32 s2, 0x110
	v_mad_i32_i24 v38, v32, s2, 0
	ds_read_b64 v[36:37], v38 offset:256
	s_mov_b32 s2, 0x3fb8aa3b
	s_mov_b32 s6, 0x42b17218
	;; [unrolled: 1-line block ×3, first 2 shown]
	s_waitcnt lgkmcnt(0)
	ds_bpermute_b32 v32, v33, v36
	v_max_f32_e32 v34, v36, v36
	s_barrier
	s_waitcnt lgkmcnt(0)
	v_max_f32_e32 v32, v32, v32
	v_max_f32_e32 v32, v34, v32
	ds_bpermute_b32 v34, v35, v32
	s_waitcnt lgkmcnt(0)
	v_max_f32_e32 v34, v34, v34
	v_max_f32_e32 v32, v32, v34
	v_sub_f32_e32 v34, v36, v32
	v_mul_f32_e32 v36, 0x3fb8aa3b, v34
	v_fma_f32 v39, v34, s2, -v36
	v_rndne_f32_e32 v40, v36
	v_fmac_f32_e32 v39, 0x32a5705f, v34
	v_sub_f32_e32 v36, v36, v40
	v_add_f32_e32 v36, v36, v39
	v_cvt_i32_f32_e32 v40, v40
	v_exp_f32_e32 v36, v36
	s_mov_b32 s2, 0xc2ce8ed0
	v_cmp_ngt_f32_e64 s[2:3], s2, v34
	v_mov_b32_e32 v39, 0x7f800000
	v_ldexp_f32 v36, v36, v40
	v_cndmask_b32_e64 v36, 0, v36, s[2:3]
	v_cmp_nlt_f32_e64 s[2:3], s6, v34
	v_cndmask_b32_e64 v34, v39, v36, s[2:3]
	v_mul_f32_e32 v36, v37, v34
	ds_bpermute_b32 v33, v33, v36
	s_waitcnt lgkmcnt(0)
	v_fmac_f32_e32 v33, v37, v34
	ds_bpermute_b32 v35, v35, v33
	s_waitcnt lgkmcnt(0)
	v_add_f32_e32 v35, v33, v35
	ds_write_b64 v38, v[34:35] offset:256
	s_and_saveexec_b64 s[2:3], s[0:1]
	s_cbranch_execz .LBB25_369
; %bb.368:
	s_add_i32 s0, s41, s51
	s_lshl_b32 s8, s0, 4
	s_lshl_b64 s[0:1], s[8:9], 3
	s_add_u32 s0, s26, s0
	v_or_b32_e32 v33, v57, v42
	s_addc_u32 s1, s27, s1
	v_lshlrev_b32_e32 v34, 3, v33
	v_mov_b32_e32 v33, v35
	global_store_dwordx2 v34, v[32:33], s[0:1]
.LBB25_369:
	s_or_b64 exec, exec, s[2:3]
.LBB25_370:
	s_or_b64 exec, exec, s[4:5]
	v_cvt_f16_f32_e32 v0, v0
	v_cvt_f16_f32_e32 v1, v1
	v_cvt_f16_f32_e32 v2, v2
	v_cvt_f16_f32_e32 v3, v3
	v_cvt_f16_f32_e32 v4, v4
	v_cvt_f16_f32_e32 v6, v6
	v_cvt_f16_f32_e32 v7, v7
	v_cvt_f16_f32_e32 v5, v5
	v_pack_b32_f16 v2, v2, v3
	v_pack_b32_f16 v0, v0, v1
	v_pack_b32_f16 v1, v6, v7
	v_pack_b32_f16 v3, v4, v5
	v_cvt_f16_f32_e32 v4, v8
	v_cvt_f16_f32_e32 v5, v9
	v_cvt_f16_f32_e32 v6, v10
	v_cvt_f16_f32_e32 v7, v11
	v_cvt_f16_f32_e32 v8, v12
	v_cvt_f16_f32_e32 v9, v14
	v_cvt_f16_f32_e32 v10, v15
	v_cvt_f16_f32_e32 v11, v13
	v_pack_b32_f16 v6, v6, v7
	v_pack_b32_f16 v4, v4, v5
	v_pack_b32_f16 v5, v9, v10
	v_pack_b32_f16 v7, v8, v11
	;; [unrolled: 12-line block ×3, first 2 shown]
	v_cvt_f16_f32_e32 v14, v26
	v_cvt_f16_f32_e32 v15, v27
	;; [unrolled: 1-line block ×8, first 2 shown]
	v_pack_b32_f16 v14, v14, v15
	v_pack_b32_f16 v15, v16, v19
	v_or_b32_e32 v16, v45, v43
	s_movk_i32 s0, 0x44
	v_mad_i32_i24 v16, v16, s0, v44
	s_mov_b32 s3, 0
	v_lshl_add_u32 v16, v16, 2, 0
	v_pack_b32_f16 v12, v12, v13
	v_pack_b32_f16 v13, v17, v18
	ds_write2_b32 v16, v0, v2 offset1:1
	ds_write2_b32 v16, v3, v1 offset0:8 offset1:9
	ds_write2_b32 v16, v4, v6 offset0:16 offset1:17
	;; [unrolled: 1-line block ×7, first 2 shown]
	s_waitcnt lgkmcnt(0)
	s_barrier
	s_and_saveexec_b64 s[0:1], vcc
	s_cbranch_execz .LBB25_372
; %bb.371:
	s_lshl_b32 s2, s41, 5
	s_lshl_b64 s[4:5], s[2:3], 3
	s_add_u32 s4, s26, s4
	s_addc_u32 s5, s27, s5
	s_lshl_b32 s2, s51, 10
	s_lshl_b64 s[2:3], s[2:3], 3
	s_add_u32 s2, s4, s2
	v_bfe_u32 v1, v55, 2, 4
	s_movk_i32 s4, 0x3c0
	v_and_or_b32 v1, v55, s4, v1
	s_movk_i32 s4, 0x110
	v_mad_u32_u24 v6, v1, s4, 0
	v_lshlrev_b32_e32 v1, 2, v42
	v_add_u32_e32 v8, v6, v1
	ds_read2st64_b32 v[2:3], v8 offset1:17
	ds_read2st64_b32 v[4:5], v6 offset0:1 offset1:18
	ds_read2st64_b32 v[6:7], v6 offset0:35 offset1:52
	ds_read2st64_b32 v[8:9], v8 offset0:34 offset1:51
	v_lshlrev_b32_e32 v10, 4, v55
	v_add_lshl_u32 v14, v10, v42, 3
	s_waitcnt lgkmcnt(3)
	v_cvt_f32_f16_e32 v10, v2
	v_cvt_f32_f16_sdwa v11, v2 dst_sel:DWORD dst_unused:UNUSED_PAD src0_sel:WORD_1
	v_cvt_f32_f16_e32 v2, v3
	v_cvt_f32_f16_sdwa v3, v3 dst_sel:DWORD dst_unused:UNUSED_PAD src0_sel:WORD_1
	s_waitcnt lgkmcnt(0)
	v_cvt_f32_f16_e32 v12, v8
	v_cvt_f32_f16_sdwa v13, v8 dst_sel:DWORD dst_unused:UNUSED_PAD src0_sel:WORD_1
	v_pk_fma_f32 v[10:11], v[4:5], v[10:11], 0 op_sel_hi:[0,1,0]
	v_mov_b32_e32 v4, v5
	v_lshrrev_b32_e32 v0, 2, v55
	v_pk_fma_f32 v[2:3], v[4:5], v[2:3], v[10:11] op_sel_hi:[0,1,1]
	v_pk_fma_f32 v[2:3], v[6:7], v[12:13], v[2:3] op_sel_hi:[0,1,1]
	v_mov_b32_e32 v6, v7
	v_add_u32_e32 v7, 1, v0
	s_addc_u32 s3, s5, s3
	v_cvt_f32_f16_e32 v4, v9
	v_cvt_f32_f16_sdwa v5, v9 dst_sel:DWORD dst_unused:UNUSED_PAD src0_sel:WORD_1
	v_lshlrev_b32_e32 v8, 2, v7
	v_and_b32_e32 v9, 15, v7
	s_movk_i32 s5, 0x7c0
	v_and_or_b32 v8, v8, s5, v9
	v_mad_u32_u24 v10, v8, s4, 0
	v_add_u32_e32 v11, v10, v1
	ds_read2st64_b32 v[8:9], v11 offset1:17
	v_pk_fma_f32 v[2:3], v[6:7], v[4:5], v[2:3] op_sel_hi:[0,1,1]
	global_store_dwordx2 v14, v[2:3], s[2:3]
	v_lshlrev_b32_e32 v12, 6, v7
	ds_read2st64_b32 v[2:3], v10 offset0:1 offset1:18
	ds_read2st64_b32 v[6:7], v10 offset0:35 offset1:52
	ds_read2st64_b32 v[10:11], v11 offset0:34 offset1:51
	s_waitcnt lgkmcnt(3)
	v_cvt_f32_f16_e32 v4, v8
	v_cvt_f32_f16_sdwa v5, v8 dst_sel:DWORD dst_unused:UNUSED_PAD src0_sel:WORD_1
	v_cvt_f32_f16_e32 v8, v9
	v_cvt_f32_f16_sdwa v9, v9 dst_sel:DWORD dst_unused:UNUSED_PAD src0_sel:WORD_1
	v_add_lshl_u32 v14, v12, v42, 3
	s_waitcnt lgkmcnt(0)
	v_cvt_f32_f16_e32 v12, v10
	v_cvt_f32_f16_sdwa v13, v10 dst_sel:DWORD dst_unused:UNUSED_PAD src0_sel:WORD_1
	v_cvt_f32_f16_e32 v10, v11
	v_cvt_f32_f16_sdwa v11, v11 dst_sel:DWORD dst_unused:UNUSED_PAD src0_sel:WORD_1
	v_pk_fma_f32 v[4:5], v[2:3], v[4:5], 0 op_sel_hi:[0,1,0]
	v_mov_b32_e32 v2, v3
	v_pk_fma_f32 v[2:3], v[2:3], v[8:9], v[4:5] op_sel_hi:[0,1,1]
	v_pk_fma_f32 v[2:3], v[6:7], v[12:13], v[2:3] op_sel_hi:[0,1,1]
	v_mov_b32_e32 v4, v7
	v_pk_fma_f32 v[2:3], v[4:5], v[10:11], v[2:3] op_sel_hi:[0,1,1]
	global_store_dwordx2 v14, v[2:3], s[2:3]
	v_add_u32_e32 v2, 2, v0
	v_lshlrev_b32_e32 v3, 2, v2
	v_and_b32_e32 v4, 15, v2
	v_and_or_b32 v3, v3, s5, v4
	v_mad_u32_u24 v6, v3, s4, 0
	v_add_u32_e32 v8, v6, v1
	v_lshlrev_b32_e32 v10, 6, v2
	ds_read2st64_b32 v[2:3], v8 offset1:17
	ds_read2st64_b32 v[4:5], v6 offset0:1 offset1:18
	ds_read2st64_b32 v[6:7], v6 offset0:35 offset1:52
	ds_read2st64_b32 v[8:9], v8 offset0:34 offset1:51
	v_add_lshl_u32 v14, v10, v42, 3
	s_waitcnt lgkmcnt(3)
	v_cvt_f32_f16_e32 v10, v2
	v_cvt_f32_f16_sdwa v11, v2 dst_sel:DWORD dst_unused:UNUSED_PAD src0_sel:WORD_1
	v_cvt_f32_f16_e32 v2, v3
	v_cvt_f32_f16_sdwa v3, v3 dst_sel:DWORD dst_unused:UNUSED_PAD src0_sel:WORD_1
	s_waitcnt lgkmcnt(0)
	v_cvt_f32_f16_e32 v12, v8
	v_cvt_f32_f16_sdwa v13, v8 dst_sel:DWORD dst_unused:UNUSED_PAD src0_sel:WORD_1
	v_pk_fma_f32 v[10:11], v[4:5], v[10:11], 0 op_sel_hi:[0,1,0]
	v_mov_b32_e32 v4, v5
	v_pk_fma_f32 v[2:3], v[4:5], v[2:3], v[10:11] op_sel_hi:[0,1,1]
	v_pk_fma_f32 v[2:3], v[6:7], v[12:13], v[2:3] op_sel_hi:[0,1,1]
	v_mov_b32_e32 v6, v7
	v_add_u32_e32 v7, 3, v0
	v_cvt_f32_f16_e32 v4, v9
	v_cvt_f32_f16_sdwa v5, v9 dst_sel:DWORD dst_unused:UNUSED_PAD src0_sel:WORD_1
	v_lshlrev_b32_e32 v8, 2, v7
	v_and_b32_e32 v9, 15, v7
	v_and_or_b32 v8, v8, s5, v9
	v_mad_u32_u24 v10, v8, s4, 0
	v_add_u32_e32 v11, v10, v1
	ds_read2st64_b32 v[8:9], v11 offset1:17
	v_pk_fma_f32 v[2:3], v[6:7], v[4:5], v[2:3] op_sel_hi:[0,1,1]
	global_store_dwordx2 v14, v[2:3], s[2:3]
	v_lshlrev_b32_e32 v12, 6, v7
	ds_read2st64_b32 v[2:3], v10 offset0:1 offset1:18
	ds_read2st64_b32 v[6:7], v10 offset0:35 offset1:52
	ds_read2st64_b32 v[10:11], v11 offset0:34 offset1:51
	s_waitcnt lgkmcnt(3)
	v_cvt_f32_f16_e32 v4, v8
	v_cvt_f32_f16_sdwa v5, v8 dst_sel:DWORD dst_unused:UNUSED_PAD src0_sel:WORD_1
	v_cvt_f32_f16_e32 v8, v9
	v_cvt_f32_f16_sdwa v9, v9 dst_sel:DWORD dst_unused:UNUSED_PAD src0_sel:WORD_1
	v_add_lshl_u32 v14, v12, v42, 3
	s_waitcnt lgkmcnt(0)
	v_cvt_f32_f16_e32 v12, v10
	v_cvt_f32_f16_sdwa v13, v10 dst_sel:DWORD dst_unused:UNUSED_PAD src0_sel:WORD_1
	v_cvt_f32_f16_e32 v10, v11
	v_cvt_f32_f16_sdwa v11, v11 dst_sel:DWORD dst_unused:UNUSED_PAD src0_sel:WORD_1
	v_pk_fma_f32 v[4:5], v[2:3], v[4:5], 0 op_sel_hi:[0,1,0]
	v_mov_b32_e32 v2, v3
	v_pk_fma_f32 v[2:3], v[2:3], v[8:9], v[4:5] op_sel_hi:[0,1,1]
	v_pk_fma_f32 v[2:3], v[6:7], v[12:13], v[2:3] op_sel_hi:[0,1,1]
	v_mov_b32_e32 v4, v7
	v_pk_fma_f32 v[2:3], v[4:5], v[10:11], v[2:3] op_sel_hi:[0,1,1]
	global_store_dwordx2 v14, v[2:3], s[2:3]
	v_add_u32_e32 v2, 4, v0
	v_lshlrev_b32_e32 v3, 2, v2
	v_and_b32_e32 v4, 15, v2
	v_and_or_b32 v3, v3, s5, v4
	v_mad_u32_u24 v6, v3, s4, 0
	v_add_u32_e32 v8, v6, v1
	v_lshlrev_b32_e32 v10, 6, v2
	ds_read2st64_b32 v[2:3], v8 offset1:17
	ds_read2st64_b32 v[4:5], v6 offset0:1 offset1:18
	ds_read2st64_b32 v[6:7], v6 offset0:35 offset1:52
	ds_read2st64_b32 v[8:9], v8 offset0:34 offset1:51
	v_add_lshl_u32 v14, v10, v42, 3
	s_waitcnt lgkmcnt(3)
	v_cvt_f32_f16_e32 v10, v2
	v_cvt_f32_f16_sdwa v11, v2 dst_sel:DWORD dst_unused:UNUSED_PAD src0_sel:WORD_1
	v_cvt_f32_f16_e32 v2, v3
	v_cvt_f32_f16_sdwa v3, v3 dst_sel:DWORD dst_unused:UNUSED_PAD src0_sel:WORD_1
	s_waitcnt lgkmcnt(0)
	v_cvt_f32_f16_e32 v12, v8
	v_cvt_f32_f16_sdwa v13, v8 dst_sel:DWORD dst_unused:UNUSED_PAD src0_sel:WORD_1
	v_pk_fma_f32 v[10:11], v[4:5], v[10:11], 0 op_sel_hi:[0,1,0]
	v_mov_b32_e32 v4, v5
	v_pk_fma_f32 v[2:3], v[4:5], v[2:3], v[10:11] op_sel_hi:[0,1,1]
	v_pk_fma_f32 v[2:3], v[6:7], v[12:13], v[2:3] op_sel_hi:[0,1,1]
	v_mov_b32_e32 v6, v7
	v_add_u32_e32 v7, 5, v0
	v_cvt_f32_f16_e32 v4, v9
	v_cvt_f32_f16_sdwa v5, v9 dst_sel:DWORD dst_unused:UNUSED_PAD src0_sel:WORD_1
	v_lshlrev_b32_e32 v8, 2, v7
	v_and_b32_e32 v9, 15, v7
	;; [unrolled: 58-line block ×7, first 2 shown]
	v_and_or_b32 v0, v0, s5, v8
	v_mad_u32_u24 v8, v0, s4, 0
	v_add_u32_e32 v9, v8, v1
	ds_read2st64_b32 v[0:1], v9 offset1:17
	v_pk_fma_f32 v[2:3], v[6:7], v[4:5], v[2:3] op_sel_hi:[0,1,1]
	global_store_dwordx2 v14, v[2:3], s[2:3]
	v_lshlrev_b32_e32 v10, 6, v7
	ds_read2st64_b32 v[2:3], v8 offset0:1 offset1:18
	ds_read2st64_b32 v[6:7], v8 offset0:35 offset1:52
	;; [unrolled: 1-line block ×3, first 2 shown]
	s_waitcnt lgkmcnt(3)
	v_cvt_f32_f16_e32 v4, v0
	v_cvt_f32_f16_sdwa v5, v0 dst_sel:DWORD dst_unused:UNUSED_PAD src0_sel:WORD_1
	v_cvt_f32_f16_e32 v0, v1
	v_cvt_f32_f16_sdwa v1, v1 dst_sel:DWORD dst_unused:UNUSED_PAD src0_sel:WORD_1
	v_add_lshl_u32 v12, v10, v42, 3
	s_waitcnt lgkmcnt(0)
	v_cvt_f32_f16_e32 v10, v8
	v_cvt_f32_f16_sdwa v11, v8 dst_sel:DWORD dst_unused:UNUSED_PAD src0_sel:WORD_1
	v_cvt_f32_f16_e32 v8, v9
	v_cvt_f32_f16_sdwa v9, v9 dst_sel:DWORD dst_unused:UNUSED_PAD src0_sel:WORD_1
	v_pk_fma_f32 v[4:5], v[2:3], v[4:5], 0 op_sel_hi:[0,1,0]
	v_mov_b32_e32 v2, v3
	v_pk_fma_f32 v[0:1], v[2:3], v[0:1], v[4:5] op_sel_hi:[0,1,1]
	v_pk_fma_f32 v[0:1], v[6:7], v[10:11], v[0:1] op_sel_hi:[0,1,1]
	v_mov_b32_e32 v2, v7
	v_pk_fma_f32 v[0:1], v[2:3], v[8:9], v[0:1] op_sel_hi:[0,1,1]
	global_store_dwordx2 v12, v[0:1], s[2:3]
.LBB25_372:
	s_or_b64 exec, exec, s[0:1]
	s_barrier
	s_endpgm
	.section	.rodata,"a",@progbits
	.p2align	6, 0x0
	.amdhsa_kernel _ZL18flash_attn_ext_f16ILi128ELi128ELi8ELi2ELb1ELb0EEvPKcS1_S1_S1_S1_PKiPfP15HIP_vector_typeIfLj2EEffffjfiS5_IjLj3EEiiiiiiiiiiiliiliiiiil
		.amdhsa_group_segment_fixed_size 0
		.amdhsa_private_segment_fixed_size 0
		.amdhsa_kernarg_size 464
		.amdhsa_user_sgpr_count 6
		.amdhsa_user_sgpr_private_segment_buffer 1
		.amdhsa_user_sgpr_dispatch_ptr 0
		.amdhsa_user_sgpr_queue_ptr 0
		.amdhsa_user_sgpr_kernarg_segment_ptr 1
		.amdhsa_user_sgpr_dispatch_id 0
		.amdhsa_user_sgpr_flat_scratch_init 0
		.amdhsa_user_sgpr_kernarg_preload_length 0
		.amdhsa_user_sgpr_kernarg_preload_offset 0
		.amdhsa_user_sgpr_private_segment_size 0
		.amdhsa_uses_dynamic_stack 0
		.amdhsa_system_sgpr_private_segment_wavefront_offset 0
		.amdhsa_system_sgpr_workgroup_id_x 1
		.amdhsa_system_sgpr_workgroup_id_y 0
		.amdhsa_system_sgpr_workgroup_id_z 0
		.amdhsa_system_sgpr_workgroup_info 0
		.amdhsa_system_vgpr_workitem_id 1
		.amdhsa_next_free_vgpr 211
		.amdhsa_next_free_sgpr 96
		.amdhsa_accum_offset 212
		.amdhsa_reserve_vcc 1
		.amdhsa_reserve_flat_scratch 0
		.amdhsa_float_round_mode_32 0
		.amdhsa_float_round_mode_16_64 0
		.amdhsa_float_denorm_mode_32 3
		.amdhsa_float_denorm_mode_16_64 3
		.amdhsa_dx10_clamp 1
		.amdhsa_ieee_mode 1
		.amdhsa_fp16_overflow 0
		.amdhsa_tg_split 0
		.amdhsa_exception_fp_ieee_invalid_op 0
		.amdhsa_exception_fp_denorm_src 0
		.amdhsa_exception_fp_ieee_div_zero 0
		.amdhsa_exception_fp_ieee_overflow 0
		.amdhsa_exception_fp_ieee_underflow 0
		.amdhsa_exception_fp_ieee_inexact 0
		.amdhsa_exception_int_div_zero 0
	.end_amdhsa_kernel
	.section	.text._ZL18flash_attn_ext_f16ILi128ELi128ELi8ELi2ELb1ELb0EEvPKcS1_S1_S1_S1_PKiPfP15HIP_vector_typeIfLj2EEffffjfiS5_IjLj3EEiiiiiiiiiiiliiliiiiil,"axG",@progbits,_ZL18flash_attn_ext_f16ILi128ELi128ELi8ELi2ELb1ELb0EEvPKcS1_S1_S1_S1_PKiPfP15HIP_vector_typeIfLj2EEffffjfiS5_IjLj3EEiiiiiiiiiiiliiliiiiil,comdat
.Lfunc_end25:
	.size	_ZL18flash_attn_ext_f16ILi128ELi128ELi8ELi2ELb1ELb0EEvPKcS1_S1_S1_S1_PKiPfP15HIP_vector_typeIfLj2EEffffjfiS5_IjLj3EEiiiiiiiiiiiliiliiiiil, .Lfunc_end25-_ZL18flash_attn_ext_f16ILi128ELi128ELi8ELi2ELb1ELb0EEvPKcS1_S1_S1_S1_PKiPfP15HIP_vector_typeIfLj2EEffffjfiS5_IjLj3EEiiiiiiiiiiiliiliiiiil
                                        ; -- End function
	.section	.AMDGPU.csdata,"",@progbits
; Kernel info:
; codeLenInByte = 44116
; NumSgprs: 100
; NumVgprs: 211
; NumAgprs: 0
; TotalNumVgprs: 211
; ScratchSize: 0
; MemoryBound: 0
; FloatMode: 240
; IeeeMode: 1
; LDSByteSize: 0 bytes/workgroup (compile time only)
; SGPRBlocks: 12
; VGPRBlocks: 26
; NumSGPRsForWavesPerEU: 100
; NumVGPRsForWavesPerEU: 211
; AccumOffset: 212
; Occupancy: 2
; WaveLimiterHint : 0
; COMPUTE_PGM_RSRC2:SCRATCH_EN: 0
; COMPUTE_PGM_RSRC2:USER_SGPR: 6
; COMPUTE_PGM_RSRC2:TRAP_HANDLER: 0
; COMPUTE_PGM_RSRC2:TGID_X_EN: 1
; COMPUTE_PGM_RSRC2:TGID_Y_EN: 0
; COMPUTE_PGM_RSRC2:TGID_Z_EN: 0
; COMPUTE_PGM_RSRC2:TIDIG_COMP_CNT: 1
; COMPUTE_PGM_RSRC3_GFX90A:ACCUM_OFFSET: 52
; COMPUTE_PGM_RSRC3_GFX90A:TG_SPLIT: 0
	.section	.text._ZL33flash_attn_stream_k_fixup_uniformILi128ELi8ELi2EEvPfPK15HIP_vector_typeIfLj2EEiiiiiiS1_IjLj3EES5_S5_,"axG",@progbits,_ZL33flash_attn_stream_k_fixup_uniformILi128ELi8ELi2EEvPfPK15HIP_vector_typeIfLj2EEiiiiiiS1_IjLj3EES5_S5_,comdat
	.globl	_ZL33flash_attn_stream_k_fixup_uniformILi128ELi8ELi2EEvPfPK15HIP_vector_typeIfLj2EEiiiiiiS1_IjLj3EES5_S5_ ; -- Begin function _ZL33flash_attn_stream_k_fixup_uniformILi128ELi8ELi2EEvPfPK15HIP_vector_typeIfLj2EEiiiiiiS1_IjLj3EES5_S5_
	.p2align	8
	.type	_ZL33flash_attn_stream_k_fixup_uniformILi128ELi8ELi2EEvPfPK15HIP_vector_typeIfLj2EEiiiiiiS1_IjLj3EES5_S5_,@function
_ZL33flash_attn_stream_k_fixup_uniformILi128ELi8ELi2EEvPfPK15HIP_vector_typeIfLj2EEiiiiiiS1_IjLj3EES5_S5_: ; @_ZL33flash_attn_stream_k_fixup_uniformILi128ELi8ELi2EEvPfPK15HIP_vector_typeIfLj2EEiiiiiiS1_IjLj3EES5_S5_
; %bb.0:
	s_load_dwordx8 s[12:19], s[4:5], 0x1c
	s_load_dwordx2 s[10:11], s[4:5], 0x10
	s_load_dwordx4 s[0:3], s[4:5], 0x3c
	s_waitcnt lgkmcnt(0)
	s_mul_hi_u32 s9, s15, s6
	s_add_i32 s9, s6, s9
	s_lshr_b32 s9, s9, s16
	s_mul_i32 s15, s9, s17
	s_sub_i32 s15, s6, s15
	s_mul_hi_u32 s16, s15, s18
	s_add_i32 s16, s15, s16
	s_lshr_b32 s16, s16, s19
	s_mul_i32 s0, s16, s0
	s_sub_i32 s0, s15, s0
	;; [unrolled: 5-line block ×3, first 2 shown]
	s_lshl_b32 s0, s17, 3
	s_lshl_b32 s15, s1, 1
	s_add_i32 s0, s0, s7
	s_cmp_lt_i32 s0, s10
	s_cselect_b64 s[0:1], -1, 0
	s_add_i32 s2, s15, s8
	s_cmp_lt_i32 s2, s13
	s_cselect_b64 s[2:3], -1, 0
	s_and_b64 s[0:1], s[0:1], s[2:3]
	s_andn2_b64 vcc, exec, s[0:1]
	s_cbranch_vccnz .LBB26_6
; %bb.1:
	s_load_dwordx4 s[0:3], s[4:5], 0x0
	s_mul_i32 s4, s9, s10
	s_add_i32 s4, s4, s7
	s_mul_i32 s4, s4, s11
	s_mul_i32 s16, s16, s13
	s_add_i32 s4, s4, s8
	s_add_i32 s4, s4, s16
	s_mul_i32 s5, s11, s17
	s_add_i32 s4, s4, s15
	s_lshl_b32 s5, s5, 10
	s_lshl_b32 s4, s4, 7
	s_add_i32 s5, s5, s4
	v_or_b32_e32 v2, s5, v0
	v_ashrrev_i32_e32 v3, 31, v2
	v_lshlrev_b64 v[2:3], 2, v[2:3]
	s_waitcnt lgkmcnt(0)
	v_mov_b32_e32 v1, s1
	v_add_co_u32_e32 v2, vcc, s0, v2
	v_addc_co_u32_e32 v3, vcc, v1, v3, vcc
	global_load_dword v8, v[2:3], off
	s_mul_i32 s9, s6, s14
	s_lshl_b32 s4, s7, 1
	s_add_i32 s11, s9, s14
	s_add_i32 s0, s4, s8
	s_lshl_b32 s1, s11, 4
	s_add_i32 s0, s0, s1
	s_add_i32 s0, s0, -16
	s_ashr_i32 s1, s0, 31
	s_lshl_b64 s[0:1], s[0:1], 3
	s_add_u32 s0, s2, s0
	s_addc_u32 s1, s3, s1
	s_load_dword s5, s[0:1], 0x4
	s_add_i32 s10, s11, -2
	s_cmp_lt_i32 s10, s9
	s_cbranch_scc1 .LBB26_4
; %bb.2:
	s_lshl_b32 s16, s12, 6
	s_ashr_i32 s17, s16, 31
	s_lshl_b64 s[16:17], s[16:17], 2
	s_add_u32 s10, s2, s16
	s_addc_u32 s13, s3, s17
	s_add_i32 s6, s6, 1
	s_load_dword s0, s[0:1], 0x0
	s_mul_i32 s1, s14, s6
	s_lshl_b32 s7, s7, 8
	s_lshl_b32 s14, s8, 7
	s_lshl_b32 s6, s1, 11
	s_add_i32 s7, s14, s7
	s_lshl_b32 s1, s1, 4
	s_add_i32 s7, s7, s6
	s_add_i32 s1, s8, s1
	s_lshl_b32 s6, s12, 4
	s_add_i32 s1, s1, s6
	v_or_b32_e32 v0, s7, v0
	s_add_i32 s1, s1, s4
	s_add_i32 s11, s11, -1
	v_add_u32_e32 v0, 0xfffff000, v0
	s_sub_i32 s4, s1, 32
	s_waitcnt lgkmcnt(0)
	v_mov_b32_e32 v7, s5
	v_mov_b32_e32 v6, s0
	;; [unrolled: 1-line block ×3, first 2 shown]
	s_mov_b32 s6, 0x3fb8aa3b
	s_mov_b32 s7, 0xc2ce8ed0
	;; [unrolled: 1-line block ×3, first 2 shown]
	v_mov_b32_e32 v5, 0x7f800000
	s_mov_b32 s12, 0xc1a00000
.LBB26_3:                               ; =>This Inner Loop Header: Depth=1
	v_ashrrev_i32_e32 v1, 31, v0
	v_lshlrev_b64 v[10:11], 2, v[0:1]
	v_add_co_u32_e32 v10, vcc, s10, v10
	v_addc_co_u32_e32 v11, vcc, v4, v11, vcc
	global_load_dword v1, v[10:11], off
	s_ashr_i32 s5, s4, 31
	s_lshl_b64 s[0:1], s[4:5], 3
	s_add_u32 s0, s2, s0
	s_addc_u32 s1, s3, s1
	s_load_dwordx2 s[14:15], s[0:1], 0x0
	s_waitcnt vmcnt(1)
	v_mov_b32_e32 v9, v8
	v_max_f32_e32 v8, v6, v6
	v_mov_b32_e32 v10, v7
	s_add_i32 s11, s11, -1
	s_waitcnt lgkmcnt(0)
	v_max_f32_e64 v7, s14, s14
	v_max_f32_e32 v7, v8, v7
	v_sub_f32_e32 v11, s14, v7
	v_sub_f32_e32 v8, v6, v7
	v_mul_f32_e32 v12, 0x3fb8aa3b, v11
	v_mov_b32_e32 v6, v7
	v_mul_f32_e32 v7, 0x3fb8aa3b, v8
	v_fma_f32 v15, v11, s6, -v12
	v_rndne_f32_e32 v16, v12
	v_fma_f32 v13, v8, s6, -v7
	v_rndne_f32_e32 v14, v7
	v_fmac_f32_e32 v15, 0x32a5705f, v11
	v_sub_f32_e32 v12, v12, v16
	v_fmac_f32_e32 v13, 0x32a5705f, v8
	v_sub_f32_e32 v7, v7, v14
	v_add_f32_e32 v12, v12, v15
	v_cvt_i32_f32_e32 v16, v16
	v_add_f32_e32 v7, v7, v13
	v_exp_f32_e32 v12, v12
	v_cvt_i32_f32_e32 v14, v14
	v_exp_f32_e32 v7, v7
	v_cmp_ngt_f32_e32 vcc, s7, v11
	v_ldexp_f32 v12, v12, v16
	v_cmp_ngt_f32_e64 s[0:1], s7, v8
	v_ldexp_f32 v7, v7, v14
	v_cndmask_b32_e32 v12, 0, v12, vcc
	v_cmp_nlt_f32_e32 vcc, s8, v11
	v_cndmask_b32_e64 v7, 0, v7, s[0:1]
	v_cmp_nlt_f32_e64 s[0:1], s8, v8
	v_cndmask_b32_e32 v12, v5, v12, vcc
	v_cmp_le_f32_e32 vcc, s12, v11
	v_cndmask_b32_e64 v7, v5, v7, s[0:1]
	v_cmp_le_f32_e64 s[0:1], s12, v8
	v_cndmask_b32_e32 v8, 0, v12, vcc
	s_add_i32 s4, s4, -16
	v_cndmask_b32_e64 v11, 0, v7, s[0:1]
	v_mul_f32_e32 v7, s15, v8
	v_add_u32_e32 v0, 0xfffff800, v0
	s_cmp_le_i32 s11, s9
	v_fmac_f32_e32 v7, v10, v11
	s_waitcnt vmcnt(0)
	v_mul_f32_e32 v8, v1, v8
	v_fmac_f32_e32 v8, v9, v11
	s_cbranch_scc0 .LBB26_3
	s_branch .LBB26_5
.LBB26_4:
	s_waitcnt lgkmcnt(0)
	v_mov_b32_e32 v7, s5
.LBB26_5:
	s_waitcnt vmcnt(0)
	v_div_scale_f32 v0, s[0:1], v7, v7, v8
	v_rcp_f32_e32 v1, v0
	v_div_scale_f32 v4, vcc, v8, v7, v8
	v_fma_f32 v5, -v0, v1, 1.0
	v_fmac_f32_e32 v1, v5, v1
	v_mul_f32_e32 v5, v4, v1
	v_fma_f32 v6, -v0, v5, v4
	v_fmac_f32_e32 v5, v6, v1
	v_fma_f32 v0, -v0, v5, v4
	v_div_fmas_f32 v0, v0, v1, v5
	v_div_fixup_f32 v0, v0, v7, v8
	global_store_dword v[2:3], v0, off
.LBB26_6:
	s_endpgm
	.section	.rodata,"a",@progbits
	.p2align	6, 0x0
	.amdhsa_kernel _ZL33flash_attn_stream_k_fixup_uniformILi128ELi8ELi2EEvPfPK15HIP_vector_typeIfLj2EEiiiiiiS1_IjLj3EES5_S5_
		.amdhsa_group_segment_fixed_size 0
		.amdhsa_private_segment_fixed_size 0
		.amdhsa_kernarg_size 76
		.amdhsa_user_sgpr_count 6
		.amdhsa_user_sgpr_private_segment_buffer 1
		.amdhsa_user_sgpr_dispatch_ptr 0
		.amdhsa_user_sgpr_queue_ptr 0
		.amdhsa_user_sgpr_kernarg_segment_ptr 1
		.amdhsa_user_sgpr_dispatch_id 0
		.amdhsa_user_sgpr_flat_scratch_init 0
		.amdhsa_user_sgpr_kernarg_preload_length 0
		.amdhsa_user_sgpr_kernarg_preload_offset 0
		.amdhsa_user_sgpr_private_segment_size 0
		.amdhsa_uses_dynamic_stack 0
		.amdhsa_system_sgpr_private_segment_wavefront_offset 0
		.amdhsa_system_sgpr_workgroup_id_x 1
		.amdhsa_system_sgpr_workgroup_id_y 1
		.amdhsa_system_sgpr_workgroup_id_z 1
		.amdhsa_system_sgpr_workgroup_info 0
		.amdhsa_system_vgpr_workitem_id 0
		.amdhsa_next_free_vgpr 17
		.amdhsa_next_free_sgpr 20
		.amdhsa_accum_offset 20
		.amdhsa_reserve_vcc 1
		.amdhsa_reserve_flat_scratch 0
		.amdhsa_float_round_mode_32 0
		.amdhsa_float_round_mode_16_64 0
		.amdhsa_float_denorm_mode_32 3
		.amdhsa_float_denorm_mode_16_64 3
		.amdhsa_dx10_clamp 1
		.amdhsa_ieee_mode 1
		.amdhsa_fp16_overflow 0
		.amdhsa_tg_split 0
		.amdhsa_exception_fp_ieee_invalid_op 0
		.amdhsa_exception_fp_denorm_src 0
		.amdhsa_exception_fp_ieee_div_zero 0
		.amdhsa_exception_fp_ieee_overflow 0
		.amdhsa_exception_fp_ieee_underflow 0
		.amdhsa_exception_fp_ieee_inexact 0
		.amdhsa_exception_int_div_zero 0
	.end_amdhsa_kernel
	.section	.text._ZL33flash_attn_stream_k_fixup_uniformILi128ELi8ELi2EEvPfPK15HIP_vector_typeIfLj2EEiiiiiiS1_IjLj3EES5_S5_,"axG",@progbits,_ZL33flash_attn_stream_k_fixup_uniformILi128ELi8ELi2EEvPfPK15HIP_vector_typeIfLj2EEiiiiiiS1_IjLj3EES5_S5_,comdat
.Lfunc_end26:
	.size	_ZL33flash_attn_stream_k_fixup_uniformILi128ELi8ELi2EEvPfPK15HIP_vector_typeIfLj2EEiiiiiiS1_IjLj3EES5_S5_, .Lfunc_end26-_ZL33flash_attn_stream_k_fixup_uniformILi128ELi8ELi2EEvPfPK15HIP_vector_typeIfLj2EEiiiiiiS1_IjLj3EES5_S5_
                                        ; -- End function
	.section	.AMDGPU.csdata,"",@progbits
; Kernel info:
; codeLenInByte = 856
; NumSgprs: 24
; NumVgprs: 17
; NumAgprs: 0
; TotalNumVgprs: 17
; ScratchSize: 0
; MemoryBound: 0
; FloatMode: 240
; IeeeMode: 1
; LDSByteSize: 0 bytes/workgroup (compile time only)
; SGPRBlocks: 2
; VGPRBlocks: 2
; NumSGPRsForWavesPerEU: 24
; NumVGPRsForWavesPerEU: 17
; AccumOffset: 20
; Occupancy: 8
; WaveLimiterHint : 0
; COMPUTE_PGM_RSRC2:SCRATCH_EN: 0
; COMPUTE_PGM_RSRC2:USER_SGPR: 6
; COMPUTE_PGM_RSRC2:TRAP_HANDLER: 0
; COMPUTE_PGM_RSRC2:TGID_X_EN: 1
; COMPUTE_PGM_RSRC2:TGID_Y_EN: 1
; COMPUTE_PGM_RSRC2:TGID_Z_EN: 1
; COMPUTE_PGM_RSRC2:TIDIG_COMP_CNT: 0
; COMPUTE_PGM_RSRC3_GFX90A:ACCUM_OFFSET: 4
; COMPUTE_PGM_RSRC3_GFX90A:TG_SPLIT: 0
	.section	.text._ZL33flash_attn_stream_k_fixup_generalILi128ELi8ELi2EEvPfPK15HIP_vector_typeIfLj2EEiiiiS1_IjLj3EES5_S5_S5_,"axG",@progbits,_ZL33flash_attn_stream_k_fixup_generalILi128ELi8ELi2EEvPfPK15HIP_vector_typeIfLj2EEiiiiS1_IjLj3EES5_S5_S5_,comdat
	.globl	_ZL33flash_attn_stream_k_fixup_generalILi128ELi8ELi2EEvPfPK15HIP_vector_typeIfLj2EEiiiiS1_IjLj3EES5_S5_S5_ ; -- Begin function _ZL33flash_attn_stream_k_fixup_generalILi128ELi8ELi2EEvPfPK15HIP_vector_typeIfLj2EEiiiiS1_IjLj3EES5_S5_S5_
	.p2align	8
	.type	_ZL33flash_attn_stream_k_fixup_generalILi128ELi8ELi2EEvPfPK15HIP_vector_typeIfLj2EEiiiiS1_IjLj3EES5_S5_S5_,@function
_ZL33flash_attn_stream_k_fixup_generalILi128ELi8ELi2EEvPfPK15HIP_vector_typeIfLj2EEiiiiS1_IjLj3EES5_S5_S5_: ; @_ZL33flash_attn_stream_k_fixup_generalILi128ELi8ELi2EEvPfPK15HIP_vector_typeIfLj2EEiiiiS1_IjLj3EES5_S5_S5_
; %bb.0:
	s_load_dwordx4 s[12:15], s[4:5], 0x10
	s_load_dword s9, s[4:5], 0x50
	s_mov_b32 s2, 0
	s_waitcnt lgkmcnt(0)
	s_mul_hi_i32 s3, s15, s6
	s_cmp_lg_u64 s[2:3], 0
	s_mul_i32 s2, s15, s6
	s_cbranch_scc0 .LBB27_21
; %bb.1:
	v_cvt_f32_u32_e32 v1, s9
	v_cvt_f32_ubyte0_e32 v2, 0
	s_sub_u32 s10, 0, s9
	s_subb_u32 s11, 0, 0
	v_madmk_f32 v1, v2, 0x4f800000, v1
	v_rcp_f32_e32 v1, v1
	v_mul_f32_e32 v1, 0x5f7ffffc, v1
	v_mul_f32_e32 v2, 0x2f800000, v1
	v_trunc_f32_e32 v2, v2
	v_madmk_f32 v1, v2, 0xcf800000, v1
	v_cvt_u32_f32_e32 v2, v2
	v_cvt_u32_f32_e32 v1, v1
	v_readfirstlane_b32 s16, v2
	v_readfirstlane_b32 s17, v1
	s_mul_i32 s18, s10, s16
	s_mul_hi_u32 s20, s10, s17
	s_mul_i32 s19, s11, s17
	s_add_i32 s18, s20, s18
	s_add_i32 s18, s18, s19
	s_mul_i32 s21, s10, s17
	s_mul_hi_u32 s19, s17, s18
	s_mul_i32 s20, s17, s18
	s_mul_hi_u32 s17, s17, s21
	s_add_u32 s17, s17, s20
	s_addc_u32 s19, 0, s19
	s_mul_hi_u32 s22, s16, s21
	s_mul_i32 s21, s16, s21
	s_add_u32 s17, s17, s21
	s_mul_hi_u32 s20, s16, s18
	s_addc_u32 s17, s19, s22
	s_addc_u32 s19, s20, 0
	s_mul_i32 s18, s16, s18
	s_add_u32 s17, s17, s18
	s_addc_u32 s18, 0, s19
	v_add_co_u32_e32 v1, vcc, s17, v1
	s_cmp_lg_u64 vcc, 0
	s_addc_u32 s16, s16, s18
	v_readfirstlane_b32 s18, v1
	s_mul_i32 s17, s10, s16
	s_mul_hi_u32 s19, s10, s18
	s_add_i32 s17, s19, s17
	s_mul_i32 s11, s11, s18
	s_add_i32 s17, s17, s11
	s_mul_i32 s10, s10, s18
	s_mul_hi_u32 s19, s16, s10
	s_mul_i32 s20, s16, s10
	s_mul_i32 s22, s18, s17
	s_mul_hi_u32 s10, s18, s10
	s_mul_hi_u32 s21, s18, s17
	s_add_u32 s10, s10, s22
	s_addc_u32 s18, 0, s21
	s_add_u32 s10, s10, s20
	s_mul_hi_u32 s11, s16, s17
	s_addc_u32 s10, s18, s19
	s_addc_u32 s11, s11, 0
	s_mul_i32 s17, s16, s17
	s_add_u32 s10, s10, s17
	s_addc_u32 s11, 0, s11
	v_add_co_u32_e32 v1, vcc, s10, v1
	s_cmp_lg_u64 vcc, 0
	s_addc_u32 s18, s16, s11
	s_ashr_i32 s10, s3, 31
	s_add_u32 s16, s2, s10
	s_mov_b32 s11, s10
	s_addc_u32 s17, s3, s10
	s_xor_b64 s[16:17], s[16:17], s[10:11]
	v_readfirstlane_b32 s20, v1
	s_mul_i32 s19, s16, s18
	s_mul_hi_u32 s21, s16, s20
	s_mul_hi_u32 s3, s16, s18
	s_add_u32 s19, s21, s19
	s_addc_u32 s3, 0, s3
	s_mul_hi_u32 s22, s17, s20
	s_mul_i32 s20, s17, s20
	s_add_u32 s19, s19, s20
	s_mul_hi_u32 s21, s17, s18
	s_addc_u32 s3, s3, s22
	s_addc_u32 s19, s21, 0
	s_mul_i32 s18, s17, s18
	s_add_u32 s3, s3, s18
	s_addc_u32 s18, 0, s19
	s_add_u32 s19, s3, 1
	s_addc_u32 s20, s18, 0
	s_add_u32 s21, s3, 2
	s_mul_i32 s23, s9, s18
	s_mul_hi_u32 s24, s9, s3
	s_addc_u32 s22, s18, 0
	s_add_i32 s24, s24, s23
	s_mul_i32 s23, s9, s3
	v_mov_b32_e32 v1, s23
	v_sub_co_u32_e32 v1, vcc, s16, v1
	s_cmp_lg_u64 vcc, 0
	s_subb_u32 s16, s17, s24
	v_subrev_co_u32_e32 v2, vcc, s9, v1
	s_cmp_lg_u64 vcc, 0
	s_subb_u32 s17, s16, 0
	v_readfirstlane_b32 s23, v2
	s_cmp_ge_u32 s23, s9
	s_cselect_b32 s23, -1, 0
	s_cmp_eq_u32 s17, 0
	s_cselect_b32 s17, s23, -1
	s_cmp_lg_u32 s17, 0
	s_cselect_b32 s17, s22, s20
	v_readfirstlane_b32 s20, v1
	s_cselect_b32 s19, s21, s19
	s_cmp_ge_u32 s20, s9
	s_cselect_b32 s20, -1, 0
	s_cmp_eq_u32 s16, 0
	s_cselect_b32 s16, s20, -1
	s_cmp_lg_u32 s16, 0
	s_cselect_b32 s17, s17, s18
	s_cselect_b32 s16, s19, s3
	s_xor_b64 s[16:17], s[16:17], s[10:11]
	s_sub_u32 s20, s16, s10
	s_load_dwordx4 s[16:19], s[4:5], 0x44
	s_cbranch_execnz .LBB27_3
.LBB27_2:
	v_cvt_f32_u32_e32 v1, s9
	s_sub_i32 s0, 0, s9
	v_rcp_iflag_f32_e32 v1, v1
	v_mul_f32_e32 v1, 0x4f7ffffe, v1
	v_cvt_u32_f32_e32 v1, v1
	v_readfirstlane_b32 s1, v1
	s_mul_i32 s0, s0, s1
	s_mul_hi_u32 s0, s1, s0
	s_add_i32 s1, s1, s0
	s_mul_hi_u32 s0, s2, s1
	s_mul_i32 s3, s0, s9
	s_sub_i32 s2, s2, s3
	s_add_i32 s1, s0, 1
	s_sub_i32 s3, s2, s9
	s_cmp_ge_u32 s2, s9
	s_cselect_b32 s0, s1, s0
	s_cselect_b32 s2, s3, s2
	s_add_i32 s1, s0, 1
	s_cmp_ge_u32 s2, s9
	s_cselect_b32 s20, s1, s0
.LBB27_3:
	s_add_i32 s0, s6, 1
	s_mul_hi_i32 s3, s15, s0
	s_mov_b32 s2, 0
	s_cmp_lg_u64 s[2:3], 0
	s_mul_i32 s2, s15, s0
	s_cbranch_scc0 .LBB27_22
; %bb.4:
	v_cvt_f32_u32_e32 v1, s9
	v_cvt_f32_ubyte0_e32 v2, 0
	s_sub_u32 s10, 0, s9
	s_subb_u32 s11, 0, 0
	v_madmk_f32 v1, v2, 0x4f800000, v1
	v_rcp_f32_e32 v1, v1
	v_mul_f32_e32 v1, 0x5f7ffffc, v1
	v_mul_f32_e32 v2, 0x2f800000, v1
	v_trunc_f32_e32 v2, v2
	v_madmk_f32 v1, v2, 0xcf800000, v1
	v_cvt_u32_f32_e32 v2, v2
	v_cvt_u32_f32_e32 v1, v1
	s_waitcnt lgkmcnt(0)
	v_readfirstlane_b32 s19, v2
	v_readfirstlane_b32 s21, v1
	s_mul_i32 s22, s10, s19
	s_mul_hi_u32 s24, s10, s21
	s_mul_i32 s23, s11, s21
	s_add_i32 s22, s24, s22
	s_add_i32 s22, s22, s23
	s_mul_i32 s25, s10, s21
	s_mul_hi_u32 s23, s21, s22
	s_mul_i32 s24, s21, s22
	s_mul_hi_u32 s21, s21, s25
	s_add_u32 s21, s21, s24
	s_addc_u32 s23, 0, s23
	s_mul_hi_u32 s26, s19, s25
	s_mul_i32 s25, s19, s25
	s_add_u32 s21, s21, s25
	s_mul_hi_u32 s24, s19, s22
	s_addc_u32 s21, s23, s26
	s_addc_u32 s23, s24, 0
	s_mul_i32 s22, s19, s22
	s_add_u32 s21, s21, s22
	s_addc_u32 s22, 0, s23
	v_add_co_u32_e32 v1, vcc, s21, v1
	s_cmp_lg_u64 vcc, 0
	s_addc_u32 s19, s19, s22
	v_readfirstlane_b32 s22, v1
	s_mul_i32 s21, s10, s19
	s_mul_hi_u32 s23, s10, s22
	s_add_i32 s21, s23, s21
	s_mul_i32 s11, s11, s22
	s_add_i32 s21, s21, s11
	s_mul_i32 s10, s10, s22
	s_mul_hi_u32 s23, s19, s10
	s_mul_i32 s24, s19, s10
	s_mul_i32 s26, s22, s21
	s_mul_hi_u32 s10, s22, s10
	s_mul_hi_u32 s25, s22, s21
	s_add_u32 s10, s10, s26
	s_addc_u32 s22, 0, s25
	s_add_u32 s10, s10, s24
	s_mul_hi_u32 s11, s19, s21
	s_addc_u32 s10, s22, s23
	s_addc_u32 s11, s11, 0
	s_mul_i32 s21, s19, s21
	s_add_u32 s10, s10, s21
	s_addc_u32 s11, 0, s11
	v_add_co_u32_e32 v1, vcc, s10, v1
	s_cmp_lg_u64 vcc, 0
	s_addc_u32 s19, s19, s11
	s_ashr_i32 s10, s3, 31
	s_add_u32 s22, s2, s10
	s_mov_b32 s11, s10
	s_addc_u32 s23, s3, s10
	s_xor_b64 s[22:23], s[22:23], s[10:11]
	v_readfirstlane_b32 s21, v1
	s_mul_i32 s11, s22, s19
	s_mul_hi_u32 s24, s22, s21
	s_mul_hi_u32 s3, s22, s19
	s_add_u32 s11, s24, s11
	s_addc_u32 s3, 0, s3
	s_mul_hi_u32 s25, s23, s21
	s_mul_i32 s21, s23, s21
	s_add_u32 s11, s11, s21
	s_mul_hi_u32 s24, s23, s19
	s_addc_u32 s3, s3, s25
	s_addc_u32 s11, s24, 0
	s_mul_i32 s19, s23, s19
	s_add_u32 s3, s3, s19
	s_addc_u32 s11, 0, s11
	s_mul_i32 s11, s9, s11
	s_mul_hi_u32 s24, s9, s3
	s_add_i32 s24, s24, s11
	s_mul_i32 s11, s9, s3
	v_mov_b32_e32 v1, s11
	s_add_u32 s19, s3, 1
	s_add_u32 s21, s3, 2
	v_sub_co_u32_e32 v1, vcc, s22, v1
	s_cmp_lg_u64 vcc, 0
	s_subb_u32 s11, s23, s24
	v_subrev_co_u32_e32 v2, vcc, s9, v1
	s_cmp_lg_u64 vcc, 0
	s_subb_u32 s22, s11, 0
	v_cmp_le_u32_e32 vcc, s9, v2
	s_cmp_eq_u32 s22, 0
	v_cndmask_b32_e64 v2, 0, -1, vcc
	s_cselect_b64 vcc, -1, 0
	v_cndmask_b32_e32 v2, -1, v2, vcc
	v_mov_b32_e32 v3, s19
	v_mov_b32_e32 v4, s21
	v_cmp_ne_u32_e32 vcc, 0, v2
	v_cndmask_b32_e32 v2, v3, v4, vcc
	v_cmp_le_u32_e32 vcc, s9, v1
	s_cmp_eq_u32 s11, 0
	v_cndmask_b32_e64 v1, 0, -1, vcc
	s_cselect_b64 vcc, -1, 0
	v_cndmask_b32_e32 v1, -1, v1, vcc
	v_mov_b32_e32 v3, s3
	v_cmp_ne_u32_e32 vcc, 0, v1
	v_cndmask_b32_e32 v1, v3, v2, vcc
	v_xor_b32_e32 v1, s10, v1
	v_subrev_co_u32_e32 v2, vcc, s10, v1
	s_cbranch_execnz .LBB27_6
.LBB27_5:
	v_cvt_f32_u32_e32 v1, s9
	s_sub_i32 s0, 0, s9
	s_mov_b32 s1, 0
	v_rcp_iflag_f32_e32 v1, v1
	v_mul_f32_e32 v1, 0x4f7ffffe, v1
	v_cvt_u32_f32_e32 v1, v1
	v_readfirstlane_b32 s3, v1
	s_mul_i32 s0, s0, s3
	s_mul_hi_u32 s0, s3, s0
	s_add_i32 s3, s3, s0
	s_mul_hi_u32 s0, s2, s3
	s_mul_i32 s10, s0, s9
	s_sub_i32 s2, s2, s10
	s_add_i32 s3, s0, 1
	s_sub_i32 s10, s2, s9
	s_cmp_ge_u32 s2, s9
	s_cselect_b32 s0, s3, s0
	s_cselect_b32 s2, s10, s2
	s_add_i32 s3, s0, 1
	s_cmp_ge_u32 s2, s9
	s_cselect_b32 s0, s3, s0
	v_pk_mov_b32 v[2:3], s[0:1], s[0:1] op_sel:[0,1]
.LBB27_6:
	s_waitcnt lgkmcnt(0)
	s_mul_hi_u32 s0, s20, s16
	s_add_i32 s0, s0, s20
	v_mul_hi_u32 v1, v2, s16
	s_lshr_b32 s19, s0, s17
	v_add_u32_e32 v1, v1, v2
	s_mul_i32 s0, s19, s18
	v_lshrrev_b32_e32 v1, s17, v1
	s_cmp_eq_u32 s0, s20
	v_cmp_eq_u32_e64 s[0:1], s19, v1
	v_mul_lo_u32 v1, v1, s18
	v_cmp_eq_u32_e32 vcc, s20, v2
	s_cselect_b64 s[10:11], -1, 0
	v_cmp_ne_u32_e64 s[2:3], v1, v2
	s_and_b64 s[0:1], s[0:1], s[2:3]
	s_or_b64 s[2:3], vcc, s[10:11]
	s_or_b64 s[0:1], s[2:3], s[0:1]
	s_and_b64 vcc, exec, s[0:1]
	s_cbranch_vccnz .LBB27_24
; %bb.7:
	s_load_dwordx8 s[24:31], s[4:5], 0x20
	s_load_dword s0, s[4:5], 0x40
	s_mov_b32 s10, 0
	s_waitcnt lgkmcnt(0)
	s_mul_hi_u32 s1, s20, s24
	s_add_i32 s1, s1, s20
	s_lshr_b32 s11, s1, s25
	s_mul_i32 s1, s11, s26
	s_sub_i32 s1, s20, s1
	s_mul_hi_u32 s2, s1, s27
	s_add_i32 s2, s1, s2
	s_lshr_b32 s24, s2, s28
	s_mul_i32 s2, s24, s29
	s_sub_i32 s1, s1, s2
	s_mul_hi_u32 s2, s1, s30
	s_add_i32 s2, s1, s2
	s_lshr_b32 s2, s2, s31
	s_mul_i32 s0, s2, s0
	s_sub_i32 s0, s1, s0
	s_mul_hi_u32 s1, s0, s16
	s_add_i32 s0, s0, s1
	s_lshr_b32 s26, s0, s17
	s_lshl_b32 s0, s26, 3
	s_lshl_b32 s25, s2, 1
	s_add_i32 s0, s0, s7
	s_cmp_lt_i32 s0, s12
	s_cselect_b64 s[0:1], -1, 0
	s_add_i32 s2, s25, s8
	s_cmp_lt_i32 s2, s14
	s_cselect_b64 s[2:3], -1, 0
	s_and_b64 s[0:1], s[0:1], s[2:3]
	s_andn2_b64 vcc, exec, s[0:1]
	s_cbranch_vccnz .LBB27_24
; %bb.8:
	s_load_dwordx4 s[0:3], s[4:5], 0x0
	s_lshl_b32 s21, s7, 1
	s_lshl_b32 s4, s9, 6
	s_mov_b32 s5, s10
	s_add_i32 s21, s21, s8
	s_lshl_b64 s[4:5], s[4:5], 2
	s_waitcnt lgkmcnt(0)
	s_add_u32 s22, s2, s4
	s_mul_i32 s4, s11, s12
	s_addc_u32 s23, s3, s5
	s_add_i32 s4, s4, s7
	s_mul_i32 s4, s4, s13
	s_mul_i32 s24, s24, s14
	s_add_i32 s4, s4, s8
	s_add_i32 s4, s4, s24
	s_mul_i32 s5, s13, s26
	s_add_i32 s4, s4, s25
	s_lshl_b32 s5, s5, 10
	s_lshl_b32 s4, s4, 7
	s_add_i32 s5, s5, s4
	v_or_b32_e32 v2, s5, v0
	v_ashrrev_i32_e32 v3, 31, v2
	v_lshlrev_b64 v[2:3], 2, v[2:3]
	v_mov_b32_e32 v1, s1
	v_add_co_u32_e32 v2, vcc, s0, v2
	v_addc_co_u32_e32 v3, vcc, v1, v3, vcc
	global_load_dword v5, v[2:3], off
	v_lshl_or_b32 v4, s21, 7, v0
	v_cvt_f32_u32_e32 v0, s9
	v_cvt_f32_ubyte0_e32 v1, 0
	s_lshl_b32 s0, s6, 4
	s_add_i32 s0, s21, s0
	v_mac_f32_e32 v0, 0x4f800000, v1
	v_rcp_f32_e32 v0, v0
	v_cvt_f32_u32_e32 v1, s9
	s_ashr_i32 s1, s0, 31
	s_lshl_b64 s[0:1], s[0:1], 3
	v_mul_f32_e32 v0, 0x5f7ffffc, v0
	v_rcp_iflag_f32_e32 v1, v1
	s_add_u32 s0, s2, s0
	v_mul_f32_e32 v9, 0x2f800000, v0
	s_addc_u32 s1, s3, s1
	v_trunc_f32_e32 v10, v9
	s_load_dwordx2 s[0:1], s[0:1], 0x0
	v_mac_f32_e32 v0, 0xcf800000, v10
	v_cvt_u32_f32_e32 v9, v0
	v_mul_f32_e32 v0, 0x4f7ffffe, v1
	v_cvt_u32_f32_e32 v10, v10
	v_cvt_u32_f32_e32 v11, v0
	s_add_i32 s8, s6, -1
	s_waitcnt lgkmcnt(0)
	v_mov_b32_e32 v6, s1
	v_mov_b32_e32 v7, s0
	;; [unrolled: 1-line block ×3, first 2 shown]
	s_mov_b32 s6, 0x3fb8aa3b
	s_mov_b32 s7, 0xc2ce8ed0
	;; [unrolled: 1-line block ×4, first 2 shown]
	v_mov_b32_e32 v12, 0x7f800000
	s_mul_hi_i32 s11, s8, s15
	s_cmp_lg_u64 s[10:11], 0
	s_mul_i32 s4, s8, s15
	s_cbranch_scc0 .LBB27_15
.LBB27_9:
	s_sub_u32 s0, 0, s9
	v_readfirstlane_b32 s5, v9
	v_readfirstlane_b32 s24, v10
	s_subb_u32 s1, 0, 0
	s_mul_hi_u32 s20, s0, s5
	s_mul_i32 s25, s0, s24
	s_mul_i32 s14, s1, s5
	s_add_i32 s20, s20, s25
	s_add_i32 s20, s20, s14
	s_mul_i32 s26, s0, s5
	s_mul_hi_u32 s14, s5, s20
	s_mul_i32 s25, s5, s20
	s_mul_hi_u32 s5, s5, s26
	s_add_u32 s5, s5, s25
	s_addc_u32 s14, 0, s14
	s_mul_hi_u32 s27, s24, s26
	s_mul_i32 s26, s24, s26
	s_add_u32 s5, s5, s26
	s_mul_hi_u32 s25, s24, s20
	s_addc_u32 s5, s14, s27
	s_addc_u32 s14, s25, 0
	s_mul_i32 s20, s24, s20
	s_add_u32 s5, s5, s20
	s_addc_u32 s14, 0, s14
	v_add_co_u32_e32 v0, vcc, s5, v9
	s_cmp_lg_u64 vcc, 0
	s_addc_u32 s5, s24, s14
	v_readfirstlane_b32 s20, v0
	s_mul_i32 s14, s0, s5
	s_mul_hi_u32 s24, s0, s20
	s_add_i32 s14, s24, s14
	s_mul_i32 s1, s1, s20
	s_add_i32 s14, s14, s1
	s_mul_i32 s0, s0, s20
	s_mul_hi_u32 s24, s5, s0
	s_mul_i32 s25, s5, s0
	s_mul_i32 s27, s20, s14
	s_mul_hi_u32 s0, s20, s0
	s_mul_hi_u32 s26, s20, s14
	s_add_u32 s0, s0, s27
	s_addc_u32 s20, 0, s26
	s_add_u32 s0, s0, s25
	s_mul_hi_u32 s1, s5, s14
	s_addc_u32 s0, s20, s24
	s_addc_u32 s1, s1, 0
	s_mul_i32 s14, s5, s14
	s_add_u32 s0, s0, s14
	s_addc_u32 s1, 0, s1
	v_add_co_u32_e32 v0, vcc, s0, v0
	s_cmp_lg_u64 vcc, 0
	s_addc_u32 s5, s5, s1
	s_ashr_i32 s0, s11, 31
	s_add_u32 s24, s4, s0
	s_mov_b32 s1, s0
	s_addc_u32 s25, s11, s0
	s_xor_b64 s[24:25], s[24:25], s[0:1]
	v_readfirstlane_b32 s14, v0
	s_mul_i32 s11, s24, s5
	s_mul_hi_u32 s20, s24, s14
	s_mul_hi_u32 s1, s24, s5
	s_add_u32 s11, s20, s11
	s_addc_u32 s1, 0, s1
	s_mul_hi_u32 s26, s25, s14
	s_mul_i32 s14, s25, s14
	s_add_u32 s11, s11, s14
	s_mul_hi_u32 s20, s25, s5
	s_addc_u32 s1, s1, s26
	s_addc_u32 s11, s20, 0
	s_mul_i32 s5, s25, s5
	s_add_u32 s1, s1, s5
	s_addc_u32 s5, 0, s11
	s_mul_i32 s5, s9, s5
	s_mul_hi_u32 s20, s9, s1
	s_add_i32 s20, s20, s5
	s_mul_i32 s5, s9, s1
	v_mov_b32_e32 v0, s5
	s_add_u32 s11, s1, 1
	s_add_u32 s14, s1, 2
	v_sub_co_u32_e32 v0, vcc, s24, v0
	s_cmp_lg_u64 vcc, 0
	s_subb_u32 s5, s25, s20
	v_subrev_co_u32_e32 v1, vcc, s9, v0
	s_cmp_lg_u64 vcc, 0
	s_subb_u32 s20, s5, 0
	v_cmp_le_u32_e32 vcc, s9, v1
	s_cmp_eq_u32 s20, 0
	v_cndmask_b32_e64 v1, 0, -1, vcc
	s_cselect_b64 vcc, -1, 0
	v_cndmask_b32_e32 v1, -1, v1, vcc
	v_mov_b32_e32 v13, s11
	v_mov_b32_e32 v14, s14
	v_cmp_ne_u32_e32 vcc, 0, v1
	v_cndmask_b32_e32 v1, v13, v14, vcc
	v_cmp_le_u32_e32 vcc, s9, v0
	s_cmp_eq_u32 s5, 0
	v_cndmask_b32_e64 v0, 0, -1, vcc
	s_cselect_b64 vcc, -1, 0
	v_cndmask_b32_e32 v0, -1, v0, vcc
	v_mov_b32_e32 v13, s1
	v_cmp_ne_u32_e32 vcc, 0, v0
	v_cndmask_b32_e32 v0, v13, v1, vcc
	v_xor_b32_e32 v0, s0, v0
	v_subrev_co_u32_e32 v0, vcc, s0, v0
	s_cbranch_execnz .LBB27_11
.LBB27_10:
	s_sub_i32 s0, 0, s9
	v_mul_lo_u32 v0, s0, v11
	v_mul_hi_u32 v0, v11, v0
	v_add_u32_e32 v0, v11, v0
	v_mul_hi_u32 v0, s4, v0
	v_mul_lo_u32 v13, v0, s9
	v_sub_u32_e32 v13, s4, v13
	v_add_u32_e32 v1, 1, v0
	v_subrev_u32_e32 v14, s9, v13
	v_cmp_le_u32_e32 vcc, s9, v13
	v_cndmask_b32_e32 v13, v13, v14, vcc
	v_cndmask_b32_e32 v0, v0, v1, vcc
	v_add_u32_e32 v1, 1, v0
	v_cmp_le_u32_e32 vcc, s9, v13
	v_cndmask_b32_e32 v0, v0, v1, vcc
.LBB27_11:
	v_cmp_ne_u32_e32 vcc, v8, v0
	s_cbranch_vccz .LBB27_14
; %bb.12:
	s_add_i32 s0, s8, s9
	s_lshl_b32 s0, s0, 4
	v_mul_hi_u32 v1, v0, s16
	s_add_i32 s0, s0, s21
	s_mov_b32 s1, s10
	v_add_u32_e32 v1, v1, v0
	s_lshl_b64 s[0:1], s[0:1], 3
	v_lshrrev_b32_e32 v1, s17, v1
	s_add_u32 s4, s2, s0
	v_mul_lo_u32 v13, v1, s18
	s_addc_u32 s5, s3, s1
	v_cmp_eq_u32_e32 vcc, v13, v0
	v_cmp_gt_u32_e64 s[0:1], s19, v1
	s_or_b64 s[0:1], s[0:1], vcc
	s_and_b64 vcc, exec, s[0:1]
	s_cbranch_vccnz .LBB27_16
; %bb.13:
	s_add_i32 s11, s8, -1
	s_mov_b64 s[0:1], 0
	s_branch .LBB27_17
.LBB27_14:
                                        ; implicit-def: $sgpr0_sgpr1
                                        ; implicit-def: $vgpr14
                                        ; implicit-def: $vgpr1
                                        ; implicit-def: $vgpr13
                                        ; implicit-def: $sgpr11
                                        ; implicit-def: $vgpr0
	s_branch .LBB27_18
.LBB27_15:
                                        ; implicit-def: $vgpr0_vgpr1
	s_branch .LBB27_10
.LBB27_16:
	s_mov_b64 s[0:1], -1
	s_mov_b32 s11, s8
	v_mov_b32_e32 v0, v8
.LBB27_17:
	v_lshl_add_u32 v14, s8, 11, v4
	v_ashrrev_i32_e32 v15, 31, v14
	v_lshlrev_b64 v[14:15], 2, v[14:15]
	v_mov_b32_e32 v1, s23
	v_add_co_u32_e32 v14, vcc, s22, v14
	v_addc_co_u32_e32 v15, vcc, v1, v15, vcc
	global_load_dword v14, v[14:15], off
	s_load_dwordx2 s[4:5], s[4:5], 0x0
	v_max_f32_e32 v1, v7, v7
	s_waitcnt lgkmcnt(0)
	v_max_f32_e64 v13, s4, s4
	v_max_f32_e32 v1, v1, v13
	v_sub_f32_e32 v13, v7, v1
	v_sub_f32_e32 v15, s4, v1
	v_mul_f32_e32 v16, 0x3fb8aa3b, v13
	v_mul_f32_e32 v17, 0x3fb8aa3b, v15
	v_fma_f32 v18, v13, s6, -v16
	v_rndne_f32_e32 v19, v16
	v_fma_f32 v20, v15, s6, -v17
	v_rndne_f32_e32 v21, v17
	v_fmac_f32_e32 v18, 0x32a5705f, v13
	v_sub_f32_e32 v16, v16, v19
	v_fmac_f32_e32 v20, 0x32a5705f, v15
	v_sub_f32_e32 v17, v17, v21
	v_add_f32_e32 v16, v16, v18
	v_cvt_i32_f32_e32 v19, v19
	v_add_f32_e32 v17, v17, v20
	v_exp_f32_e32 v16, v16
	v_cvt_i32_f32_e32 v21, v21
	v_exp_f32_e32 v17, v17
	v_cmp_ngt_f32_e32 vcc, s7, v13
	v_ldexp_f32 v16, v16, v19
	v_cndmask_b32_e32 v16, 0, v16, vcc
	v_ldexp_f32 v17, v17, v21
	v_cmp_ngt_f32_e32 vcc, s7, v15
	v_cndmask_b32_e32 v17, 0, v17, vcc
	v_cmp_nlt_f32_e32 vcc, s12, v13
	v_cndmask_b32_e32 v16, v12, v16, vcc
	v_cmp_nlt_f32_e32 vcc, s12, v15
	v_cndmask_b32_e32 v17, v12, v17, vcc
	v_cmp_le_f32_e32 vcc, s13, v13
	v_cndmask_b32_e32 v16, 0, v16, vcc
	v_cmp_le_f32_e32 vcc, s13, v15
	v_cndmask_b32_e32 v15, 0, v17, vcc
	v_mul_f32_e32 v13, s5, v15
	v_fmac_f32_e32 v13, v6, v16
	s_waitcnt vmcnt(0)
	v_mul_f32_e32 v14, v14, v15
	v_fmac_f32_e32 v14, v5, v16
	s_cbranch_execnz .LBB27_19
.LBB27_18:
	s_add_i32 s11, s8, -1
	s_mov_b64 s[0:1], 0
	v_mov_b32_e32 v0, v8
	v_mov_b32_e32 v13, v6
	;; [unrolled: 1-line block ×3, first 2 shown]
	s_waitcnt vmcnt(0)
	v_mov_b32_e32 v14, v5
.LBB27_19:
	s_andn2_b64 vcc, exec, s[0:1]
	s_cbranch_vccz .LBB27_23
; %bb.20:
	v_mov_b32_e32 v8, v0
	s_mov_b32 s8, s11
	v_mov_b32_e32 v6, v13
	v_mov_b32_e32 v7, v1
	s_waitcnt vmcnt(0)
	v_mov_b32_e32 v5, v14
	s_mul_hi_i32 s11, s8, s15
	s_cmp_lg_u64 s[10:11], 0
	s_mul_i32 s4, s8, s15
	s_cbranch_scc1 .LBB27_9
	s_branch .LBB27_15
.LBB27_21:
                                        ; implicit-def: $sgpr20_sgpr21
	s_load_dwordx4 s[16:19], s[4:5], 0x44
	s_branch .LBB27_2
.LBB27_22:
                                        ; implicit-def: $vgpr2_vgpr3
	s_branch .LBB27_5
.LBB27_23:
	v_div_scale_f32 v0, s[0:1], v13, v13, v14
	v_rcp_f32_e32 v1, v0
	v_div_scale_f32 v4, vcc, v14, v13, v14
	s_waitcnt vmcnt(0)
	v_fma_f32 v5, -v0, v1, 1.0
	v_fmac_f32_e32 v1, v5, v1
	v_mul_f32_e32 v5, v4, v1
	v_fma_f32 v6, -v0, v5, v4
	v_fmac_f32_e32 v5, v6, v1
	v_fma_f32 v0, -v0, v5, v4
	v_div_fmas_f32 v0, v0, v1, v5
	v_div_fixup_f32 v0, v0, v13, v14
	global_store_dword v[2:3], v0, off
.LBB27_24:
	s_endpgm
	.section	.rodata,"a",@progbits
	.p2align	6, 0x0
	.amdhsa_kernel _ZL33flash_attn_stream_k_fixup_generalILi128ELi8ELi2EEvPfPK15HIP_vector_typeIfLj2EEiiiiS1_IjLj3EES5_S5_S5_
		.amdhsa_group_segment_fixed_size 0
		.amdhsa_private_segment_fixed_size 0
		.amdhsa_kernarg_size 336
		.amdhsa_user_sgpr_count 6
		.amdhsa_user_sgpr_private_segment_buffer 1
		.amdhsa_user_sgpr_dispatch_ptr 0
		.amdhsa_user_sgpr_queue_ptr 0
		.amdhsa_user_sgpr_kernarg_segment_ptr 1
		.amdhsa_user_sgpr_dispatch_id 0
		.amdhsa_user_sgpr_flat_scratch_init 0
		.amdhsa_user_sgpr_kernarg_preload_length 0
		.amdhsa_user_sgpr_kernarg_preload_offset 0
		.amdhsa_user_sgpr_private_segment_size 0
		.amdhsa_uses_dynamic_stack 0
		.amdhsa_system_sgpr_private_segment_wavefront_offset 0
		.amdhsa_system_sgpr_workgroup_id_x 1
		.amdhsa_system_sgpr_workgroup_id_y 1
		.amdhsa_system_sgpr_workgroup_id_z 1
		.amdhsa_system_sgpr_workgroup_info 0
		.amdhsa_system_vgpr_workitem_id 0
		.amdhsa_next_free_vgpr 22
		.amdhsa_next_free_sgpr 32
		.amdhsa_accum_offset 24
		.amdhsa_reserve_vcc 1
		.amdhsa_reserve_flat_scratch 0
		.amdhsa_float_round_mode_32 0
		.amdhsa_float_round_mode_16_64 0
		.amdhsa_float_denorm_mode_32 3
		.amdhsa_float_denorm_mode_16_64 3
		.amdhsa_dx10_clamp 1
		.amdhsa_ieee_mode 1
		.amdhsa_fp16_overflow 0
		.amdhsa_tg_split 0
		.amdhsa_exception_fp_ieee_invalid_op 0
		.amdhsa_exception_fp_denorm_src 0
		.amdhsa_exception_fp_ieee_div_zero 0
		.amdhsa_exception_fp_ieee_overflow 0
		.amdhsa_exception_fp_ieee_underflow 0
		.amdhsa_exception_fp_ieee_inexact 0
		.amdhsa_exception_int_div_zero 0
	.end_amdhsa_kernel
	.section	.text._ZL33flash_attn_stream_k_fixup_generalILi128ELi8ELi2EEvPfPK15HIP_vector_typeIfLj2EEiiiiS1_IjLj3EES5_S5_S5_,"axG",@progbits,_ZL33flash_attn_stream_k_fixup_generalILi128ELi8ELi2EEvPfPK15HIP_vector_typeIfLj2EEiiiiS1_IjLj3EES5_S5_S5_,comdat
.Lfunc_end27:
	.size	_ZL33flash_attn_stream_k_fixup_generalILi128ELi8ELi2EEvPfPK15HIP_vector_typeIfLj2EEiiiiS1_IjLj3EES5_S5_S5_, .Lfunc_end27-_ZL33flash_attn_stream_k_fixup_generalILi128ELi8ELi2EEvPfPK15HIP_vector_typeIfLj2EEiiiiS1_IjLj3EES5_S5_S5_
                                        ; -- End function
	.section	.AMDGPU.csdata,"",@progbits
; Kernel info:
; codeLenInByte = 2824
; NumSgprs: 36
; NumVgprs: 22
; NumAgprs: 0
; TotalNumVgprs: 22
; ScratchSize: 0
; MemoryBound: 0
; FloatMode: 240
; IeeeMode: 1
; LDSByteSize: 0 bytes/workgroup (compile time only)
; SGPRBlocks: 4
; VGPRBlocks: 2
; NumSGPRsForWavesPerEU: 36
; NumVGPRsForWavesPerEU: 22
; AccumOffset: 24
; Occupancy: 8
; WaveLimiterHint : 0
; COMPUTE_PGM_RSRC2:SCRATCH_EN: 0
; COMPUTE_PGM_RSRC2:USER_SGPR: 6
; COMPUTE_PGM_RSRC2:TRAP_HANDLER: 0
; COMPUTE_PGM_RSRC2:TGID_X_EN: 1
; COMPUTE_PGM_RSRC2:TGID_Y_EN: 1
; COMPUTE_PGM_RSRC2:TGID_Z_EN: 1
; COMPUTE_PGM_RSRC2:TIDIG_COMP_CNT: 0
; COMPUTE_PGM_RSRC3_GFX90A:ACCUM_OFFSET: 5
; COMPUTE_PGM_RSRC3_GFX90A:TG_SPLIT: 0
	.section	.text._ZL26flash_attn_combine_resultsILi128EEvPKfPK15HIP_vector_typeIfLj2EEPfi,"axG",@progbits,_ZL26flash_attn_combine_resultsILi128EEvPKfPK15HIP_vector_typeIfLj2EEPfi,comdat
	.globl	_ZL26flash_attn_combine_resultsILi128EEvPKfPK15HIP_vector_typeIfLj2EEPfi ; -- Begin function _ZL26flash_attn_combine_resultsILi128EEvPKfPK15HIP_vector_typeIfLj2EEPfi
	.p2align	8
	.type	_ZL26flash_attn_combine_resultsILi128EEvPKfPK15HIP_vector_typeIfLj2EEPfi,@function
_ZL26flash_attn_combine_resultsILi128EEvPKfPK15HIP_vector_typeIfLj2EEPfi: ; @_ZL26flash_attn_combine_resultsILi128EEvPKfPK15HIP_vector_typeIfLj2EEPfi
; %bb.0:
	s_load_dwordx2 s[10:11], s[4:5], 0x20
	s_load_dword s17, s[4:5], 0x18
	s_load_dwordx4 s[0:3], s[4:5], 0x0
	s_load_dwordx2 s[14:15], s[4:5], 0x10
	s_waitcnt lgkmcnt(0)
	s_mul_i32 s4, s10, s8
	s_add_i32 s4, s4, s6
	s_mul_i32 s16, s4, s11
	s_add_i32 s16, s16, s7
	s_lshl_b32 s18, s17, 1
	s_mul_i32 s4, s16, s17
	v_cmp_gt_i32_e32 vcc, s18, v0
	s_and_saveexec_b64 s[6:7], vcc
	s_cbranch_execz .LBB28_13
; %bb.1:
	v_xad_u32 v1, v0, -1, s18
	s_movk_i32 s8, 0x7f
	s_ashr_i32 s5, s4, 31
	v_cmp_lt_u32_e32 vcc, s8, v1
	s_mov_b64 s[10:11], -1
	v_mov_b32_e32 v2, v0
	s_and_saveexec_b64 s[8:9], vcc
	s_cbranch_execz .LBB28_10
; %bb.2:
	v_lshrrev_b32_e32 v6, 7, v1
	s_lshl_b64 s[10:11], s[4:5], 3
	v_add_u32_e32 v2, -1, v6
	s_add_u32 s19, s2, s10
	v_or_b32_e32 v1, 0x80, v0
	v_lshrrev_b32_e32 v3, 1, v2
	s_addc_u32 s20, s3, s11
	v_add_u32_e32 v7, 1, v3
	v_cmp_lt_u32_e32 vcc, 13, v2
	v_mov_b32_e32 v4, 0
	v_pk_mov_b32 v[2:3], v[0:1], v[0:1] op_sel:[0,1]
	s_and_saveexec_b64 s[10:11], vcc
	s_cbranch_execz .LBB28_6
; %bb.3:
	v_and_b32_e32 v8, -8, v7
	s_mov_b32 s21, 0
	v_lshl_add_u32 v9, v0, 2, 0
	s_mov_b64 s[12:13], 0
	v_mov_b32_e32 v10, s20
	v_mov_b32_e32 v5, 0
	v_pk_mov_b32 v[2:3], v[0:1], v[0:1] op_sel:[0,1]
.LBB28_4:                               ; =>This Inner Loop Header: Depth=1
	v_mov_b32_e32 v4, v2
	v_lshlrev_b64 v[26:27], 2, v[4:5]
	v_add_u32_e32 v12, 0x100, v3
	v_mov_b32_e32 v13, v5
	v_add_co_u32_e32 v26, vcc, s19, v26
	v_lshlrev_b64 v[12:13], 2, v[12:13]
	v_addc_co_u32_e32 v27, vcc, v10, v27, vcc
	v_add_u32_e32 v14, 0x200, v3
	v_mov_b32_e32 v15, v5
	v_add_co_u32_e32 v12, vcc, s19, v12
	v_lshlrev_b64 v[14:15], 2, v[14:15]
	v_addc_co_u32_e32 v13, vcc, v10, v13, vcc
	;; [unrolled: 5-line block ×7, first 2 shown]
	v_mov_b32_e32 v4, v3
	v_add_co_u32_e32 v24, vcc, s19, v24
	v_lshlrev_b64 v[28:29], 2, v[4:5]
	v_addc_co_u32_e32 v25, vcc, v10, v25, vcc
	v_add_u32_e32 v4, 0x100, v2
	v_add_co_u32_e32 v28, vcc, s19, v28
	v_addc_co_u32_e32 v29, vcc, v10, v29, vcc
	global_load_dword v1, v[26:27], off
	v_lshlrev_b64 v[26:27], 2, v[4:5]
	v_add_u32_e32 v4, 0x200, v2
	v_add_co_u32_e32 v26, vcc, s19, v26
	v_addc_co_u32_e32 v27, vcc, v10, v27, vcc
	v_lshlrev_b64 v[30:31], 2, v[4:5]
	v_add_u32_e32 v4, 0x300, v2
	global_load_dword v11, v[28:29], off
	global_load_dword v32, v[26:27], off
	;; [unrolled: 1-line block ×3, first 2 shown]
	v_add_co_u32_e32 v12, vcc, s19, v30
	v_addc_co_u32_e32 v13, vcc, v10, v31, vcc
	v_lshlrev_b64 v[26:27], 2, v[4:5]
	v_add_u32_e32 v4, 0x400, v2
	v_add_co_u32_e32 v26, vcc, s19, v26
	v_addc_co_u32_e32 v27, vcc, v10, v27, vcc
	v_lshlrev_b64 v[28:29], 2, v[4:5]
	v_add_u32_e32 v4, 0x500, v2
	global_load_dword v30, v[12:13], off
	global_load_dword v31, v[14:15], off
	;; [unrolled: 1-line block ×4, first 2 shown]
	v_add_co_u32_e32 v12, vcc, s19, v28
	v_addc_co_u32_e32 v13, vcc, v10, v29, vcc
	v_lshlrev_b64 v[14:15], 2, v[4:5]
	v_add_u32_e32 v4, 0x600, v2
	v_add_co_u32_e32 v14, vcc, s19, v14
	v_addc_co_u32_e32 v15, vcc, v10, v15, vcc
	v_lshlrev_b64 v[16:17], 2, v[4:5]
	v_add_u32_e32 v4, 0x700, v2
	global_load_dword v26, v[12:13], off
	global_load_dword v27, v[18:19], off
	;; [unrolled: 1-line block ×4, first 2 shown]
	v_add_co_u32_e32 v12, vcc, s19, v16
	v_addc_co_u32_e32 v13, vcc, v10, v17, vcc
	v_lshlrev_b64 v[14:15], 2, v[4:5]
	v_add_co_u32_e32 v14, vcc, s19, v14
	v_addc_co_u32_e32 v15, vcc, v10, v15, vcc
	global_load_dword v16, v[12:13], off
	global_load_dword v17, v[22:23], off
	;; [unrolled: 1-line block ×4, first 2 shown]
	v_add_u32_e32 v8, -8, v8
	s_add_i32 s21, s21, 16
	v_cmp_eq_u32_e32 vcc, 0, v8
	v_add_u32_e32 v3, 0x800, v3
	v_mov_b32_e32 v4, s21
	s_or_b64 s[12:13], vcc, s[12:13]
	v_add_u32_e32 v2, 0x800, v2
	s_waitcnt vmcnt(14)
	ds_write2st64_b32 v9, v1, v11 offset1:2
	s_waitcnt vmcnt(12)
	ds_write2st64_b32 v9, v32, v33 offset0:4 offset1:6
	s_waitcnt vmcnt(10)
	ds_write2st64_b32 v9, v30, v31 offset0:8 offset1:10
	;; [unrolled: 2-line block ×7, first 2 shown]
	v_add_u32_e32 v9, 0x2000, v9
	s_andn2_b64 exec, exec, s[12:13]
	s_cbranch_execnz .LBB28_4
; %bb.5:
	s_or_b64 exec, exec, s[12:13]
.LBB28_6:
	s_or_b64 exec, exec, s[10:11]
	v_and_b32_e32 v1, 7, v7
	v_cmp_ne_u32_e32 vcc, 0, v1
	s_and_saveexec_b64 s[10:11], vcc
	s_cbranch_execz .LBB28_9
; %bb.7:
	v_lshlrev_b32_e32 v5, 2, v0
	v_lshl_or_b32 v4, v4, 9, v5
	v_add_u32_e32 v7, 0, v4
	s_mov_b64 s[12:13], 0
	v_mov_b32_e32 v8, s20
	v_mov_b32_e32 v5, 0
.LBB28_8:                               ; =>This Inner Loop Header: Depth=1
	v_mov_b32_e32 v4, v2
	v_lshlrev_b64 v[10:11], 2, v[4:5]
	v_mov_b32_e32 v4, v3
	v_add_co_u32_e32 v10, vcc, s19, v10
	v_addc_co_u32_e32 v11, vcc, v8, v11, vcc
	v_lshlrev_b64 v[12:13], 2, v[4:5]
	v_add_co_u32_e32 v12, vcc, s19, v12
	v_addc_co_u32_e32 v13, vcc, v8, v13, vcc
	global_load_dword v4, v[10:11], off
	global_load_dword v9, v[12:13], off
	v_add_u32_e32 v1, -1, v1
	v_cmp_eq_u32_e32 vcc, 0, v1
	v_add_u32_e32 v2, 0x100, v2
	v_add_u32_e32 v3, 0x100, v3
	s_or_b64 s[12:13], vcc, s[12:13]
	s_waitcnt vmcnt(0)
	ds_write2st64_b32 v7, v4, v9 offset1:2
	v_add_u32_e32 v7, 0x400, v7
	s_andn2_b64 exec, exec, s[12:13]
	s_cbranch_execnz .LBB28_8
.LBB28_9:
	s_or_b64 exec, exec, s[10:11]
	v_add_u32_e32 v1, 1, v6
	v_and_b32_e32 v3, 0x3fffffe, v1
	v_cmp_ne_u32_e32 vcc, v1, v3
	v_lshl_or_b32 v2, v3, 7, v0
	s_orn2_b64 s[10:11], vcc, exec
.LBB28_10:
	s_or_b64 exec, exec, s[8:9]
	s_and_b64 exec, exec, s[10:11]
	s_cbranch_execz .LBB28_13
; %bb.11:
	s_lshl_b64 s[8:9], s[4:5], 3
	v_mov_b32_e32 v3, 0
	s_add_u32 s2, s2, s8
	v_lshlrev_b64 v[4:5], 2, v[2:3]
	s_addc_u32 s3, s3, s9
	v_mov_b32_e32 v1, s3
	v_add_co_u32_e32 v4, vcc, s2, v4
	v_addc_co_u32_e32 v5, vcc, v1, v5, vcc
	v_lshl_add_u32 v1, v2, 2, 0
	s_mov_b64 s[2:3], 0
.LBB28_12:                              ; =>This Inner Loop Header: Depth=1
	global_load_dword v3, v[4:5], off
	v_add_co_u32_e32 v4, vcc, 0x200, v4
	v_add_u32_e32 v2, 0x80, v2
	v_addc_co_u32_e32 v5, vcc, 0, v5, vcc
	v_cmp_le_i32_e32 vcc, s18, v2
	s_or_b64 s[2:3], vcc, s[2:3]
	s_waitcnt vmcnt(0)
	ds_write_b32 v1, v3
	v_add_u32_e32 v1, 0x200, v1
	s_andn2_b64 exec, exec, s[2:3]
	s_cbranch_execnz .LBB28_12
.LBB28_13:
	s_or_b64 exec, exec, s[6:7]
	v_mov_b32_e32 v1, 0
	s_waitcnt lgkmcnt(0)
	s_barrier
	ds_read_b32 v1, v1
	s_cmp_lt_i32 s17, 2
	s_cbranch_scc1 .LBB28_21
; %bb.14:
	s_add_i32 s2, s17, -1
	s_add_i32 s3, s17, -2
	s_cmp_lt_u32 s3, 7
	s_cbranch_scc1 .LBB28_18
; %bb.15:
	s_mov_b32 s6, 0
	s_add_i32 s3, 0, 8
	s_and_b32 s5, s2, -8
.LBB28_16:                              ; =>This Inner Loop Header: Depth=1
	v_mov_b32_e32 v8, s3
	ds_read2_b32 v[2:3], v8 offset1:2
	ds_read2_b32 v[4:5], v8 offset0:4 offset1:6
	ds_read2_b32 v[6:7], v8 offset0:8 offset1:10
	;; [unrolled: 1-line block ×3, first 2 shown]
	s_mov_b32 s7, s6
	s_waitcnt lgkmcnt(3)
	v_max3_f32 v1, v1, v2, v3
	s_waitcnt lgkmcnt(2)
	v_max3_f32 v1, v1, v4, v5
	s_add_i32 s3, s3, 64
	s_add_i32 s6, s6, 8
	s_waitcnt lgkmcnt(1)
	v_max3_f32 v1, v1, v6, v7
	s_cmp_eq_u32 s5, s6
	s_waitcnt lgkmcnt(0)
	v_max3_f32 v1, v1, v8, v9
	s_cbranch_scc0 .LBB28_16
; %bb.17:
	s_add_i32 s3, s7, 9
	s_and_b32 s2, s2, 7
	s_cmp_eq_u32 s2, 0
	s_cbranch_scc0 .LBB28_19
	s_branch .LBB28_21
.LBB28_18:
	s_mov_b32 s3, 1
	s_and_b32 s2, s2, 7
	s_cmp_eq_u32 s2, 0
	s_cbranch_scc1 .LBB28_21
.LBB28_19:
	s_lshl_b32 s3, s3, 3
	s_add_i32 s3, s3, 0
.LBB28_20:                              ; =>This Inner Loop Header: Depth=1
	v_mov_b32_e32 v2, s3
	ds_read_b32 v2, v2
	s_waitcnt lgkmcnt(1)
	v_max_f32_e32 v1, v1, v1
	s_add_i32 s3, s3, 8
	s_add_i32 s2, s2, -1
	s_cmp_lg_u32 s2, 0
	s_waitcnt lgkmcnt(0)
	v_max_f32_e32 v2, v2, v2
	v_max_f32_e32 v1, v1, v2
	s_cbranch_scc1 .LBB28_20
.LBB28_21:
	s_cmp_lt_i32 s17, 1
	s_cbranch_scc1 .LBB28_26
; %bb.22:
	s_lshl_b32 s2, s4, 7
	s_ashr_i32 s3, s2, 31
	s_lshl_b64 s[2:3], s[2:3], 2
	s_add_u32 s18, s0, s2
	s_addc_u32 s19, s1, s3
	s_cmp_lt_u32 s17, 8
	v_mov_b32_e32 v6, 0
	s_cbranch_scc1 .LBB28_27
; %bb.23:
	s_and_b32 s20, s17, 0x7ffffff8
	v_or_b32_e32 v2, 0x380, v0
	s_mov_b32 s21, 0
	v_mov_b32_e32 v5, 0
	s_mov_b32 s22, 0x3fb8aa3b
	s_mov_b32 s23, 0xc2ce8ed0
	;; [unrolled: 1-line block ×3, first 2 shown]
	v_mov_b32_e32 v8, 0x7f800000
	v_mov_b32_e32 v9, s19
	s_mov_b32 s25, 0
	v_mov_b32_e32 v7, 0
	v_mov_b32_e32 v6, 0
.LBB28_24:                              ; =>This Inner Loop Header: Depth=1
	v_add_u32_e32 v4, 0xfffffc80, v2
	v_lshlrev_b64 v[26:27], 2, v[4:5]
	v_mov_b32_e32 v3, v5
	v_add_co_u32_e32 v26, vcc, s18, v26
	v_lshlrev_b64 v[28:29], 2, v[2:3]
	v_addc_co_u32_e32 v27, vcc, v9, v27, vcc
	v_add_u32_e32 v4, 0xfffffd00, v2
	v_add_co_u32_e32 v28, vcc, s18, v28
	v_mov_b32_e32 v22, s21
	v_lshlrev_b64 v[30:31], 2, v[4:5]
	v_addc_co_u32_e32 v29, vcc, v9, v29, vcc
	ds_read2_b64 v[10:13], v22 offset1:1
	ds_read2_b64 v[14:17], v22 offset0:2 offset1:3
	ds_read2_b64 v[18:21], v22 offset0:4 offset1:5
	;; [unrolled: 1-line block ×3, first 2 shown]
	v_add_u32_e32 v4, 0xfffffd80, v2
	global_load_dword v3, v[26:27], off
	v_add_co_u32_e32 v26, vcc, s18, v30
	v_addc_co_u32_e32 v27, vcc, v9, v31, vcc
	v_lshlrev_b64 v[30:31], 2, v[4:5]
	v_add_u32_e32 v4, 0xfffffe00, v2
	v_add_co_u32_e32 v30, vcc, s18, v30
	v_addc_co_u32_e32 v31, vcc, v9, v31, vcc
	v_lshlrev_b64 v[32:33], 2, v[4:5]
	v_add_u32_e32 v4, 0xfffffe80, v2
	global_load_dword v34, v[26:27], off
	global_load_dword v35, v[30:31], off
	v_add_co_u32_e32 v26, vcc, s18, v32
	v_addc_co_u32_e32 v27, vcc, v9, v33, vcc
	v_lshlrev_b64 v[30:31], 2, v[4:5]
	v_add_u32_e32 v4, 0xffffff00, v2
	v_add_co_u32_e32 v30, vcc, s18, v30
	v_addc_co_u32_e32 v31, vcc, v9, v31, vcc
	v_lshlrev_b64 v[32:33], 2, v[4:5]
	global_load_dword v36, v[26:27], off
	v_add_u32_e32 v4, 0xffffff80, v2
	global_load_dword v28, v[28:29], off
	v_add_co_u32_e32 v26, vcc, s18, v32
	v_addc_co_u32_e32 v27, vcc, v9, v33, vcc
	global_load_dword v42, v[30:31], off
	s_waitcnt lgkmcnt(3)
	v_sub_f32_e32 v12, v12, v1
	global_load_dword v26, v[26:27], off
	v_lshlrev_b64 v[30:31], 2, v[4:5]
	v_add_co_u32_e32 v30, vcc, s18, v30
	v_addc_co_u32_e32 v31, vcc, v9, v31, vcc
	global_load_dword v30, v[30:31], off
	s_waitcnt lgkmcnt(2)
	v_sub_f32_e32 v14, v14, v1
	v_sub_f32_e32 v10, v10, v1
	v_mul_f32_e32 v38, 0x3fb8aa3b, v12
	v_mul_f32_e32 v39, 0x3fb8aa3b, v14
	s_waitcnt lgkmcnt(1)
	v_sub_f32_e32 v18, v18, v1
	s_waitcnt lgkmcnt(0)
	v_sub_f32_e32 v22, v22, v1
	v_mul_f32_e32 v37, 0x3fb8aa3b, v10
	v_fma_f32 v45, v12, s22, -v38
	v_rndne_f32_e32 v46, v38
	v_fma_f32 v47, v14, s22, -v39
	v_rndne_f32_e32 v48, v39
	v_sub_f32_e32 v16, v16, v1
	v_sub_f32_e32 v20, v20, v1
	v_mul_f32_e32 v41, 0x3fb8aa3b, v18
	v_mul_f32_e32 v32, 0x3fb8aa3b, v22
	v_fma_f32 v33, v10, s22, -v37
	v_rndne_f32_e32 v44, v37
	v_fmac_f32_e32 v45, 0x32a5705f, v12
	v_sub_f32_e32 v38, v38, v46
	v_fmac_f32_e32 v47, 0x32a5705f, v14
	v_sub_f32_e32 v39, v39, v48
	v_mul_f32_e32 v40, 0x3fb8aa3b, v16
	v_mul_f32_e32 v43, 0x3fb8aa3b, v20
	v_fma_f32 v27, v18, s22, -v41
	v_rndne_f32_e32 v31, v41
	v_fmac_f32_e32 v33, 0x32a5705f, v10
	v_sub_f32_e32 v37, v37, v44
	v_add_f32_e32 v38, v38, v45
	v_fma_f32 v45, v22, s22, -v32
	v_add_f32_e32 v39, v39, v47
	v_rndne_f32_e32 v47, v32
	v_fma_f32 v49, v16, s22, -v40
	v_rndne_f32_e32 v50, v40
	v_fma_f32 v29, v20, s22, -v43
	v_add_f32_e32 v33, v37, v33
	v_rndne_f32_e32 v37, v43
	v_fmac_f32_e32 v27, 0x32a5705f, v18
	v_sub_f32_e32 v41, v41, v31
	v_fmac_f32_e32 v45, 0x32a5705f, v22
	v_sub_f32_e32 v32, v32, v47
	;; [unrolled: 2-line block ×3, first 2 shown]
	v_add_f32_e32 v27, v41, v27
	v_cvt_i32_f32_e32 v44, v44
	v_fmac_f32_e32 v29, 0x32a5705f, v20
	v_sub_f32_e32 v43, v43, v37
	v_add_f32_e32 v32, v32, v45
	v_exp_f32_e32 v33, v33
	v_add_f32_e32 v40, v40, v49
	v_cvt_i32_f32_e32 v46, v46
	v_cvt_i32_f32_e32 v31, v31
	v_cvt_i32_f32_e32 v47, v47
	v_add_f32_e32 v29, v43, v29
	v_exp_f32_e32 v38, v38
	v_exp_f32_e32 v27, v27
	;; [unrolled: 1-line block ×3, first 2 shown]
	v_sub_f32_e32 v24, v24, v1
	v_cvt_i32_f32_e32 v48, v48
	v_cvt_i32_f32_e32 v50, v50
	v_cvt_i32_f32_e32 v37, v37
	v_exp_f32_e32 v39, v39
	v_exp_f32_e32 v40, v40
	;; [unrolled: 1-line block ×3, first 2 shown]
	v_mul_f32_e32 v4, 0x3fb8aa3b, v24
	v_fma_f32 v49, v24, s22, -v4
	v_rndne_f32_e32 v41, v4
	v_ldexp_f32 v33, v33, v44
	v_cmp_ngt_f32_e64 s[12:13], s23, v10
	v_fmac_f32_e32 v49, 0x32a5705f, v24
	v_sub_f32_e32 v4, v4, v41
	v_ldexp_f32 v38, v38, v46
	v_cmp_ngt_f32_e32 vcc, s23, v12
	v_ldexp_f32 v27, v27, v31
	v_ldexp_f32 v31, v32, v47
	v_cndmask_b32_e64 v32, 0, v33, s[12:13]
	v_cmp_nlt_f32_e64 s[12:13], s24, v10
	v_add_f32_e32 v4, v4, v49
	v_ldexp_f32 v39, v39, v48
	v_cmp_ngt_f32_e64 s[0:1], s23, v14
	v_ldexp_f32 v40, v40, v50
	v_cmp_ngt_f32_e64 s[2:3], s23, v16
	v_cmp_ngt_f32_e64 s[4:5], s23, v18
	v_ldexp_f32 v29, v29, v37
	v_cmp_ngt_f32_e64 s[6:7], s23, v20
	v_cmp_ngt_f32_e64 s[8:9], s23, v22
	v_cndmask_b32_e32 v33, 0, v38, vcc
	v_cmp_nlt_f32_e32 vcc, s24, v12
	v_cndmask_b32_e64 v10, v8, v32, s[12:13]
	v_cvt_i32_f32_e32 v41, v41
	v_exp_f32_e32 v4, v4
	v_cndmask_b32_e64 v12, 0, v39, s[0:1]
	v_cmp_nlt_f32_e64 s[0:1], s24, v14
	v_cndmask_b32_e64 v14, 0, v40, s[2:3]
	v_cmp_nlt_f32_e64 s[2:3], s24, v16
	;; [unrolled: 2-line block ×5, first 2 shown]
	v_cndmask_b32_e32 v22, v8, v33, vcc
	v_fmac_f32_e32 v7, v10, v11
	s_waitcnt vmcnt(7)
	v_fmac_f32_e32 v6, v3, v10
	v_cndmask_b32_e64 v12, v8, v12, s[0:1]
	v_fmac_f32_e32 v7, v22, v13
	s_waitcnt vmcnt(6)
	v_fmac_f32_e32 v6, v34, v22
	v_cndmask_b32_e64 v14, v8, v14, s[2:3]
	;; [unrolled: 4-line block ×3, first 2 shown]
	v_fmac_f32_e32 v7, v14, v17
	s_waitcnt vmcnt(4)
	v_fmac_f32_e32 v6, v36, v14
	v_ldexp_f32 v4, v4, v41
	v_cmp_ngt_f32_e64 s[10:11], s23, v24
	v_cndmask_b32_e64 v18, v8, v18, s[6:7]
	v_fmac_f32_e32 v7, v16, v19
	s_waitcnt vmcnt(2)
	v_fmac_f32_e32 v6, v42, v16
	v_cndmask_b32_e64 v4, 0, v4, s[10:11]
	v_cmp_nlt_f32_e64 s[10:11], s24, v24
	v_cndmask_b32_e64 v20, v8, v20, s[8:9]
	v_fmac_f32_e32 v7, v18, v21
	s_waitcnt vmcnt(1)
	v_fmac_f32_e32 v6, v26, v18
	s_add_i32 s25, s25, 8
	s_add_i32 s21, s21, 64
	v_cndmask_b32_e64 v4, v8, v4, s[10:11]
	v_fmac_f32_e32 v7, v20, v23
	s_waitcnt vmcnt(0)
	v_fmac_f32_e32 v6, v30, v20
	s_cmp_eq_u32 s20, s25
	v_add_u32_e32 v2, 0x400, v2
	v_fmac_f32_e32 v7, v4, v25
	v_fmac_f32_e32 v6, v28, v4
	s_cbranch_scc0 .LBB28_24
; %bb.25:
	s_and_b32 s0, s17, 7
	s_cmp_eq_u32 s0, 0
	s_cbranch_scc0 .LBB28_28
	s_branch .LBB28_30
.LBB28_26:
	s_waitcnt lgkmcnt(0)
	v_mov_b32_e32 v1, 0x7fc00000
	s_branch .LBB28_31
.LBB28_27:
	s_mov_b32 s20, 0
	v_mov_b32_e32 v7, 0
	s_and_b32 s0, s17, 7
	s_cmp_eq_u32 s0, 0
	s_cbranch_scc1 .LBB28_30
.LBB28_28:
	s_lshl_b32 s1, s20, 3
	v_lshl_or_b32 v2, s20, 7, v0
	s_add_i32 s1, s1, 0
	s_mov_b32 s2, 0x3fb8aa3b
	s_mov_b32 s3, 0xc2ce8ed0
	;; [unrolled: 1-line block ×3, first 2 shown]
	v_mov_b32_e32 v4, 0x7f800000
	v_mov_b32_e32 v3, 0
	;; [unrolled: 1-line block ×3, first 2 shown]
.LBB28_29:                              ; =>This Inner Loop Header: Depth=1
	v_lshlrev_b64 v[8:9], 2, v[2:3]
	v_add_co_u32_e32 v8, vcc, s18, v8
	v_addc_co_u32_e32 v9, vcc, v5, v9, vcc
	global_load_dword v10, v[8:9], off
	v_mov_b32_e32 v8, s1
	ds_read_b64 v[8:9], v8
	s_add_i32 s1, s1, 8
	s_add_i32 s0, s0, -1
	v_add_u32_e32 v2, 0x80, v2
	s_cmp_lg_u32 s0, 0
	s_waitcnt lgkmcnt(0)
	v_sub_f32_e32 v8, v8, v1
	v_mul_f32_e32 v11, 0x3fb8aa3b, v8
	v_fma_f32 v12, v8, s2, -v11
	v_rndne_f32_e32 v13, v11
	v_fmac_f32_e32 v12, 0x32a5705f, v8
	v_sub_f32_e32 v11, v11, v13
	v_add_f32_e32 v11, v11, v12
	v_cvt_i32_f32_e32 v13, v13
	v_exp_f32_e32 v11, v11
	v_cmp_ngt_f32_e32 vcc, s3, v8
	v_ldexp_f32 v11, v11, v13
	v_cndmask_b32_e32 v11, 0, v11, vcc
	v_cmp_nlt_f32_e32 vcc, s4, v8
	v_cndmask_b32_e32 v8, v4, v11, vcc
	v_fmac_f32_e32 v7, v8, v9
	s_waitcnt vmcnt(0)
	v_fmac_f32_e32 v6, v10, v8
	s_cbranch_scc1 .LBB28_29
.LBB28_30:
	s_waitcnt lgkmcnt(0)
	v_div_scale_f32 v1, s[0:1], v7, v7, v6
	v_rcp_f32_e32 v2, v1
	v_div_scale_f32 v3, vcc, v6, v7, v6
	v_fma_f32 v4, -v1, v2, 1.0
	v_fmac_f32_e32 v2, v4, v2
	v_mul_f32_e32 v4, v3, v2
	v_fma_f32 v5, -v1, v4, v3
	v_fmac_f32_e32 v4, v5, v2
	v_fma_f32 v1, -v1, v4, v3
	v_div_fmas_f32 v1, v1, v2, v4
	v_div_fixup_f32 v1, v1, v7, v6
.LBB28_31:
	s_lshl_b32 s0, s16, 7
	s_ashr_i32 s1, s0, 31
	s_lshl_b64 s[0:1], s[0:1], 2
	s_add_u32 s0, s14, s0
	s_addc_u32 s1, s15, s1
	v_lshlrev_b32_e32 v0, 2, v0
	global_store_dword v0, v1, s[0:1]
	s_endpgm
	.section	.rodata,"a",@progbits
	.p2align	6, 0x0
	.amdhsa_kernel _ZL26flash_attn_combine_resultsILi128EEvPKfPK15HIP_vector_typeIfLj2EEPfi
		.amdhsa_group_segment_fixed_size 0
		.amdhsa_private_segment_fixed_size 0
		.amdhsa_kernarg_size 288
		.amdhsa_user_sgpr_count 6
		.amdhsa_user_sgpr_private_segment_buffer 1
		.amdhsa_user_sgpr_dispatch_ptr 0
		.amdhsa_user_sgpr_queue_ptr 0
		.amdhsa_user_sgpr_kernarg_segment_ptr 1
		.amdhsa_user_sgpr_dispatch_id 0
		.amdhsa_user_sgpr_flat_scratch_init 0
		.amdhsa_user_sgpr_kernarg_preload_length 0
		.amdhsa_user_sgpr_kernarg_preload_offset 0
		.amdhsa_user_sgpr_private_segment_size 0
		.amdhsa_uses_dynamic_stack 0
		.amdhsa_system_sgpr_private_segment_wavefront_offset 0
		.amdhsa_system_sgpr_workgroup_id_x 1
		.amdhsa_system_sgpr_workgroup_id_y 1
		.amdhsa_system_sgpr_workgroup_id_z 1
		.amdhsa_system_sgpr_workgroup_info 0
		.amdhsa_system_vgpr_workitem_id 0
		.amdhsa_next_free_vgpr 51
		.amdhsa_next_free_sgpr 26
		.amdhsa_accum_offset 52
		.amdhsa_reserve_vcc 1
		.amdhsa_reserve_flat_scratch 0
		.amdhsa_float_round_mode_32 0
		.amdhsa_float_round_mode_16_64 0
		.amdhsa_float_denorm_mode_32 3
		.amdhsa_float_denorm_mode_16_64 3
		.amdhsa_dx10_clamp 1
		.amdhsa_ieee_mode 1
		.amdhsa_fp16_overflow 0
		.amdhsa_tg_split 0
		.amdhsa_exception_fp_ieee_invalid_op 0
		.amdhsa_exception_fp_denorm_src 0
		.amdhsa_exception_fp_ieee_div_zero 0
		.amdhsa_exception_fp_ieee_overflow 0
		.amdhsa_exception_fp_ieee_underflow 0
		.amdhsa_exception_fp_ieee_inexact 0
		.amdhsa_exception_int_div_zero 0
	.end_amdhsa_kernel
	.section	.text._ZL26flash_attn_combine_resultsILi128EEvPKfPK15HIP_vector_typeIfLj2EEPfi,"axG",@progbits,_ZL26flash_attn_combine_resultsILi128EEvPKfPK15HIP_vector_typeIfLj2EEPfi,comdat
.Lfunc_end28:
	.size	_ZL26flash_attn_combine_resultsILi128EEvPKfPK15HIP_vector_typeIfLj2EEPfi, .Lfunc_end28-_ZL26flash_attn_combine_resultsILi128EEvPKfPK15HIP_vector_typeIfLj2EEPfi
                                        ; -- End function
	.section	.AMDGPU.csdata,"",@progbits
; Kernel info:
; codeLenInByte = 3048
; NumSgprs: 30
; NumVgprs: 51
; NumAgprs: 0
; TotalNumVgprs: 51
; ScratchSize: 0
; MemoryBound: 0
; FloatMode: 240
; IeeeMode: 1
; LDSByteSize: 0 bytes/workgroup (compile time only)
; SGPRBlocks: 3
; VGPRBlocks: 6
; NumSGPRsForWavesPerEU: 30
; NumVGPRsForWavesPerEU: 51
; AccumOffset: 52
; Occupancy: 8
; WaveLimiterHint : 0
; COMPUTE_PGM_RSRC2:SCRATCH_EN: 0
; COMPUTE_PGM_RSRC2:USER_SGPR: 6
; COMPUTE_PGM_RSRC2:TRAP_HANDLER: 0
; COMPUTE_PGM_RSRC2:TGID_X_EN: 1
; COMPUTE_PGM_RSRC2:TGID_Y_EN: 1
; COMPUTE_PGM_RSRC2:TGID_Z_EN: 1
; COMPUTE_PGM_RSRC2:TIDIG_COMP_CNT: 0
; COMPUTE_PGM_RSRC3_GFX90A:ACCUM_OFFSET: 12
; COMPUTE_PGM_RSRC3_GFX90A:TG_SPLIT: 0
	.section	.text._ZL18flash_attn_ext_f16ILi256ELi256ELi8ELi2ELb0ELb0EEvPKcS1_S1_S1_S1_PKiPfP15HIP_vector_typeIfLj2EEffffjfiS5_IjLj3EEiiiiiiiiiiiliiliiiiil,"axG",@progbits,_ZL18flash_attn_ext_f16ILi256ELi256ELi8ELi2ELb0ELb0EEvPKcS1_S1_S1_S1_PKiPfP15HIP_vector_typeIfLj2EEffffjfiS5_IjLj3EEiiiiiiiiiiiliiliiiiil,comdat
	.globl	_ZL18flash_attn_ext_f16ILi256ELi256ELi8ELi2ELb0ELb0EEvPKcS1_S1_S1_S1_PKiPfP15HIP_vector_typeIfLj2EEffffjfiS5_IjLj3EEiiiiiiiiiiiliiliiiiil ; -- Begin function _ZL18flash_attn_ext_f16ILi256ELi256ELi8ELi2ELb0ELb0EEvPKcS1_S1_S1_S1_PKiPfP15HIP_vector_typeIfLj2EEffffjfiS5_IjLj3EEiiiiiiiiiiiliiliiiiil
	.p2align	8
	.type	_ZL18flash_attn_ext_f16ILi256ELi256ELi8ELi2ELb0ELb0EEvPKcS1_S1_S1_S1_PKiPfP15HIP_vector_typeIfLj2EEffffjfiS5_IjLj3EEiiiiiiiiiiiliiliiiiil,@function
_ZL18flash_attn_ext_f16ILi256ELi256ELi8ELi2ELb0ELb0EEvPKcS1_S1_S1_S1_PKiPfP15HIP_vector_typeIfLj2EEffffjfiS5_IjLj3EEiiiiiiiiiiiliiliiiiil: ; @_ZL18flash_attn_ext_f16ILi256ELi256ELi8ELi2ELb0ELb0EEvPKcS1_S1_S1_S1_PKiPfP15HIP_vector_typeIfLj2EEffffjfiS5_IjLj3EEiiiiiiiiiiiliiliiiiil
; %bb.0:
	s_load_dwordx2 s[2:3], s[4:5], 0x80
	s_load_dwordx4 s[28:31], s[4:5], 0x64
	s_mov_b32 s49, s6
	s_load_dword s41, s[4:5], 0xd0
                                        ; implicit-def: $vgpr255 : SGPR spill to VGPR lane
	s_mov_b32 s0, 0
	s_waitcnt lgkmcnt(0)
	s_abs_i32 s1, s3
	v_cvt_f32_u32_e32 v1, s1
	s_sub_i32 s8, 0, s1
	s_abs_i32 s7, s29
	s_xor_b32 s6, s29, s3
	v_rcp_iflag_f32_e32 v1, v1
	s_ashr_i32 s6, s6, 31
	v_cvt_f32_ubyte0_e32 v3, 0
	v_mul_f32_e32 v1, 0x4f7ffffe, v1
	v_cvt_u32_f32_e32 v1, v1
	v_readfirstlane_b32 s9, v1
	s_mul_i32 s8, s8, s9
	s_mul_hi_u32 s8, s9, s8
	s_add_i32 s9, s9, s8
	s_mul_hi_u32 s8, s7, s9
	s_mul_i32 s9, s8, s1
	s_sub_i32 s7, s7, s9
	s_add_i32 s10, s8, 1
	s_sub_i32 s9, s7, s1
	s_cmp_ge_u32 s7, s1
	s_cselect_b32 s8, s10, s8
	s_cselect_b32 s7, s9, s7
	s_add_i32 s9, s8, 1
	s_cmp_ge_u32 s7, s1
	s_cselect_b32 s1, s9, s8
	s_add_i32 s2, s2, 63
	s_xor_b32 s1, s1, s6
	s_ashr_i32 s7, s2, 31
	s_sub_i32 s33, s1, s6
	s_lshr_b32 s1, s7, 26
	s_add_i32 s2, s2, s1
	s_add_i32 s1, s28, 7
	s_lshr_b32 s6, s1, 3
	s_add_i32 s1, s33, 1
	s_ashr_i32 s80, s2, 6
	s_lshr_b32 s2, s1, 31
	s_add_i32 s1, s1, s2
	s_ashr_i32 s1, s1, 1
	s_mul_i32 s2, s6, s80
	s_mul_i32 s1, s2, s1
	;; [unrolled: 1-line block ×3, first 2 shown]
	v_writelane_b32 v255, s6, 0
	s_mul_i32 s6, s19, s30
	v_writelane_b32 v255, s2, 1
	s_ashr_i32 s7, s6, 31
	v_cvt_f32_u32_e32 v1, s41
	v_writelane_b32 v255, s1, 2
	s_mul_i32 s1, s7, s49
	s_mul_hi_u32 s2, s6, s49
	s_add_i32 s1, s2, s1
	s_mul_i32 s8, s6, s49
	s_cmp_lg_u64 s[0:1], 0
	s_cbranch_scc0 .LBB29_2
; %bb.1:
	v_madmk_f32 v2, v3, 0x4f800000, v1
	v_rcp_f32_e32 v2, v2
	s_sub_u32 s0, 0, s41
	s_subb_u32 s9, 0, 0
	s_mov_b64 s[2:3], 0
	v_mul_f32_e32 v2, 0x5f7ffffc, v2
	v_mul_f32_e32 v4, 0x2f800000, v2
	v_trunc_f32_e32 v4, v4
	v_madmk_f32 v2, v4, 0xcf800000, v2
	v_cvt_u32_f32_e32 v4, v4
	v_cvt_u32_f32_e32 v2, v2
	v_readfirstlane_b32 s10, v4
	v_readfirstlane_b32 s11, v2
	s_mul_hi_u32 s13, s0, s11
	s_mul_i32 s14, s0, s10
	s_mul_i32 s12, s9, s11
	s_add_i32 s13, s13, s14
	s_add_i32 s13, s13, s12
	s_mul_i32 s15, s0, s11
	s_mul_hi_u32 s12, s11, s13
	s_mul_i32 s14, s11, s13
	s_mul_hi_u32 s11, s11, s15
	s_add_u32 s11, s11, s14
	s_addc_u32 s12, 0, s12
	s_mul_hi_u32 s16, s10, s15
	s_mul_i32 s15, s10, s15
	s_add_u32 s11, s11, s15
	s_mul_hi_u32 s14, s10, s13
	s_addc_u32 s11, s12, s16
	s_addc_u32 s12, s14, 0
	s_mul_i32 s13, s10, s13
	s_add_u32 s11, s11, s13
	s_addc_u32 s12, 0, s12
	v_add_co_u32_e32 v2, vcc, s11, v2
	s_cmp_lg_u64 vcc, 0
	s_addc_u32 s10, s10, s12
	v_readfirstlane_b32 s12, v2
	s_mul_i32 s11, s0, s10
	s_mul_hi_u32 s13, s0, s12
	s_add_i32 s11, s13, s11
	s_mul_i32 s9, s9, s12
	s_add_i32 s11, s11, s9
	s_mul_i32 s0, s0, s12
	s_mul_hi_u32 s13, s10, s0
	s_mul_i32 s14, s10, s0
	s_mul_i32 s16, s12, s11
	s_mul_hi_u32 s0, s12, s0
	s_mul_hi_u32 s15, s12, s11
	s_add_u32 s0, s0, s16
	s_addc_u32 s12, 0, s15
	s_add_u32 s0, s0, s14
	s_mul_hi_u32 s9, s10, s11
	s_addc_u32 s0, s12, s13
	s_addc_u32 s9, s9, 0
	s_mul_i32 s11, s10, s11
	s_add_u32 s0, s0, s11
	s_addc_u32 s9, 0, s9
	v_add_co_u32_e32 v2, vcc, s0, v2
	s_cmp_lg_u64 vcc, 0
	s_addc_u32 s9, s10, s9
	s_ashr_i32 s10, s1, 31
	s_add_u32 s0, s8, s10
	s_mov_b32 s11, s10
	s_addc_u32 s1, s1, s10
	s_xor_b64 s[0:1], s[0:1], s[10:11]
	v_readfirstlane_b32 s14, v2
	s_mul_i32 s13, s0, s9
	s_mul_hi_u32 s15, s0, s14
	s_mul_hi_u32 s12, s0, s9
	s_add_u32 s13, s15, s13
	s_addc_u32 s12, 0, s12
	s_mul_hi_u32 s16, s1, s14
	s_mul_i32 s14, s1, s14
	s_add_u32 s13, s13, s14
	s_mul_hi_u32 s15, s1, s9
	s_addc_u32 s12, s12, s16
	s_addc_u32 s13, s15, 0
	s_mul_i32 s9, s1, s9
	s_add_u32 s9, s12, s9
	s_addc_u32 s12, 0, s13
	s_add_u32 s13, s9, 1
	s_addc_u32 s14, s12, 0
	s_add_u32 s15, s9, 2
	s_mul_i32 s17, s41, s12
	s_mul_hi_u32 s18, s41, s9
	s_addc_u32 s16, s12, 0
	s_add_i32 s18, s18, s17
	s_mul_i32 s17, s41, s9
	v_mov_b32_e32 v2, s17
	v_sub_co_u32_e32 v2, vcc, s0, v2
	s_cmp_lg_u64 vcc, 0
	s_subb_u32 s0, s1, s18
	v_subrev_co_u32_e32 v4, vcc, s41, v2
	s_cmp_lg_u64 vcc, 0
	s_subb_u32 s1, s0, 0
	v_readfirstlane_b32 s17, v4
	s_cmp_ge_u32 s17, s41
	s_cselect_b32 s17, -1, 0
	s_cmp_eq_u32 s1, 0
	s_cselect_b32 s1, s17, -1
	s_cmp_lg_u32 s1, 0
	s_cselect_b32 s1, s16, s14
	v_readfirstlane_b32 s14, v2
	s_cselect_b32 s13, s15, s13
	s_cmp_ge_u32 s14, s41
	s_cselect_b32 s14, -1, 0
	s_cmp_eq_u32 s0, 0
	s_cselect_b32 s0, s14, -1
	s_cmp_lg_u32 s0, 0
	s_cselect_b32 s1, s1, s12
	s_cselect_b32 s0, s13, s9
	s_xor_b64 s[0:1], s[0:1], s[10:11]
	s_sub_u32 s52, s0, s10
	s_branch .LBB29_3
.LBB29_2:
	s_mov_b64 s[2:3], -1
                                        ; implicit-def: $sgpr52_sgpr53
.LBB29_3:
	s_load_dwordx2 s[0:1], s[4:5], 0x74
	v_cvt_f32_u32_e32 v2, s41
	s_andn2_b64 vcc, exec, s[2:3]
	s_waitcnt lgkmcnt(0)
	v_writelane_b32 v255, s0, 3
	v_writelane_b32 v255, s1, 4
	s_cbranch_vccnz .LBB29_5
; %bb.4:
	v_rcp_iflag_f32_e32 v4, v2
	s_sub_i32 s0, 0, s41
	v_mul_f32_e32 v4, 0x4f7ffffe, v4
	v_cvt_u32_f32_e32 v4, v4
	v_readfirstlane_b32 s1, v4
	s_mul_i32 s0, s0, s1
	s_mul_hi_u32 s0, s1, s0
	s_add_i32 s1, s1, s0
	s_mul_hi_u32 s0, s8, s1
	s_mul_i32 s2, s0, s41
	s_sub_i32 s2, s8, s2
	s_add_i32 s1, s0, 1
	s_sub_i32 s3, s2, s41
	s_cmp_ge_u32 s2, s41
	s_cselect_b32 s0, s1, s0
	s_cselect_b32 s2, s3, s2
	s_add_i32 s1, s0, 1
	s_cmp_ge_u32 s2, s41
	s_cselect_b32 s52, s1, s0
.LBB29_5:
	s_add_i32 s0, s49, 1
	s_mul_i32 s1, s7, s0
	s_mul_hi_u32 s2, s6, s0
	s_add_i32 s3, s2, s1
	s_mov_b32 s2, 0
	s_cmp_lg_u64 s[2:3], 0
	s_mul_i32 s2, s6, s0
	s_cbranch_scc0 .LBB29_258
; %bb.6:
	v_madmk_f32 v1, v3, 0x4f800000, v1
	v_rcp_f32_e32 v1, v1
	s_sub_u32 s6, 0, s41
	s_subb_u32 s7, 0, 0
	v_mul_f32_e32 v1, 0x5f7ffffc, v1
	v_mul_f32_e32 v3, 0x2f800000, v1
	v_trunc_f32_e32 v3, v3
	v_madmk_f32 v1, v3, 0xcf800000, v1
	v_cvt_u32_f32_e32 v3, v3
	v_cvt_u32_f32_e32 v1, v1
	v_readfirstlane_b32 s8, v3
	v_readfirstlane_b32 s9, v1
	s_mul_hi_u32 s11, s6, s9
	s_mul_i32 s12, s6, s8
	s_mul_i32 s10, s7, s9
	s_add_i32 s11, s11, s12
	s_add_i32 s11, s11, s10
	s_mul_i32 s13, s6, s9
	s_mul_hi_u32 s10, s9, s11
	s_mul_i32 s12, s9, s11
	s_mul_hi_u32 s9, s9, s13
	s_add_u32 s9, s9, s12
	s_addc_u32 s10, 0, s10
	s_mul_hi_u32 s14, s8, s13
	s_mul_i32 s13, s8, s13
	s_add_u32 s9, s9, s13
	s_mul_hi_u32 s12, s8, s11
	s_addc_u32 s9, s10, s14
	s_addc_u32 s10, s12, 0
	s_mul_i32 s11, s8, s11
	s_add_u32 s9, s9, s11
	s_addc_u32 s10, 0, s10
	v_add_co_u32_e32 v1, vcc, s9, v1
	s_cmp_lg_u64 vcc, 0
	s_addc_u32 s8, s8, s10
	v_readfirstlane_b32 s10, v1
	s_mul_i32 s9, s6, s8
	s_mul_hi_u32 s11, s6, s10
	s_add_i32 s9, s11, s9
	s_mul_i32 s7, s7, s10
	s_add_i32 s9, s9, s7
	s_mul_i32 s6, s6, s10
	s_mul_hi_u32 s11, s8, s6
	s_mul_i32 s12, s8, s6
	s_mul_i32 s14, s10, s9
	s_mul_hi_u32 s6, s10, s6
	s_mul_hi_u32 s13, s10, s9
	s_add_u32 s6, s6, s14
	s_addc_u32 s10, 0, s13
	s_add_u32 s6, s6, s12
	s_mul_hi_u32 s7, s8, s9
	s_addc_u32 s6, s10, s11
	s_addc_u32 s7, s7, 0
	s_mul_i32 s9, s8, s9
	s_add_u32 s6, s6, s9
	s_addc_u32 s7, 0, s7
	v_add_co_u32_e32 v1, vcc, s6, v1
	s_cmp_lg_u64 vcc, 0
	s_addc_u32 s10, s8, s7
	s_ashr_i32 s6, s3, 31
	s_add_u32 s8, s2, s6
	s_mov_b32 s7, s6
	s_addc_u32 s9, s3, s6
	s_xor_b64 s[8:9], s[8:9], s[6:7]
	v_readfirstlane_b32 s12, v1
	s_mul_i32 s11, s8, s10
	s_mul_hi_u32 s13, s8, s12
	s_mul_hi_u32 s3, s8, s10
	s_add_u32 s11, s13, s11
	s_addc_u32 s3, 0, s3
	s_mul_hi_u32 s14, s9, s12
	s_mul_i32 s12, s9, s12
	s_add_u32 s11, s11, s12
	s_mul_hi_u32 s13, s9, s10
	s_addc_u32 s3, s3, s14
	s_addc_u32 s11, s13, 0
	s_mul_i32 s10, s9, s10
	s_add_u32 s3, s3, s10
	s_addc_u32 s10, 0, s11
	s_add_u32 s11, s3, 1
	s_addc_u32 s12, s10, 0
	s_add_u32 s13, s3, 2
	s_mul_i32 s15, s41, s10
	s_mul_hi_u32 s16, s41, s3
	s_addc_u32 s14, s10, 0
	s_add_i32 s16, s16, s15
	s_mul_i32 s15, s41, s3
	v_mov_b32_e32 v1, s15
	v_sub_co_u32_e32 v1, vcc, s8, v1
	s_cmp_lg_u64 vcc, 0
	s_subb_u32 s8, s9, s16
	v_subrev_co_u32_e32 v3, vcc, s41, v1
	s_cmp_lg_u64 vcc, 0
	s_subb_u32 s9, s8, 0
	v_readfirstlane_b32 s15, v3
	s_cmp_ge_u32 s15, s41
	s_cselect_b32 s15, -1, 0
	s_cmp_eq_u32 s9, 0
	s_cselect_b32 s9, s15, -1
	s_cmp_lg_u32 s9, 0
	s_cselect_b32 s9, s14, s12
	v_readfirstlane_b32 s12, v1
	s_cselect_b32 s11, s13, s11
	s_cmp_ge_u32 s12, s41
	s_cselect_b32 s12, -1, 0
	s_cmp_eq_u32 s8, 0
	s_cselect_b32 s8, s12, -1
	s_cmp_lg_u32 s8, 0
	s_cselect_b32 s9, s9, s10
	s_cselect_b32 s8, s11, s3
	s_xor_b64 s[8:9], s[8:9], s[6:7]
	s_sub_u32 s56, s8, s6
	s_load_dwordx2 s[42:43], s[4:5], 0x5c
	s_mov_b32 s7, s19
	s_cbranch_execnz .LBB29_8
.LBB29_7:
	v_rcp_iflag_f32_e32 v1, v2
	s_sub_i32 s0, 0, s41
	v_mul_f32_e32 v1, 0x4f7ffffe, v1
	v_cvt_u32_f32_e32 v1, v1
	v_readfirstlane_b32 s1, v1
	s_mul_i32 s0, s0, s1
	s_mul_hi_u32 s0, s1, s0
	s_add_i32 s1, s1, s0
	s_mul_hi_u32 s0, s2, s1
	s_mul_i32 s3, s0, s41
	s_sub_i32 s2, s2, s3
	s_add_i32 s1, s0, 1
	s_sub_i32 s3, s2, s41
	s_cmp_ge_u32 s2, s41
	s_cselect_b32 s0, s1, s0
	s_cselect_b32 s2, s3, s2
	s_add_i32 s1, s0, 1
	s_cmp_ge_u32 s2, s41
	s_cselect_b32 s56, s1, s0
.LBB29_8:
	s_abs_i32 s81, s80
	v_cvt_f32_u32_e32 v1, s81
	s_sub_i32 s2, 0, s81
	v_readlane_b32 s0, v255, 3
	v_readlane_b32 s1, v255, 4
	v_rcp_iflag_f32_e32 v1, v1
	s_load_dwordx16 s[12:27], s[4:5], 0x0
	s_load_dword s6, s[4:5], 0x40
	s_load_dwordx2 s[50:51], s[4:5], 0x8c
	s_load_dwordx4 s[36:39], s[4:5], 0x98
	s_load_dwordx2 s[44:45], s[4:5], 0xa8
	s_load_dwordx2 s[10:11], s[4:5], 0xb8
	;; [unrolled: 1-line block ×3, first 2 shown]
	s_abs_i32 s1, s52
	s_ashr_i32 s53, s31, 3
	v_mul_f32_e32 v1, 0x4f7ffffe, v1
	v_cvt_u32_f32_e32 v1, v1
	s_ashr_i32 s54, s0, 3
	s_waitcnt lgkmcnt(0)
	s_ashr_i32 s34, s50, 2
	s_ashr_i32 s40, s11, 1
	v_readfirstlane_b32 s48, v1
	s_mul_i32 s2, s2, s48
	s_mul_hi_u32 s2, s48, s2
	s_add_i32 s48, s48, s2
	s_mul_hi_u32 s2, s1, s48
	s_mul_i32 s2, s2, s81
	s_sub_i32 s1, s1, s2
	s_ashr_i32 s30, s38, 2
	s_ashr_i32 s0, s52, 31
	;; [unrolled: 1-line block ×3, first 2 shown]
	s_sub_i32 s2, s1, s81
	s_cmp_ge_u32 s1, s81
	s_cselect_b32 s1, s2, s1
	s_sub_i32 s2, s1, s81
	s_cmp_ge_u32 s1, s81
	s_cselect_b32 s1, s2, s1
	s_xor_b32 s1, s1, s0
	s_sub_i32 s72, s1, s0
	s_sub_i32 s0, s56, s52
	s_add_i32 s2, s0, s72
	s_min_i32 s77, s80, s2
	s_cmp_gt_i32 s56, s52
	s_cselect_b64 s[8:9], -1, 0
	s_cmp_le_i32 s56, s52
	v_cvt_f16_f32_e32 v1, s6
	s_cselect_b64 s[0:1], -1, 0
	s_cmp_gt_i32 s80, s2
	s_cselect_b64 s[2:3], -1, 0
	s_or_b64 s[0:1], s[2:3], s[0:1]
	v_bfe_u32 v103, v0, 10, 10
	s_mov_b32 s59, 0
	s_and_b64 vcc, exec, s[0:1]
	v_pack_b32_f16 v101, v1, v1
	v_lshlrev_b32_e32 v250, 2, v103
	v_and_b32_e32 v251, 3, v103
	v_and_b32_e32 v111, 1, v103
	v_lshrrev_b32_e32 v116, 1, v103
	v_add_u32_e32 v74, 4, v103
	v_add_u32_e32 v73, 8, v103
	;; [unrolled: 1-line block ×3, first 2 shown]
	s_cbranch_vccnz .LBB29_235
; %bb.9:
	v_and_b32_e32 v34, 0x3ff, v0
	v_lshlrev_b32_e32 v35, 4, v103
	v_lshrrev_b32_e32 v9, 2, v34
	s_cmp_eq_u64 s[20:21], 0
	v_and_b32_e32 v1, 0x3f0, v250
	s_movk_i32 s2, 0x210
	v_lshrrev_b32_e32 v4, 3, v34
	v_and_b32_e32 v8, 48, v35
	v_and_b32_e32 v10, 60, v9
	v_writelane_b32 v255, s41, 5
	s_cselect_b64 s[0:1], -1, 0
	v_mad_u32_u24 v2, v1, s2, 0
	v_and_b32_e32 v3, 15, v34
	v_and_b32_e32 v6, 30, v4
	v_and_or_b32 v1, v34, 14, v1
	v_add_u16_e32 v11, v8, v10
	v_writelane_b32 v255, s0, 6
	s_cmp_lg_u64 s[22:23], 0
	v_mul_u32_u24_e32 v5, 0x210, v3
	v_lshlrev_b32_e32 v7, 2, v6
	v_lshrrev_b32_e32 v1, 1, v1
	v_lshrrev_b16_e32 v11, 1, v11
	v_mad_u32_u24 v8, v8, s2, 0
	v_writelane_b32 v255, s1, 7
	s_cselect_b64 s[0:1], -1, 0
	v_add3_u32 v117, v2, v5, v7
	v_mul_u32_u24_e32 v1, 0x90, v1
	v_or_b32_e32 v9, 3, v9
	v_add3_u32 v120, v8, v5, v7
	v_lshlrev_b32_e32 v5, 2, v11
	v_writelane_b32 v255, s0, 8
	v_lshrrev_b32_e32 v2, 5, v34
	v_mul_u32_u24_e32 v12, 0x108, v10
	v_mul_u32_u24_e32 v10, 0x210, v10
	;; [unrolled: 1-line block ×3, first 2 shown]
	v_add3_u32 v121, 0, v1, v5
	v_lshlrev_b32_e32 v1, 1, v3
	s_lshl_b32 s58, s49, 4
	v_writelane_b32 v255, s1, 9
	v_lshl_add_u32 v118, v103, 1, v2
	s_ashr_i32 s41, s40, 31
	s_ashr_i32 s35, s34, 31
	s_lshl_b32 s0, s34, 3
	s_movk_i32 s3, 0x90
	s_ashr_i32 s31, s30, 31
	s_lshl_b32 s1, s30, 3
	v_add3_u32 v123, v8, v10, v1
	v_add3_u32 v124, v8, v9, v1
	s_lshl_b64 s[4:5], s[58:59], 3
	v_or_b32_e32 v1, v250, v34
	v_mad_u32_u24 v39, v118, s3, 0
	s_add_u32 s3, s26, s4
	v_lshlrev_b32_e32 v1, 3, v1
	s_addc_u32 s4, s27, s5
	v_add_co_u32_e32 v36, vcc, s3, v1
	v_lshrrev_b32_e32 v1, 2, v103
	v_or_b32_e32 v12, v12, v3
	v_mov_b32_e32 v5, s4
	s_movk_i32 s6, 0x84
	v_or_b32_e32 v3, v35, v3
	v_add_u32_e32 v40, 1, v1
	s_movk_i32 s2, 0x1c0
	v_addc_co_u32_e32 v37, vcc, 0, v5, vcc
	v_mad_u32_u24 v5, v3, s6, v6
	v_lshlrev_b32_e32 v3, 2, v40
	v_and_b32_e32 v6, 15, v40
	v_add_u32_e32 v42, 2, v1
	v_and_or_b32 v41, v3, s2, v6
	v_lshlrev_b32_e32 v3, 2, v42
	v_and_b32_e32 v6, 15, v42
	v_add_u32_e32 v44, 3, v1
	v_and_or_b32 v43, v3, s2, v6
	;; [unrolled: 4-line block ×11, first 2 shown]
	v_lshlrev_b32_e32 v3, 2, v64
	v_and_b32_e32 v6, 15, v64
	v_add_u32_e32 v66, 13, v1
	v_lshlrev_b32_e32 v2, 2, v34
	v_and_or_b32 v65, v3, s2, v6
	v_lshlrev_b32_e32 v3, 2, v66
	v_and_b32_e32 v6, 15, v66
	v_add_u32_e32 v68, 14, v1
	v_and_b32_e32 v4, 0x7c, v2
	v_and_or_b32 v67, v3, s2, v6
	v_lshlrev_b32_e32 v6, 2, v68
	v_and_b32_e32 v7, 15, v68
	v_add_u32_e32 v1, 15, v1
	v_lshlrev_b32_e32 v38, 1, v34
	v_mul_u32_u24_e32 v13, 0x180, v118
	v_lshlrev_b32_e32 v14, 2, v4
	v_lshl_add_u32 v122, v12, 1, v8
	v_and_or_b32 v69, v6, s2, v7
	v_lshlrev_b32_e32 v6, 2, v1
	v_and_b32_e32 v8, 15, v1
	v_and_b32_e32 v38, 62, v38
	v_add3_u32 v119, v39, v13, v14
	v_and_or_b32 v70, v6, s2, v8
	s_mov_b32 s2, s10
	s_abs_i32 s85, s10
	v_lshl_add_u32 v127, v38, 1, v39
	s_movk_i32 s10, 0xc0
	v_mad_u32_u24 v39, v103, s6, v34
	v_lshl_add_u32 v131, v5, 2, 0
	v_bfe_u32 v5, v103, 2, 4
	v_lshl_add_u32 v128, v39, 2, 0
	v_or_b32_e32 v39, v35, v34
	v_add_u32_e32 v35, v35, v34
	v_and_or_b32 v5, v103, s10, v5
	v_mul_u32_u24_e32 v130, 0x210, v35
	v_mad_u32_u24 v35, v5, s6, v34
	v_lshl_add_u32 v132, v35, 2, 0
	v_add_u32_e32 v35, 64, v34
	v_mul_u32_u24_e32 v129, 0x210, v39
	v_mul_u32_u24_e32 v39, 0x210, v5
	v_mad_u32_u24 v5, v5, s6, v35
	v_lshl_add_u32 v134, v5, 2, 0
	v_mad_u32_u24 v5, v41, s6, v34
	v_lshl_add_u32 v133, v5, 2, 0
	v_mul_u32_u24_e32 v5, 0x210, v41
	v_accvgpr_write_b32 a10, v5
	v_mad_u32_u24 v5, v41, s6, v35
	v_lshl_add_u32 v139, v5, 2, 0
	v_lshrrev_b32_e32 v5, 1, v42
	v_accvgpr_write_b32 a11, v5
	v_mad_u32_u24 v5, v43, s6, v34
	v_lshl_add_u32 v5, v5, 2, 0
	v_accvgpr_write_b32 a12, v5
	v_mul_u32_u24_e32 v5, 0x210, v43
	v_accvgpr_write_b32 a13, v5
	v_mad_u32_u24 v5, v43, s6, v35
	v_lshl_add_u32 v5, v5, 2, 0
	v_accvgpr_write_b32 a14, v5
	v_lshrrev_b32_e32 v5, 1, v44
	v_accvgpr_write_b32 a15, v5
	v_and_b32_e32 v5, 1, v44
	v_accvgpr_write_b32 a16, v5
	v_mad_u32_u24 v5, v45, s6, v34
	v_lshl_add_u32 v5, v5, 2, 0
	v_accvgpr_write_b32 a17, v5
	v_mul_u32_u24_e32 v5, 0x210, v45
	v_accvgpr_write_b32 a18, v5
	v_mad_u32_u24 v5, v45, s6, v35
	v_lshl_add_u32 v5, v5, 2, 0
	v_accvgpr_write_b32 a19, v5
	v_lshrrev_b32_e32 v5, 1, v46
	v_accvgpr_write_b32 a20, v5
	v_mad_u32_u24 v5, v47, s6, v34
	v_lshl_add_u32 v5, v5, 2, 0
	v_accvgpr_write_b32 a21, v5
	v_mul_u32_u24_e32 v5, 0x210, v47
	v_accvgpr_write_b32 a22, v5
	v_mad_u32_u24 v5, v47, s6, v35
	v_lshl_add_u32 v5, v5, 2, 0
	v_accvgpr_write_b32 a23, v5
	v_lshrrev_b32_e32 v5, 1, v48
	v_accvgpr_write_b32 a24, v5
	v_and_b32_e32 v5, 1, v48
	v_accvgpr_write_b32 a25, v5
	v_mad_u32_u24 v5, v49, s6, v34
	v_lshl_add_u32 v5, v5, 2, 0
	v_accvgpr_write_b32 a26, v5
	v_mul_u32_u24_e32 v5, 0x210, v49
	v_accvgpr_write_b32 a27, v5
	v_mad_u32_u24 v5, v49, s6, v35
	v_lshl_add_u32 v5, v5, 2, 0
	v_accvgpr_write_b32 a28, v5
	;; [unrolled: 22-line block ×6, first 2 shown]
	v_lshrrev_b32_e32 v5, 1, v68
	v_accvgpr_write_b32 a65, v5
	v_mad_u32_u24 v5, v69, s6, v34
	v_lshl_add_u32 v5, v5, 2, 0
	v_accvgpr_write_b32 a66, v5
	v_mul_u32_u24_e32 v5, 0x210, v69
	v_accvgpr_write_b32 a67, v5
	v_mad_u32_u24 v5, v69, s6, v35
	v_writelane_b32 v255, s49, 10
	v_lshl_add_u32 v5, v5, 2, 0
	v_readlane_b32 s49, v255, 2
	v_mul_lo_u32 v20, s30, v118
	v_accvgpr_write_b32 a68, v5
	v_lshrrev_b32_e32 v5, 1, v1
	v_and_b32_e32 v1, 1, v1
	s_abs_i32 s83, s49
	v_mov_b32_e32 v71, s19
	v_ashrrev_i32_e32 v21, 31, v20
	v_accvgpr_write_b32 a70, v1
	v_mad_u32_u24 v1, v70, s6, v35
	v_add_co_u32_e32 v203, vcc, s18, v4
	v_cvt_f32_u32_e32 v7, s83
	v_add_u32_e32 v22, s1, v20
	v_lshrrev_b32_e32 v135, 1, v40
	v_and_b32_e32 v115, 1, v40
	v_lshl_add_u32 v1, v1, 2, 0
	v_addc_co_u32_e32 v141, vcc, 0, v71, vcc
	v_lshlrev_b64 v[40:41], 2, v[20:21]
	s_abs_i32 s82, s7
	v_cvt_f32_u32_e32 v8, s85
	v_ashrrev_i32_e32 v23, 31, v22
	v_accvgpr_write_b32 a73, v1
	v_mov_b32_e32 v1, s17
	v_add_co_u32_e32 v105, vcc, s16, v40
	v_cvt_f32_u32_e32 v3, s82
	v_readlane_b32 s11, v255, 1
	v_add_u32_e32 v24, s1, v22
	v_addc_co_u32_e32 v109, vcc, v1, v41, vcc
	v_lshlrev_b64 v[42:43], 2, v[22:23]
	s_abs_i32 s84, s11
	v_ashrrev_i32_e32 v25, 31, v24
	v_add_co_u32_e32 v114, vcc, s16, v42
	v_rcp_iflag_f32_e32 v6, v7
	v_cvt_f32_u32_e32 v7, s84
	v_add_u32_e32 v26, s1, v24
	v_addc_co_u32_e32 v208, vcc, v1, v43, vcc
	v_lshlrev_b64 v[44:45], 2, v[24:25]
	v_rcp_iflag_f32_e32 v8, v8
	v_ashrrev_i32_e32 v27, 31, v26
	v_add_co_u32_e32 v209, vcc, s16, v44
	v_rcp_iflag_f32_e32 v3, v3
	v_add_u32_e32 v28, s1, v26
	v_addc_co_u32_e32 v210, vcc, v1, v45, vcc
	v_lshlrev_b64 v[46:47], 2, v[26:27]
	v_ashrrev_i32_e32 v29, 31, v28
	v_add_co_u32_e32 v211, vcc, s16, v46
	v_rcp_iflag_f32_e32 v7, v7
	v_add_u32_e32 v30, s1, v28
	v_addc_co_u32_e32 v212, vcc, v1, v47, vcc
	v_lshlrev_b64 v[48:49], 2, v[28:29]
	v_mul_f32_e32 v6, 0x4f7ffffe, v6
	v_mul_f32_e32 v8, 0x4f7ffffe, v8
	v_ashrrev_i32_e32 v31, 31, v30
	v_add_co_u32_e32 v213, vcc, s16, v48
	v_mul_f32_e32 v3, 0x4f7ffffe, v3
	v_cvt_u32_f32_e32 v6, v6
	v_cvt_u32_f32_e32 v8, v8
	v_add_u32_e32 v32, s1, v30
	v_addc_co_u32_e32 v214, vcc, v1, v49, vcc
	v_lshlrev_b64 v[50:51], 2, v[30:31]
	v_cvt_u32_f32_e32 v3, v3
	v_ashrrev_i32_e32 v33, 31, v32
	v_add_co_u32_e32 v215, vcc, s16, v50
	v_writelane_b32 v255, s2, 11
	v_mul_f32_e32 v7, 0x4f7ffffe, v7
	v_add_u32_e32 v54, s1, v32
	v_addc_co_u32_e32 v216, vcc, v1, v51, vcc
	v_lshlrev_b64 v[52:53], 2, v[32:33]
	v_writelane_b32 v255, s3, 12
	v_cvt_u32_f32_e32 v7, v7
	s_sub_i32 s2, 0, s85
	v_ashrrev_i32_e32 v55, 31, v54
	v_add_co_u32_e32 v217, vcc, s16, v52
	v_mul_lo_u32 v2, s34, v118
	v_readfirstlane_b32 s9, v6
	v_mul_lo_u32 v6, s2, v8
	v_addc_co_u32_e32 v218, vcc, v1, v53, vcc
	v_lshlrev_b64 v[54:55], 2, v[54:55]
	s_mov_b32 s50, s7
	v_readfirstlane_b32 s7, v3
	v_ashrrev_i32_e32 v3, 31, v2
	v_mul_hi_u32 v6, v8, v6
	v_add_co_u32_e32 v219, vcc, s16, v54
	v_add_u32_e32 v125, v8, v6
	v_add_u32_e32 v6, s0, v2
	v_accvgpr_write_b32 a69, v5
	v_mul_u32_u24_e32 v5, 0x210, v70
	v_addc_co_u32_e32 v220, vcc, v1, v55, vcc
	v_lshlrev_b64 v[56:57], 2, v[2:3]
	v_readfirstlane_b32 s8, v7
	v_ashrrev_i32_e32 v7, 31, v6
	v_accvgpr_write_b32 a71, v5
	v_mad_u32_u24 v5, v70, s6, v34
	s_ashr_i32 s6, s50, 31
	v_mov_b32_e32 v1, s15
	v_add_co_u32_e32 v221, vcc, s14, v56
	v_add_u32_e32 v8, s0, v6
	v_writelane_b32 v255, s6, 13
	s_sub_i32 s6, 0, s82
	v_addc_co_u32_e32 v222, vcc, v1, v57, vcc
	v_lshlrev_b64 v[58:59], 2, v[6:7]
	v_ashrrev_i32_e32 v9, 31, v8
	s_mul_i32 s6, s6, s7
	v_add_co_u32_e32 v223, vcc, s14, v58
	v_add_u32_e32 v10, s0, v8
	s_mul_hi_u32 s6, s7, s6
	v_addc_co_u32_e32 v224, vcc, v1, v59, vcc
	v_lshlrev_b64 v[60:61], 2, v[8:9]
	v_ashrrev_i32_e32 v11, 31, v10
	s_add_i32 s6, s7, s6
	v_add_co_u32_e32 v225, vcc, s14, v60
	v_add_u32_e32 v12, s0, v10
	v_writelane_b32 v255, s6, 14
	s_ashr_i32 s6, s49, 31
	v_addc_co_u32_e32 v226, vcc, v1, v61, vcc
	v_lshlrev_b64 v[62:63], 2, v[10:11]
	v_ashrrev_i32_e32 v13, 31, v12
	v_writelane_b32 v255, s6, 15
	s_sub_i32 s6, 0, s83
	v_add_co_u32_e32 v227, vcc, s14, v62
	v_add_u32_e32 v14, s0, v12
	s_mul_i32 s6, s6, s9
	v_addc_co_u32_e32 v228, vcc, v1, v63, vcc
	v_lshlrev_b64 v[64:65], 2, v[12:13]
	v_ashrrev_i32_e32 v15, 31, v14
	s_mul_hi_u32 s6, s9, s6
	v_add_co_u32_e32 v229, vcc, s14, v64
	v_add_u32_e32 v16, s0, v14
	s_add_i32 s6, s9, s6
	v_addc_co_u32_e32 v230, vcc, v1, v65, vcc
	v_lshlrev_b64 v[66:67], 2, v[14:15]
	v_ashrrev_i32_e32 v17, 31, v16
	v_writelane_b32 v255, s6, 16
	s_sub_i32 s6, 0, s84
	v_add_co_u32_e32 v231, vcc, s14, v66
	v_add_u32_e32 v18, s0, v16
	s_mul_i32 s6, s6, s8
	v_addc_co_u32_e32 v232, vcc, v1, v67, vcc
	v_lshlrev_b64 v[68:69], 2, v[16:17]
	v_ashrrev_i32_e32 v19, 31, v18
	s_mul_hi_u32 s6, s8, s6
	v_add_co_u32_e32 v233, vcc, s14, v68
	s_add_i32 s92, s8, s6
	s_lshl_b64 s[6:7], s[40:41], 1
	v_addc_co_u32_e32 v234, vcc, v1, v69, vcc
	v_lshlrev_b64 v[70:71], 2, v[18:19]
	v_writelane_b32 v255, s6, 17
	v_add_co_u32_e32 v235, vcc, s14, v70
	v_lshl_add_u32 v5, v5, 2, 0
	v_writelane_b32 v255, s7, 18
	v_addc_co_u32_e32 v236, vcc, v1, v71, vcc
	v_and_b32_e32 v1, 31, v34
	v_mbcnt_lo_u32_b32 v189, -1, 0
	v_accvgpr_write_b32 a4, v250
	v_lshlrev_b32_e32 v126, 2, v4
	s_movk_i32 s86, 0x80
	v_cmp_eq_u32_e64 s[0:1], 0, v251
	v_accvgpr_write_b32 a5, v251
	v_cmp_ne_u32_e64 s[2:3], 0, v251
	v_cmp_gt_u32_e64 s[4:5], 16, v34
	v_accvgpr_write_b32 a9, v39
	v_accvgpr_write_b32 a72, v5
	s_ashr_i32 s91, s11, 31
	s_lshl_b64 s[66:67], s[30:31], 8
	s_lshl_b64 s[68:69], s[34:35], 8
	s_mov_b32 s41, 0x3fb8aa3b
	s_mov_b32 s65, 0xc2ce8ed0
	;; [unrolled: 1-line block ×5, first 2 shown]
	v_mov_b32_e32 v237, 0
	v_add_u32_e32 v238, 0x1080, v119
	v_add_u32_e32 v239, 0x2100, v119
	;; [unrolled: 1-line block ×22, first 2 shown]
	v_writelane_b32 v255, s54, 19
	v_mul_lo_u32 v199, v111, s54
	v_accvgpr_write_b32 a8, v74
	v_lshrrev_b32_e32 v194, 1, v74
	v_accvgpr_write_b32 a7, v73
	v_lshrrev_b32_e32 v201, 1, v73
	v_accvgpr_write_b32 a6, v72
	v_lshrrev_b32_e32 v197, 1, v72
	v_lshrrev_b32_e32 v195, 3, v103
	v_bfe_u32 v187, v103, 2, 1
	v_lshlrev_b32_e32 v72, 4, v1
	v_mbcnt_hi_u32_b32 v193, -1, v189
	v_mov_b32_e32 v190, 0x7f800000
	v_and_b32_e32 v74, 1, v34
	s_branch .LBB29_12
.LBB29_10:                              ;   in Loop: Header=BB29_12 Depth=1
	s_or_b64 exec, exec, s[70:71]
	s_barrier
.LBB29_11:                              ;   in Loop: Header=BB29_12 Depth=1
	s_add_i32 s6, s52, s80
	s_abs_i32 s8, s6
	s_mul_hi_u32 s9, s8, s48
	s_mul_i32 s9, s9, s81
	s_sub_i32 s8, s8, s9
	s_ashr_i32 s7, s6, 31
	s_sub_i32 s9, s8, s81
	s_cmp_ge_u32 s8, s81
	s_cselect_b32 s8, s9, s8
	s_sub_i32 s9, s8, s81
	s_cmp_ge_u32 s8, s81
	s_cselect_b32 s8, s9, s8
	s_xor_b32 s8, s8, s7
	s_sub_i32 s7, s7, s8
	s_add_i32 s52, s6, s7
	s_sub_i32 s6, s56, s52
	s_min_i32 s77, s80, s6
	s_cmp_gt_i32 s56, s52
	s_cselect_b64 s[8:9], -1, 0
	s_cmp_le_i32 s80, s6
	s_cselect_b64 s[6:7], -1, 0
	s_and_b64 s[6:7], s[6:7], s[8:9]
	s_mov_b32 s72, 0
	s_and_b64 vcc, exec, s[6:7]
	s_cbranch_vccz .LBB29_237
.LBB29_12:                              ; =>This Loop Header: Depth=1
                                        ;     Child Loop BB29_148 Depth 2
                                        ;     Child Loop BB29_37 Depth 2
	s_ashr_i32 s6, s52, 31
	v_readlane_b32 s7, v255, 13
	s_xor_b32 s6, s6, s7
	s_abs_i32 s7, s52
	v_readlane_b32 s8, v255, 14
	s_mul_hi_u32 s8, s7, s8
	s_mul_i32 s9, s8, s82
	s_sub_i32 s7, s7, s9
	s_add_i32 s9, s8, 1
	s_sub_i32 s10, s7, s82
	s_cmp_ge_u32 s7, s82
	s_cselect_b32 s8, s9, s8
	s_cselect_b32 s7, s10, s7
	s_add_i32 s9, s8, 1
	s_cmp_ge_u32 s7, s82
	s_cselect_b32 s7, s9, s8
	s_xor_b32 s7, s7, s6
	s_sub_i32 s6, s7, s6
	s_mul_i32 s7, s6, s50
	s_sub_i32 s7, s52, s7
	s_ashr_i32 s8, s7, 31
	v_readlane_b32 s9, v255, 15
	s_xor_b32 s8, s8, s9
	s_abs_i32 s9, s7
	v_readlane_b32 s10, v255, 16
	s_mul_hi_u32 s10, s9, s10
	s_mul_i32 s11, s10, s83
	s_sub_i32 s9, s9, s11
	s_add_i32 s11, s10, 1
	s_sub_i32 s49, s9, s83
	s_cmp_ge_u32 s9, s83
	s_cselect_b32 s10, s11, s10
	s_cselect_b32 s9, s49, s9
	s_add_i32 s11, s10, 1
	s_cmp_ge_u32 s9, s83
	s_cselect_b32 s9, s11, s10
	s_xor_b32 s9, s9, s8
	s_sub_i32 s8, s9, s8
	v_readlane_b32 s9, v255, 2
	s_mul_i32 s9, s8, s9
	s_sub_i32 s9, s7, s9
	s_abs_i32 s10, s9
	s_mul_hi_u32 s11, s10, s92
	s_mul_i32 s49, s11, s84
	s_ashr_i32 s7, s9, 31
	s_sub_i32 s10, s10, s49
	s_xor_b32 s7, s7, s91
	s_add_i32 s49, s11, 1
	s_sub_i32 s54, s10, s84
	s_cmp_ge_u32 s10, s84
	s_cselect_b32 s11, s49, s11
	s_cselect_b32 s10, s54, s10
	s_add_i32 s49, s11, 1
	s_cmp_ge_u32 s10, s84
	s_cselect_b32 s10, s49, s11
	s_xor_b32 s10, s10, s7
	s_sub_i32 s7, s10, s7
	v_readlane_b32 s10, v255, 1
	s_mul_i32 s10, s7, s10
	s_sub_i32 s9, s9, s10
	s_ashr_i32 s10, s9, 31
	s_abs_i32 s9, s9
	s_mul_hi_u32 s11, s9, s48
	s_mul_i32 s49, s11, s81
	s_sub_i32 s9, s9, s49
	s_xor_b32 s10, s10, s38
	s_add_i32 s49, s11, 1
	s_sub_i32 s54, s9, s81
	s_cmp_ge_u32 s9, s81
	s_cselect_b32 s11, s49, s11
	s_cselect_b32 s9, s54, s9
	s_add_i32 s49, s11, 1
	s_cmp_ge_u32 s9, s81
	s_cselect_b32 s9, s49, s11
	v_readlane_b32 s54, v255, 8
	s_xor_b32 s9, s9, s10
	v_readlane_b32 s55, v255, 9
	s_andn2_b64 vcc, exec, s[54:55]
	s_sub_i32 s89, s9, s10
	s_cbranch_vccnz .LBB29_14
; %bb.13:                               ;   in Loop: Header=BB29_12 Depth=1
	v_readlane_b32 s9, v255, 0
	s_mul_i32 s9, s6, s9
	s_add_i32 s10, s89, s9
	s_ashr_i32 s11, s10, 31
	s_lshl_b64 s[10:11], s[10:11], 2
	s_add_u32 s10, s22, s10
	s_addc_u32 s11, s23, s11
	global_load_dword v1, v237, s[10:11]
	s_waitcnt vmcnt(0)
	v_readfirstlane_b32 s9, v1
	s_ashr_i32 s10, s9, 31
	s_lshr_b32 s10, s10, 26
	s_add_i32 s9, s9, s10
	s_ashr_i32 s9, s9, 6
	s_min_i32 s77, s77, s9
.LBB29_14:                              ;   in Loop: Header=BB29_12 Depth=1
	v_readlane_b32 s54, v255, 3
	s_mul_i32 s9, s8, s33
	s_lshl_b32 s7, s7, 1
	v_readlane_b32 s55, v255, 4
	s_add_i32 s10, s7, s9
	s_mul_i32 s9, s6, s55
	s_ashr_i32 s11, s9, 31
	s_add_u32 s9, s12, s9
	s_mul_i32 s49, s10, s54
	s_addc_u32 s11, s13, s11
	s_ashr_i32 s54, s49, 31
	s_add_u32 s87, s9, s49
	s_addc_u32 s88, s11, s54
	s_ashr_i32 s9, s6, 31
	s_mul_i32 s11, s6, s37
	s_mul_hi_u32 s49, s6, s36
	s_add_i32 s11, s49, s11
	s_mul_i32 s49, s9, s36
	s_add_i32 s78, s11, s49
	s_mul_i32 s79, s6, s36
	s_add_u32 s11, s14, s79
	s_mul_i32 s76, s8, s51
	s_addc_u32 s54, s15, s78
	s_ashr_i32 s60, s76, 31
	s_add_u32 s49, s11, s76
	s_addc_u32 s54, s54, s60
	s_abs_i32 s11, s6
	v_mul_hi_u32 v1, s11, v125
	v_mul_lo_u32 v1, v1, s85
	v_sub_u32_e32 v1, s11, v1
	s_mul_i32 s11, s28, s29
	v_subrev_u32_e32 v2, s85, v1
	v_cmp_le_u32_e32 vcc, s85, v1
	s_mul_i32 s11, s11, s6
	v_cndmask_b32_e32 v1, v1, v2, vcc
	s_add_i32 s11, s10, s11
	v_subrev_u32_e32 v2, s85, v1
	v_cmp_le_u32_e32 vcc, s85, v1
	s_lshl_b32 s58, s11, 7
	v_cndmask_b32_e32 v1, v1, v2, vcc
	s_lshl_b64 s[62:63], s[58:59], 3
	v_xor_b32_e32 v1, s9, v1
	s_add_u32 s57, s24, s62
	s_mul_i32 s11, s6, s45
	s_mul_hi_u32 s55, s6, s44
	v_subrev_u32_e32 v1, s9, v1
	s_addc_u32 s64, s25, s63
	s_add_i32 s11, s55, s11
	s_mul_i32 s9, s9, s44
	s_add_i32 s58, s11, s9
	s_mul_i32 s61, s6, s44
	s_add_u32 s6, s16, s61
	s_mul_i32 s62, s8, s39
	s_addc_u32 s9, s17, s58
	s_ashr_i32 s63, s62, 31
	s_add_u32 s6, s6, s62
	s_addc_u32 s55, s9, s63
	s_ashr_i32 s11, s10, 31
	s_lshl_b64 s[8:9], s[10:11], 2
	v_ashrrev_i32_e32 v2, 31, v1
	v_mul_lo_u32 v3, v1, s47
	v_mul_hi_u32 v4, v1, s46
	s_add_u32 s10, s20, s8
	v_add_u32_e32 v3, v4, v3
	v_mul_lo_u32 v2, v2, s46
	v_mul_lo_u32 v76, v1, s46
	s_addc_u32 s11, s21, s9
	v_readlane_b32 s8, v255, 6
	v_add_u32_e32 v77, v3, v2
	v_mov_b32_e32 v1, s19
	v_add_co_u32_e32 v183, vcc, s18, v76
	v_readlane_b32 s9, v255, 7
	v_addc_co_u32_e32 v191, vcc, v1, v77, vcc
	s_and_b64 s[8:9], s[8:9], exec
	v_or_b32_e32 v35, s7, v111
	s_cselect_b32 s71, 0, s11
	s_cselect_b32 s70, 0, s10
	s_cmp_lg_u32 s72, 0
	v_cmp_gt_i32_e32 vcc, s33, v35
	s_cbranch_scc0 .LBB29_33
; %bb.15:                               ;   in Loop: Header=BB29_12 Depth=1
	s_lshl_b32 s90, s89, 3
	v_add_u32_e32 v1, s90, v116
	v_cmp_le_i32_e64 s[8:9], s28, v1
	s_xor_b64 s[10:11], vcc, -1
	s_or_b64 s[8:9], s[8:9], s[10:11]
	s_and_saveexec_b64 s[74:75], s[8:9]
	s_xor_b64 s[8:9], exec, s[74:75]
	s_cbranch_execz .LBB29_17
; %bb.16:                               ;   in Loop: Header=BB29_12 Depth=1
	ds_write2st64_b32 v128, v237, v237 offset1:1
                                        ; implicit-def: $vgpr1
.LBB29_17:                              ;   in Loop: Header=BB29_12 Depth=1
	s_andn2_saveexec_b64 s[8:9], s[8:9]
	s_cbranch_execz .LBB29_19
; %bb.18:                               ;   in Loop: Header=BB29_12 Depth=1
	v_mul_lo_u32 v1, v1, s53
	v_add3_u32 v2, v1, v199, v34
	v_ashrrev_i32_e32 v3, 31, v2
	v_lshlrev_b64 v[2:3], 3, v[2:3]
	v_add_co_u32_e32 v2, vcc, s87, v2
	v_mov_b32_e32 v1, s88
	v_addc_co_u32_e32 v3, vcc, v1, v3, vcc
	global_load_dwordx2 v[4:5], v[2:3], off
	s_waitcnt vmcnt(0)
	v_cvt_f16_f32_e32 v1, v4
	global_load_dwordx2 v[2:3], v[2:3], off offset:512
	v_cvt_f16_f32_e32 v4, v5
	v_pack_b32_f16 v1, v1, v4
	v_pk_mul_f16 v1, v101, v1
	s_waitcnt vmcnt(0)
	v_cvt_f16_f32_e32 v2, v2
	v_cvt_f16_f32_e32 v3, v3
	v_pack_b32_f16 v2, v2, v3
	v_pk_mul_f16 v2, v101, v2
	ds_write2st64_b32 v128, v1, v2 offset1:1
.LBB29_19:                              ;   in Loop: Header=BB29_12 Depth=1
	s_or_b64 exec, exec, s[8:9]
	v_add_u32_e32 v1, s90, v194
	v_cmp_le_i32_e32 vcc, s28, v1
	s_or_b64 s[8:9], vcc, s[10:11]
	s_and_saveexec_b64 s[74:75], s[8:9]
	s_xor_b64 s[8:9], exec, s[74:75]
	s_cbranch_execz .LBB29_21
; %bb.20:                               ;   in Loop: Header=BB29_12 Depth=1
	v_add_u32_e32 v1, 64, v128
	ds_write2st64_b32 v1, v237, v237 offset0:8 offset1:9
                                        ; implicit-def: $vgpr1
.LBB29_21:                              ;   in Loop: Header=BB29_12 Depth=1
	s_andn2_saveexec_b64 s[8:9], s[8:9]
	s_cbranch_execz .LBB29_23
; %bb.22:                               ;   in Loop: Header=BB29_12 Depth=1
	v_mul_lo_u32 v1, v1, s53
	v_add3_u32 v2, v1, v199, v34
	v_ashrrev_i32_e32 v3, 31, v2
	v_lshlrev_b64 v[2:3], 3, v[2:3]
	v_add_co_u32_e32 v2, vcc, s87, v2
	v_mov_b32_e32 v1, s88
	v_addc_co_u32_e32 v3, vcc, v1, v3, vcc
	global_load_dwordx2 v[4:5], v[2:3], off
	s_waitcnt vmcnt(0)
	v_cvt_f16_f32_e32 v1, v4
	global_load_dwordx2 v[2:3], v[2:3], off offset:512
	v_cvt_f16_f32_e32 v4, v5
	v_pack_b32_f16 v1, v1, v4
	v_pk_mul_f16 v1, v101, v1
	s_waitcnt vmcnt(0)
	v_cvt_f16_f32_e32 v2, v2
	v_cvt_f16_f32_e32 v3, v3
	v_pack_b32_f16 v2, v2, v3
	v_pk_mul_f16 v2, v101, v2
	v_add_u32_e32 v3, 64, v128
	ds_write2st64_b32 v3, v1, v2 offset0:8 offset1:9
.LBB29_23:                              ;   in Loop: Header=BB29_12 Depth=1
	s_or_b64 exec, exec, s[8:9]
	v_add_u32_e32 v1, s90, v201
	v_cmp_le_i32_e32 vcc, s28, v1
	s_or_b64 s[8:9], vcc, s[10:11]
	s_and_saveexec_b64 s[74:75], s[8:9]
	s_xor_b64 s[8:9], exec, s[74:75]
	s_cbranch_execz .LBB29_25
; %bb.24:                               ;   in Loop: Header=BB29_12 Depth=1
	v_add_u32_e32 v1, 0x80, v128
	ds_write2st64_b32 v1, v237, v237 offset0:16 offset1:17
                                        ; implicit-def: $vgpr1
.LBB29_25:                              ;   in Loop: Header=BB29_12 Depth=1
	s_andn2_saveexec_b64 s[8:9], s[8:9]
	s_cbranch_execz .LBB29_27
; %bb.26:                               ;   in Loop: Header=BB29_12 Depth=1
	v_mul_lo_u32 v1, v1, s53
	v_add3_u32 v2, v1, v199, v34
	v_ashrrev_i32_e32 v3, 31, v2
	v_lshlrev_b64 v[2:3], 3, v[2:3]
	v_add_co_u32_e32 v2, vcc, s87, v2
	v_mov_b32_e32 v1, s88
	v_addc_co_u32_e32 v3, vcc, v1, v3, vcc
	global_load_dwordx2 v[4:5], v[2:3], off
	s_waitcnt vmcnt(0)
	v_cvt_f16_f32_e32 v1, v4
	global_load_dwordx2 v[2:3], v[2:3], off offset:512
	v_cvt_f16_f32_e32 v4, v5
	v_pack_b32_f16 v1, v1, v4
	v_pk_mul_f16 v1, v101, v1
	s_waitcnt vmcnt(0)
	v_cvt_f16_f32_e32 v2, v2
	v_cvt_f16_f32_e32 v3, v3
	v_pack_b32_f16 v2, v2, v3
	v_pk_mul_f16 v2, v101, v2
	v_add_u32_e32 v3, 0x80, v128
	ds_write2st64_b32 v3, v1, v2 offset0:16 offset1:17
.LBB29_27:                              ;   in Loop: Header=BB29_12 Depth=1
	;; [unrolled: 37-line block ×3, first 2 shown]
	s_or_b64 exec, exec, s[8:9]
	s_waitcnt lgkmcnt(0)
	s_barrier
	ds_read2_b64 v[30:33], v117 offset1:4
	ds_read2_b64 v[26:29], v117 offset0:8 offset1:12
	ds_read2_b64 v[22:25], v117 offset0:16 offset1:20
	;; [unrolled: 1-line block ×7, first 2 shown]
	v_add_u32_e32 v1, s90, v118
	v_mul_hi_u32 v39, s42, v1
	v_add_u32_e32 v39, v1, v39
	v_lshrrev_b32_e32 v39, s43, v39
	v_mul_lo_u32 v39, v39, s28
	s_add_i32 s10, s77, -1
	v_sub_u32_e32 v1, v1, v39
	s_cmp_gt_i32 s10, s72
	v_mad_i64_i32 v[78:79], s[8:9], v1, s40, 0
	s_waitcnt lgkmcnt(0)
	s_barrier
	s_cbranch_scc1 .LBB29_34
; %bb.32:                               ;   in Loop: Header=BB29_12 Depth=1
	v_and_b32_e32 v1, 64, v193
	s_mov_b32 s11, 0
	v_add_u32_e32 v1, 64, v1
	v_xor_b32_e32 v73, 32, v193
	v_xor_b32_e32 v39, 16, v193
	s_mov_b64 s[8:9], 0
	s_mov_b32 s73, 0xfeffffff
	s_branch .LBB29_35
.LBB29_33:                              ;   in Loop: Header=BB29_12 Depth=1
	s_cbranch_execz .LBB29_11
	s_branch .LBB29_127
.LBB29_34:                              ;   in Loop: Header=BB29_12 Depth=1
	s_mov_b64 s[8:9], -1
                                        ; implicit-def: $sgpr11
                                        ; implicit-def: $sgpr73
                                        ; implicit-def: $vgpr1
                                        ; implicit-def: $vgpr73
                                        ; implicit-def: $vgpr39
.LBB29_35:                              ;   in Loop: Header=BB29_12 Depth=1
	s_andn2_b64 vcc, exec, s[8:9]
	v_mov_b32_e32 v88, s11
	v_mov_b32_e32 v81, s11
	;; [unrolled: 1-line block ×3, first 2 shown]
	v_lshlrev_b64 v[78:79], 1, v[78:79]
	v_mov_b32_e32 v89, s11
	v_mov_b32_e32 v90, s11
	v_mov_b32_e32 v91, s11
	v_mov_b32_e32 v92, s11
	v_mov_b32_e32 v93, s11
	v_mov_b32_e32 v94, s11
	v_mov_b32_e32 v95, s11
	v_mov_b32_e32 v96, s11
	v_mov_b32_e32 v97, s11
	v_mov_b32_e32 v98, s11
	v_mov_b32_e32 v99, s11
	v_mov_b32_e32 v100, s11
	v_mov_b32_e32 v102, s11
	v_mov_b32_e32 v104, s11
	v_mov_b32_e32 v106, s11
	v_mov_b32_e32 v108, s11
	v_mov_b32_e32 v110, s11
	v_mov_b32_e32 v112, s11
	v_mov_b32_e32 v113, s11
	v_mov_b32_e32 v178, s11
	v_mov_b32_e32 v180, s11
	v_mov_b32_e32 v181, s11
	v_mov_b32_e32 v182, s11
	v_mov_b32_e32 v184, s11
	v_mov_b32_e32 v185, s11
	v_mov_b32_e32 v186, s11
	v_mov_b32_e32 v188, s11
	v_mov_b32_e32 v174, s11
	v_mov_b32_e32 v176, s11
	v_mov_b32_e32 v83, s11
	v_mov_b32_e32 v82, s11
	v_mov_b32_e32 v75, v193
	s_cbranch_vccnz .LBB29_38
; %bb.36:                               ;   in Loop: Header=BB29_12 Depth=1
	v_add_co_u32_e32 v1, vcc, v183, v78
	v_addc_co_u32_e32 v39, vcc, v191, v79, vcc
	v_lshlrev_b32_e32 v73, 1, v38
	v_mbcnt_hi_u32_b32 v75, -1, v189
	v_add_co_u32_e32 v84, vcc, v1, v73
	v_and_b32_e32 v1, 64, v75
	v_addc_co_u32_e32 v85, vcc, 0, v39, vcc
	v_add_u32_e32 v1, 64, v1
	v_xor_b32_e32 v73, 32, v75
	v_cmp_lt_i32_e32 vcc, v73, v1
	v_cndmask_b32_e32 v39, v75, v73, vcc
	v_lshlrev_b32_e32 v86, 2, v39
	v_xor_b32_e32 v39, 16, v75
	v_cmp_lt_i32_e32 vcc, v39, v1
	v_cndmask_b32_e32 v80, v75, v39, vcc
	v_mov_b32_e32 v82, 0
	v_lshlrev_b32_e32 v87, 2, v80
	s_lshl_b32 s8, s72, 6
	v_mov_b32_e32 v81, 0
	v_mov_b32_e32 v80, 0xfeffffff
	;; [unrolled: 1-line block ×33, first 2 shown]
.LBB29_37:                              ;   Parent Loop BB29_12 Depth=1
                                        ; =>  This Inner Loop Header: Depth=2
	s_ashr_i32 s9, s8, 31
	s_lshl_b64 s[74:75], s[8:9], 1
	v_mov_b32_e32 v107, v80
	v_mov_b32_e32 v138, v81
	v_add_co_u32_e32 v80, vcc, s74, v84
	v_mov_b32_e32 v81, s75
	v_addc_co_u32_e32 v81, vcc, v85, v81, vcc
	global_load_dword v80, v[80:81], off
	s_mul_hi_i32 s75, s8, s34
	s_mul_i32 s74, s8, s34
	s_lshl_b64 s[74:75], s[74:75], 2
	s_add_u32 s9, s49, s74
	s_addc_u32 s11, s54, s75
	v_mov_b32_e32 v81, s11
	v_add_u32_e32 v136, 0x8400, v121
	s_mul_hi_i32 s75, s8, s30
	s_mul_i32 s74, s8, s30
	s_lshl_b64 s[74:75], s[74:75], 2
	s_waitcnt vmcnt(0)
	ds_write_b32 v127, v80 offset:33792
	v_add_co_u32_e32 v80, vcc, s9, v56
	v_addc_co_u32_e32 v81, vcc, v81, v57, vcc
	v_add_co_u32_e32 v80, vcc, v80, v126
	v_addc_co_u32_e32 v81, vcc, 0, v81, vcc
	global_load_dwordx4 v[142:145], v[80:81], off
	v_add_co_u32_e32 v80, vcc, s9, v58
	v_mov_b32_e32 v81, s11
	v_addc_co_u32_e32 v81, vcc, v81, v59, vcc
	v_add_co_u32_e32 v80, vcc, v80, v126
	v_addc_co_u32_e32 v81, vcc, 0, v81, vcc
	s_waitcnt vmcnt(0)
	ds_write_b128 v119, v[142:145]
	global_load_dwordx4 v[142:145], v[80:81], off
	v_add_co_u32_e32 v80, vcc, s9, v60
	v_mov_b32_e32 v81, s11
	v_addc_co_u32_e32 v81, vcc, v81, v61, vcc
	v_add_co_u32_e32 v80, vcc, v80, v126
	v_addc_co_u32_e32 v81, vcc, 0, v81, vcc
	s_waitcnt vmcnt(0)
	ds_write_b128 v238, v[142:145]
	;; [unrolled: 8-line block ×6, first 2 shown]
	global_load_dwordx4 v[142:145], v[80:81], off
	v_add_co_u32_e32 v80, vcc, s9, v70
	v_mov_b32_e32 v81, s11
	v_addc_co_u32_e32 v81, vcc, v81, v71, vcc
	v_add_co_u32_e32 v80, vcc, v80, v126
	v_addc_co_u32_e32 v81, vcc, 0, v81, vcc
	s_add_u32 s9, s6, s74
	s_addc_u32 s11, s55, s75
	s_add_i32 s72, s72, 1
	s_add_i32 s8, s8, 64
	s_cmp_lt_i32 s72, s10
	s_waitcnt vmcnt(0)
	ds_write_b128 v243, v[142:145]
	global_load_dwordx4 v[142:145], v[80:81], off
	s_waitcnt vmcnt(0)
	ds_write_b128 v244, v[142:145]
	s_waitcnt lgkmcnt(0)
	s_barrier
	ds_read2_b64 v[142:145], v120 offset1:4
	s_waitcnt lgkmcnt(0)
	v_mfma_f32_16x16x16f16 a[0:3], v[142:143], v[30:31], 0
	v_mfma_f32_16x16x16f16 a[0:3], v[144:145], v[32:33], a[0:3]
	ds_read2_b64 v[142:145], v120 offset0:8 offset1:12
	s_waitcnt lgkmcnt(0)
	v_mfma_f32_16x16x16f16 a[0:3], v[142:143], v[26:27], a[0:3]
	v_mfma_f32_16x16x16f16 a[0:3], v[144:145], v[28:29], a[0:3]
	ds_read2_b64 v[142:145], v120 offset0:16 offset1:20
	;; [unrolled: 4-line block ×7, first 2 shown]
	s_waitcnt lgkmcnt(0)
	s_barrier
	ds_read2_b32 v[136:137], v136 offset1:1
	v_mfma_f32_16x16x16f16 a[0:3], v[142:143], v[2:3], a[0:3]
	s_waitcnt lgkmcnt(0)
	v_cvt_f32_f16_e32 v142, v136
	v_cvt_f32_f16_sdwa v143, v136 dst_sel:DWORD dst_unused:UNUSED_PAD src0_sel:WORD_1
	v_mfma_f32_16x16x16f16 a[0:3], v[144:145], v[4:5], a[0:3]
	s_nop 7
	s_nop 2
	v_accvgpr_read_b32 v145, a1
	v_accvgpr_read_b32 v144, a0
	v_pk_add_f32 v[142:143], v[144:145], v[142:143]
	v_add_f32_e32 v136, 0x40051340, v142
	v_add_f32_e32 v140, 0x40051340, v143
	v_max3_f32 v140, v107, v136, v140
	v_cvt_f32_f16_e32 v136, v137
	v_cvt_f32_f16_sdwa v137, v137 dst_sel:DWORD dst_unused:UNUSED_PAD src0_sel:WORD_1
	v_accvgpr_read_b32 v81, a3
	v_accvgpr_read_b32 v80, a2
	v_pk_add_f32 v[136:137], v[80:81], v[136:137]
	v_add_f32_e32 v80, 0x40051340, v136
	v_add_f32_e32 v81, 0x40051340, v137
	v_max3_f32 v80, v140, v80, v81
	ds_bpermute_b32 v81, v86, v80
	s_waitcnt lgkmcnt(0)
	v_max_f32_e32 v81, v81, v81
	v_max_f32_e32 v80, v80, v81
	ds_bpermute_b32 v81, v87, v80
	s_waitcnt lgkmcnt(0)
	v_max_f32_e32 v81, v81, v81
	v_max_f32_e32 v80, v80, v81
	v_pk_add_f32 v[142:143], v[142:143], v[80:81] op_sel_hi:[1,0] neg_lo:[0,1] neg_hi:[0,1]
	v_mul_f32_e32 v81, 0x3fb8aa3b, v143
	v_fma_f32 v140, v143, s41, -v81
	v_rndne_f32_e32 v144, v81
	v_fmac_f32_e32 v140, 0x32a5705f, v143
	v_sub_f32_e32 v81, v81, v144
	v_add_f32_e32 v81, v81, v140
	v_exp_f32_e32 v81, v81
	v_cvt_i32_f32_e32 v140, v144
	v_cmp_ngt_f32_e32 vcc, s65, v143
	v_sub_f32_e32 v107, v107, v80
	v_ldexp_f32 v81, v81, v140
	v_cndmask_b32_e32 v81, 0, v81, vcc
	v_cmp_nlt_f32_e32 vcc, s93, v143
	v_cndmask_b32_e32 v140, v190, v81, vcc
	v_mul_f32_e32 v81, 0x3fb8aa3b, v142
	v_fma_f32 v143, v142, s41, -v81
	v_rndne_f32_e32 v144, v81
	v_fmac_f32_e32 v143, 0x32a5705f, v142
	v_sub_f32_e32 v81, v81, v144
	v_add_f32_e32 v81, v81, v143
	v_exp_f32_e32 v81, v81
	v_cvt_i32_f32_e32 v143, v144
	v_cmp_ngt_f32_e32 vcc, s65, v142
	v_ldexp_f32 v81, v81, v143
	v_cndmask_b32_e32 v81, 0, v81, vcc
	v_cmp_nlt_f32_e32 vcc, s93, v142
	v_pk_add_f32 v[136:137], v[136:137], v[80:81] op_sel_hi:[1,0] neg_lo:[0,1] neg_hi:[0,1]
	v_cndmask_b32_e32 v143, v190, v81, vcc
	v_mul_f32_e32 v81, 0x3fb8aa3b, v137
	v_fma_f32 v142, v137, s41, -v81
	v_rndne_f32_e32 v144, v81
	v_fmac_f32_e32 v142, 0x32a5705f, v137
	v_sub_f32_e32 v81, v81, v144
	v_add_f32_e32 v81, v81, v142
	v_exp_f32_e32 v81, v81
	v_cvt_i32_f32_e32 v142, v144
	v_cmp_ngt_f32_e32 vcc, s65, v137
	v_ldexp_f32 v81, v81, v142
	v_cndmask_b32_e32 v81, 0, v81, vcc
	v_cmp_nlt_f32_e32 vcc, s93, v137
	v_cndmask_b32_e32 v137, v190, v81, vcc
	v_mul_f32_e32 v81, 0x3fb8aa3b, v136
	v_fma_f32 v142, v136, s41, -v81
	v_rndne_f32_e32 v144, v81
	v_fmac_f32_e32 v142, 0x32a5705f, v136
	v_sub_f32_e32 v81, v81, v144
	v_add_f32_e32 v81, v81, v142
	v_exp_f32_e32 v81, v81
	v_cvt_i32_f32_e32 v142, v144
	v_cmp_ngt_f32_e32 vcc, s65, v136
	v_ldexp_f32 v81, v81, v142
	v_mul_f32_e32 v142, 0x3fb8aa3b, v107
	v_fma_f32 v144, v107, s41, -v142
	v_rndne_f32_e32 v145, v142
	v_fmac_f32_e32 v144, 0x32a5705f, v107
	v_sub_f32_e32 v142, v142, v145
	v_add_f32_e32 v142, v142, v144
	v_exp_f32_e32 v142, v142
	v_cvt_i32_f32_e32 v144, v145
	v_cndmask_b32_e32 v81, 0, v81, vcc
	v_cmp_nlt_f32_e32 vcc, s93, v136
	v_cndmask_b32_e32 v136, v190, v81, vcc
	v_ldexp_f32 v142, v142, v144
	v_cmp_ngt_f32_e32 vcc, s65, v107
	v_add_f32_e32 v81, v143, v140
	v_cndmask_b32_e32 v142, 0, v142, vcc
	v_cmp_nlt_f32_e32 vcc, s93, v107
	v_add_f32_e32 v81, v136, v81
	v_cndmask_b32_e32 v142, v190, v142, vcc
	v_cmp_le_f32_e32 vcc, s94, v107
	v_add_f32_e32 v81, v137, v81
	v_cndmask_b32_e32 v107, 0, v142, vcc
	v_fmac_f32_e32 v81, v138, v107
	v_cvt_f16_f32_e32 v107, v107
	v_pk_mul_f16 v149, v107, v82 op_sel_hi:[0,1]
	v_pk_mul_f16 v147, v107, v83 op_sel_hi:[0,1]
	v_cvt_f16_f32_e32 v82, v143
	v_cvt_f16_f32_e32 v83, v140
	v_pk_mul_f16 v89, v107, v89 op_sel_hi:[0,1]
	v_pk_mul_f16 v88, v107, v88 op_sel_hi:[0,1]
	;; [unrolled: 1-line block ×30, first 2 shown]
	v_pack_b32_f16 v82, v82, v83
	v_cvt_f16_f32_e32 v83, v137
	v_cvt_f16_f32_e32 v107, v136
	v_mov_b32_e32 v136, s11
	v_cvt_f32_f16_sdwa v143, v158 dst_sel:DWORD dst_unused:UNUSED_PAD src0_sel:WORD_1
	v_cvt_f32_f16_e32 v144, v157
	v_pack_b32_f16 v83, v107, v83
	v_add_co_u32_e32 v107, vcc, s9, v40
	v_addc_co_u32_e32 v137, vcc, v136, v41, vcc
	v_add_co_u32_e32 v136, vcc, v107, v126
	v_addc_co_u32_e32 v137, vcc, 0, v137, vcc
	global_load_dwordx4 v[160:163], v[136:137], off
	v_add_co_u32_e32 v107, vcc, s9, v42
	v_mov_b32_e32 v136, s11
	v_addc_co_u32_e32 v137, vcc, v136, v43, vcc
	v_add_co_u32_e32 v136, vcc, v107, v126
	v_addc_co_u32_e32 v137, vcc, 0, v137, vcc
	v_add_co_u32_e32 v107, vcc, s9, v44
	v_cvt_f32_f16_sdwa v145, v157 dst_sel:DWORD dst_unused:UNUSED_PAD src0_sel:WORD_1
	s_waitcnt vmcnt(0)
	ds_write_b128 v119, v[160:163]
	global_load_dwordx4 v[160:163], v[136:137], off
	v_mov_b32_e32 v136, s11
	v_addc_co_u32_e32 v137, vcc, v136, v45, vcc
	v_add_co_u32_e32 v136, vcc, v107, v126
	v_addc_co_u32_e32 v137, vcc, 0, v137, vcc
	v_add_co_u32_e32 v107, vcc, s9, v46
	s_waitcnt vmcnt(0)
	ds_write_b128 v238, v[160:163]
	global_load_dwordx4 v[160:163], v[136:137], off
	v_mov_b32_e32 v136, s11
	v_addc_co_u32_e32 v137, vcc, v136, v47, vcc
	v_add_co_u32_e32 v136, vcc, v107, v126
	v_addc_co_u32_e32 v137, vcc, 0, v137, vcc
	v_add_co_u32_e32 v107, vcc, s9, v48
	;; [unrolled: 8-line block ×5, first 2 shown]
	s_waitcnt vmcnt(0)
	ds_write_b128 v242, v[160:163]
	global_load_dwordx4 v[160:163], v[136:137], off
	v_mov_b32_e32 v136, s11
	v_addc_co_u32_e32 v137, vcc, v136, v55, vcc
	v_add_co_u32_e32 v136, vcc, v107, v126
	v_addc_co_u32_e32 v137, vcc, 0, v137, vcc
	s_waitcnt vmcnt(0)
	ds_write_b128 v243, v[160:163]
	global_load_dwordx4 v[160:163], v[136:137], off
	s_waitcnt vmcnt(0)
	ds_write_b128 v244, v[160:163]
	s_waitcnt lgkmcnt(0)
	s_barrier
	ds_read_u16 v107, v123 offset:528
	ds_read_u16 v136, v123 offset:1056
	v_cvt_f32_f16_e32 v162, v88
	v_cvt_f32_f16_sdwa v163, v88 dst_sel:DWORD dst_unused:UNUSED_PAD src0_sel:WORD_1
	ds_read_u16 v88, v124
	ds_read_u16 v137, v124 offset:32
	v_cvt_f32_f16_e32 v160, v89
	v_cvt_f32_f16_sdwa v161, v89 dst_sel:DWORD dst_unused:UNUSED_PAD src0_sel:WORD_1
	s_waitcnt lgkmcnt(1)
	v_perm_b32 v89, v88, v136, s95
	ds_read_u16 v88, v122
	ds_read_u16 v136, v122 offset:32
	v_accvgpr_write_b32 a0, v160
	v_accvgpr_write_b32 a1, v161
	;; [unrolled: 1-line block ×3, first 2 shown]
	s_waitcnt lgkmcnt(1)
	v_perm_b32 v88, v107, v88, s95
	v_accvgpr_write_b32 a3, v163
	v_cvt_f32_f16_e32 v160, v91
	v_cvt_f32_f16_sdwa v161, v91 dst_sel:DWORD dst_unused:UNUSED_PAD src0_sel:WORD_1
	v_mfma_f32_16x16x16f16 a[0:3], v[88:89], v[82:83], a[0:3]
	v_cvt_f32_f16_e32 v162, v90
	v_cvt_f32_f16_sdwa v163, v90 dst_sel:DWORD dst_unused:UNUSED_PAD src0_sel:WORD_1
	s_nop 7
	s_nop 0
	v_accvgpr_read_b32 v88, a0
	v_accvgpr_read_b32 v89, a1
	;; [unrolled: 1-line block ×4, first 2 shown]
	v_cvt_f16_f32_e32 v88, v88
	v_cvt_f16_f32_e32 v89, v89
	;; [unrolled: 1-line block ×4, first 2 shown]
	v_accvgpr_write_b32 a0, v160
	v_pack_b32_f16 v89, v88, v89
	v_accvgpr_write_b32 a1, v161
	v_pack_b32_f16 v88, v107, v138
	ds_read_u16 v107, v245 offset:528
	ds_read_u16 v138, v245 offset:1056
	v_accvgpr_write_b32 a2, v162
	v_accvgpr_write_b32 a3, v163
	v_cvt_f32_f16_e32 v160, v93
	s_waitcnt lgkmcnt(1)
	v_perm_b32 v90, v107, v136, s95
	s_waitcnt lgkmcnt(0)
	v_perm_b32 v91, v137, v138, s95
	v_cvt_f32_f16_sdwa v161, v93 dst_sel:DWORD dst_unused:UNUSED_PAD src0_sel:WORD_1
	v_cvt_f32_f16_e32 v162, v92
	v_mfma_f32_16x16x16f16 a[0:3], v[90:91], v[82:83], a[0:3]
	v_cvt_f32_f16_sdwa v163, v92 dst_sel:DWORD dst_unused:UNUSED_PAD src0_sel:WORD_1
	s_nop 7
	s_nop 1
	v_accvgpr_read_b32 v90, a0
	v_accvgpr_read_b32 v91, a1
	v_accvgpr_read_b32 v107, a2
	v_accvgpr_read_b32 v136, a3
	v_cvt_f16_f32_e32 v90, v90
	v_cvt_f16_f32_e32 v91, v91
	v_cvt_f16_f32_e32 v107, v107
	v_cvt_f16_f32_e32 v136, v136
	v_accvgpr_write_b32 a0, v160
	v_pack_b32_f16 v91, v90, v91
	v_accvgpr_write_b32 a1, v161
	v_pack_b32_f16 v90, v107, v136
	ds_read_u16 v107, v122 offset:64
	ds_read_u16 v136, v246 offset:528
	ds_read_u16 v137, v246 offset:1056
	ds_read_u16 v138, v124 offset:64
	v_accvgpr_write_b32 a2, v162
	v_accvgpr_write_b32 a3, v163
	s_waitcnt lgkmcnt(2)
	v_perm_b32 v92, v136, v107, s95
	v_cvt_f32_f16_e32 v160, v95
	s_waitcnt lgkmcnt(0)
	v_perm_b32 v93, v138, v137, s95
	v_cvt_f32_f16_sdwa v161, v95 dst_sel:DWORD dst_unused:UNUSED_PAD src0_sel:WORD_1
	v_cvt_f32_f16_e32 v162, v94
	v_mfma_f32_16x16x16f16 a[0:3], v[92:93], v[82:83], a[0:3]
	v_cvt_f32_f16_sdwa v163, v94 dst_sel:DWORD dst_unused:UNUSED_PAD src0_sel:WORD_1
	s_nop 7
	s_nop 1
	v_accvgpr_read_b32 v92, a0
	v_accvgpr_read_b32 v93, a1
	v_accvgpr_read_b32 v107, a2
	v_accvgpr_read_b32 v136, a3
	v_cvt_f16_f32_e32 v92, v92
	v_cvt_f16_f32_e32 v93, v93
	v_cvt_f16_f32_e32 v107, v107
	v_cvt_f16_f32_e32 v136, v136
	v_accvgpr_write_b32 a0, v160
	v_pack_b32_f16 v93, v92, v93
	v_accvgpr_write_b32 a1, v161
	v_pack_b32_f16 v92, v107, v136
	ds_read_u16 v107, v122 offset:96
	ds_read_u16 v136, v247 offset:528
	ds_read_u16 v137, v247 offset:1056
	ds_read_u16 v138, v124 offset:96
	v_accvgpr_write_b32 a2, v162
	v_accvgpr_write_b32 a3, v163
	s_waitcnt lgkmcnt(2)
	v_perm_b32 v94, v136, v107, s95
	v_cvt_f32_f16_e32 v160, v97
	;; [unrolled: 29-line block ×7, first 2 shown]
	s_waitcnt lgkmcnt(0)
	v_perm_b32 v137, v138, v137, s95
	v_cvt_f32_f16_sdwa v161, v113 dst_sel:DWORD dst_unused:UNUSED_PAD src0_sel:WORD_1
	v_cvt_f32_f16_e32 v162, v112
	v_mfma_f32_16x16x16f16 a[0:3], v[136:137], v[82:83], a[0:3]
	v_cvt_f32_f16_sdwa v163, v112 dst_sel:DWORD dst_unused:UNUSED_PAD src0_sel:WORD_1
	s_nop 7
	s_nop 1
	v_accvgpr_read_b32 v110, a2
	v_accvgpr_read_b32 v107, a0
	;; [unrolled: 1-line block ×3, first 2 shown]
	v_cvt_f16_f32_e32 v136, v110
	v_accvgpr_read_b32 v110, a3
	v_cvt_f16_f32_e32 v107, v107
	v_cvt_f16_f32_e32 v108, v108
	;; [unrolled: 1-line block ×3, first 2 shown]
	v_accvgpr_write_b32 a0, v160
	v_accvgpr_write_b32 a1, v161
	v_pack_b32_f16 v110, v107, v108
	v_pack_b32_f16 v108, v136, v137
	ds_read_u16 v107, v122 offset:288
	ds_read_u16 v136, v253 offset:528
	;; [unrolled: 1-line block ×4, first 2 shown]
	v_accvgpr_write_b32 a2, v162
	v_accvgpr_write_b32 a3, v163
	s_waitcnt lgkmcnt(2)
	v_perm_b32 v112, v136, v107, s95
	v_cvt_f32_f16_e32 v160, v150
	s_waitcnt lgkmcnt(0)
	v_perm_b32 v113, v138, v137, s95
	v_cvt_f32_f16_sdwa v161, v150 dst_sel:DWORD dst_unused:UNUSED_PAD src0_sel:WORD_1
	v_cvt_f32_f16_e32 v162, v142
	v_mfma_f32_16x16x16f16 a[0:3], v[112:113], v[82:83], a[0:3]
	v_cvt_f32_f16_sdwa v163, v142 dst_sel:DWORD dst_unused:UNUSED_PAD src0_sel:WORD_1
	v_cvt_f32_f16_e32 v142, v158
	s_nop 7
	s_nop 0
	v_accvgpr_read_b32 v113, a2
	v_accvgpr_read_b32 v107, a0
	;; [unrolled: 1-line block ×3, first 2 shown]
	v_cvt_f16_f32_e32 v136, v113
	v_accvgpr_read_b32 v113, a3
	v_cvt_f16_f32_e32 v107, v107
	v_cvt_f16_f32_e32 v112, v112
	;; [unrolled: 1-line block ×3, first 2 shown]
	v_accvgpr_write_b32 a0, v160
	v_accvgpr_write_b32 a1, v161
	v_pack_b32_f16 v113, v107, v112
	v_pack_b32_f16 v112, v136, v137
	ds_read_u16 v107, v122 offset:320
	ds_read_u16 v136, v254 offset:528
	;; [unrolled: 1-line block ×4, first 2 shown]
	v_accvgpr_write_b32 a2, v162
	v_accvgpr_write_b32 a3, v163
	s_waitcnt lgkmcnt(2)
	v_perm_b32 v136, v136, v107, s95
	s_waitcnt lgkmcnt(0)
	v_perm_b32 v137, v138, v137, s95
	s_nop 1
	v_mfma_f32_16x16x16f16 a[0:3], v[136:137], v[82:83], a[0:3]
	s_nop 7
	s_nop 2
	v_accvgpr_read_b32 v107, a0
	v_accvgpr_read_b32 v136, a1
	v_accvgpr_read_b32 v137, a2
	v_accvgpr_read_b32 v138, a3
	v_cvt_f16_f32_e32 v107, v107
	v_cvt_f16_f32_e32 v136, v136
	v_cvt_f16_f32_e32 v137, v137
	v_cvt_f16_f32_e32 v138, v138
	v_accvgpr_write_b32 a0, v142
	v_pack_b32_f16 v180, v107, v136
	v_accvgpr_write_b32 a1, v143
	v_pack_b32_f16 v178, v137, v138
	ds_read_u16 v107, v122 offset:352
	ds_read_u16 v136, v200 offset:528
	ds_read_u16 v137, v200 offset:1056
	ds_read_u16 v138, v124 offset:352
	v_accvgpr_write_b32 a2, v144
	v_accvgpr_write_b32 a3, v145
	s_waitcnt lgkmcnt(2)
	v_perm_b32 v136, v136, v107, s95
	v_cvt_f32_f16_e32 v142, v156
	s_waitcnt lgkmcnt(0)
	v_perm_b32 v137, v138, v137, s95
	v_cvt_f32_f16_sdwa v143, v156 dst_sel:DWORD dst_unused:UNUSED_PAD src0_sel:WORD_1
	v_cvt_f32_f16_e32 v144, v155
	v_mfma_f32_16x16x16f16 a[0:3], v[136:137], v[82:83], a[0:3]
	v_cvt_f32_f16_sdwa v145, v155 dst_sel:DWORD dst_unused:UNUSED_PAD src0_sel:WORD_1
	s_nop 7
	s_nop 1
	v_accvgpr_read_b32 v107, a0
	v_accvgpr_read_b32 v136, a1
	v_accvgpr_read_b32 v137, a2
	v_accvgpr_read_b32 v138, a3
	v_cvt_f16_f32_e32 v107, v107
	v_cvt_f16_f32_e32 v136, v136
	v_cvt_f16_f32_e32 v137, v137
	v_cvt_f16_f32_e32 v138, v138
	v_accvgpr_write_b32 a0, v142
	v_pack_b32_f16 v182, v107, v136
	v_accvgpr_write_b32 a1, v143
	v_pack_b32_f16 v181, v137, v138
	ds_read_u16 v107, v122 offset:384
	ds_read_u16 v136, v196 offset:528
	ds_read_u16 v137, v196 offset:1056
	ds_read_u16 v138, v124 offset:384
	v_accvgpr_write_b32 a2, v144
	v_accvgpr_write_b32 a3, v145
	s_waitcnt lgkmcnt(2)
	v_perm_b32 v136, v136, v107, s95
	v_cvt_f32_f16_e32 v142, v154
	s_waitcnt lgkmcnt(0)
	v_perm_b32 v137, v138, v137, s95
	v_cvt_f32_f16_sdwa v143, v154 dst_sel:DWORD dst_unused:UNUSED_PAD src0_sel:WORD_1
	v_cvt_f32_f16_e32 v144, v153
	v_mfma_f32_16x16x16f16 a[0:3], v[136:137], v[82:83], a[0:3]
	v_cvt_f32_f16_sdwa v145, v153 dst_sel:DWORD dst_unused:UNUSED_PAD src0_sel:WORD_1
	;; [unrolled: 29-line block ×4, first 2 shown]
	s_nop 7
	s_nop 1
	v_accvgpr_read_b32 v107, a0
	v_accvgpr_read_b32 v136, a1
	;; [unrolled: 1-line block ×4, first 2 shown]
	v_cvt_f16_f32_e32 v107, v107
	v_cvt_f16_f32_e32 v136, v136
	;; [unrolled: 1-line block ×4, first 2 shown]
	v_accvgpr_write_b32 a0, v142
	v_pack_b32_f16 v176, v107, v136
	v_accvgpr_write_b32 a1, v143
	v_pack_b32_f16 v174, v137, v138
	ds_read_u16 v107, v122 offset:480
	ds_read_u16 v136, v202 offset:528
	;; [unrolled: 1-line block ×4, first 2 shown]
	v_accvgpr_write_b32 a2, v144
	v_accvgpr_write_b32 a3, v145
	s_waitcnt lgkmcnt(2)
	v_perm_b32 v136, v136, v107, s95
	s_waitcnt lgkmcnt(0)
	v_perm_b32 v137, v138, v137, s95
	s_barrier
	s_nop 0
	v_mfma_f32_16x16x16f16 a[0:3], v[136:137], v[82:83], a[0:3]
	s_nop 7
	s_nop 2
	v_accvgpr_read_b32 v82, a0
	v_accvgpr_read_b32 v83, a1
	;; [unrolled: 1-line block ×4, first 2 shown]
	v_cvt_f16_f32_e32 v82, v82
	v_cvt_f16_f32_e32 v83, v83
	;; [unrolled: 1-line block ×4, first 2 shown]
	v_pack_b32_f16 v82, v82, v83
	v_pack_b32_f16 v83, v107, v136
	s_cbranch_scc1 .LBB29_37
.LBB29_38:                              ;   in Loop: Header=BB29_12 Depth=1
	s_lshl_b32 s8, s72, 6
	s_ashr_i32 s9, s8, 31
	s_lshl_b64 s[10:11], s[8:9], 1
	v_add_co_u32_e32 v84, vcc, s10, v183
	v_mov_b32_e32 v85, s11
	v_addc_co_u32_e32 v85, vcc, v191, v85, vcc
	v_add_co_u32_e32 v78, vcc, v84, v78
	v_addc_co_u32_e32 v79, vcc, v85, v79, vcc
	v_lshlrev_b32_e32 v84, 1, v38
	v_add_co_u32_e32 v78, vcc, v78, v84
	v_addc_co_u32_e32 v79, vcc, 0, v79, vcc
	global_load_dword v78, v[78:79], off
	s_mul_hi_i32 s11, s34, s8
	s_mul_i32 s10, s34, s8
	s_lshl_b64 s[10:11], s[10:11], 2
	s_add_u32 s9, s49, s10
	s_addc_u32 s10, s54, s11
	v_mov_b32_e32 v79, s10
	s_waitcnt vmcnt(0)
	ds_write_b32 v127, v78 offset:33792
	v_add_co_u32_e32 v78, vcc, s9, v56
	v_addc_co_u32_e32 v79, vcc, v79, v57, vcc
	v_add_co_u32_e32 v78, vcc, v78, v126
	v_addc_co_u32_e32 v79, vcc, 0, v79, vcc
	global_load_dwordx4 v[84:87], v[78:79], off
	v_add_co_u32_e32 v78, vcc, s9, v58
	v_mov_b32_e32 v79, s10
	v_addc_co_u32_e32 v79, vcc, v79, v59, vcc
	v_add_co_u32_e32 v78, vcc, v78, v126
	v_addc_co_u32_e32 v79, vcc, 0, v79, vcc
	s_waitcnt vmcnt(0)
	ds_write_b128 v119, v[84:87]
	global_load_dwordx4 v[84:87], v[78:79], off
	v_add_co_u32_e32 v78, vcc, s9, v60
	v_mov_b32_e32 v79, s10
	v_addc_co_u32_e32 v79, vcc, v79, v61, vcc
	v_add_co_u32_e32 v78, vcc, v78, v126
	v_addc_co_u32_e32 v79, vcc, 0, v79, vcc
	s_waitcnt vmcnt(0)
	ds_write_b128 v238, v[84:87]
	;; [unrolled: 8-line block ×6, first 2 shown]
	global_load_dwordx4 v[84:87], v[78:79], off
	v_add_co_u32_e32 v78, vcc, s9, v70
	v_mov_b32_e32 v79, s10
	v_addc_co_u32_e32 v79, vcc, v79, v71, vcc
	v_add_co_u32_e32 v78, vcc, v78, v126
	v_addc_co_u32_e32 v79, vcc, 0, v79, vcc
	v_cmp_lt_i32_e32 vcc, v73, v1
	s_mul_hi_i32 s9, s30, s8
	s_mul_i32 s8, s30, s8
	s_lshl_b64 s[10:11], s[8:9], 2
	s_add_u32 s9, s6, s10
	s_addc_u32 s8, s55, s11
	s_cmp_eq_u64 s[70:71], 0
	s_waitcnt vmcnt(0)
	ds_write_b128 v243, v[84:87]
	global_load_dwordx4 v[84:87], v[78:79], off
	s_waitcnt vmcnt(0)
	ds_write_b128 v244, v[84:87]
	s_waitcnt lgkmcnt(0)
	s_barrier
	ds_read2_b64 v[84:87], v120 offset1:4
	s_waitcnt lgkmcnt(0)
	v_mfma_f32_16x16x16f16 a[0:3], v[84:85], v[30:31], 0
	v_mfma_f32_16x16x16f16 a[0:3], v[86:87], v[32:33], a[0:3]
	ds_read2_b64 v[30:33], v120 offset0:8 offset1:12
	s_waitcnt lgkmcnt(0)
	v_mfma_f32_16x16x16f16 a[0:3], v[30:31], v[26:27], a[0:3]
	v_mfma_f32_16x16x16f16 a[0:3], v[32:33], v[28:29], a[0:3]
	ds_read2_b64 v[26:29], v120 offset0:16 offset1:20
	;; [unrolled: 4-line block ×7, first 2 shown]
	s_waitcnt lgkmcnt(0)
	s_barrier
	v_mfma_f32_16x16x16f16 a[0:3], v[6:7], v[2:3], a[0:3]
	v_cndmask_b32_e32 v6, v75, v73, vcc
	v_lshlrev_b32_e32 v73, 2, v6
	v_cmp_lt_i32_e32 vcc, v39, v1
	v_cndmask_b32_e32 v1, v75, v39, vcc
	v_lshlrev_b32_e32 v39, 2, v1
	v_mfma_f32_16x16x16f16 a[0:3], v[8:9], v[4:5], a[0:3]
	v_add_u32_e32 v4, 0x8400, v121
	ds_read2_b32 v[4:5], v4 offset1:1
	s_waitcnt lgkmcnt(0)
	v_cvt_f32_f16_e32 v6, v4
	v_cvt_f32_f16_sdwa v7, v4 dst_sel:DWORD dst_unused:UNUSED_PAD src0_sel:WORD_1
	s_nop 5
	v_accvgpr_read_b32 v9, a1
	v_accvgpr_read_b32 v8, a0
	v_pk_add_f32 v[6:7], v[8:9], v[6:7]
	v_add_f32_e32 v1, 0x40051340, v6
	v_add_f32_e32 v4, 0x40051340, v7
	v_max3_f32 v1, v80, v1, v4
	v_cvt_f32_f16_e32 v4, v5
	v_cvt_f32_f16_sdwa v5, v5 dst_sel:DWORD dst_unused:UNUSED_PAD src0_sel:WORD_1
	v_accvgpr_read_b32 v3, a3
	v_accvgpr_read_b32 v2, a2
	v_pk_add_f32 v[4:5], v[2:3], v[4:5]
	v_add_f32_e32 v2, 0x40051340, v4
	v_add_f32_e32 v3, 0x40051340, v5
	v_max3_f32 v1, v1, v2, v3
	ds_bpermute_b32 v2, v73, v1
	s_waitcnt lgkmcnt(0)
	v_max_f32_e32 v2, v2, v2
	v_max_f32_e32 v1, v1, v2
	ds_bpermute_b32 v2, v39, v1
	s_waitcnt lgkmcnt(0)
	v_max_f32_e32 v2, v2, v2
	v_max_f32_e32 v2, v1, v2
	v_pk_add_f32 v[6:7], v[6:7], v[2:3] op_sel_hi:[1,0] neg_lo:[0,1] neg_hi:[0,1]
	v_mul_f32_e32 v1, 0x3fb8aa3b, v7
	v_fma_f32 v3, v7, s41, -v1
	v_rndne_f32_e32 v8, v1
	v_fmac_f32_e32 v3, 0x32a5705f, v7
	v_sub_f32_e32 v1, v1, v8
	v_add_f32_e32 v1, v1, v3
	v_exp_f32_e32 v1, v1
	v_cvt_i32_f32_e32 v3, v8
	v_cmp_ngt_f32_e32 vcc, s65, v7
	v_ldexp_f32 v1, v1, v3
	v_cndmask_b32_e32 v1, 0, v1, vcc
	v_cmp_nlt_f32_e32 vcc, s93, v7
	v_cndmask_b32_e32 v84, v190, v1, vcc
	v_mul_f32_e32 v1, 0x3fb8aa3b, v6
	v_fma_f32 v3, v6, s41, -v1
	v_rndne_f32_e32 v7, v1
	v_fmac_f32_e32 v3, 0x32a5705f, v6
	v_sub_f32_e32 v1, v1, v7
	v_add_f32_e32 v1, v1, v3
	v_exp_f32_e32 v1, v1
	v_cvt_i32_f32_e32 v3, v7
	v_cmp_ngt_f32_e32 vcc, s65, v6
	v_ldexp_f32 v1, v1, v3
	v_cndmask_b32_e32 v1, 0, v1, vcc
	v_cmp_nlt_f32_e32 vcc, s93, v6
	v_pk_add_f32 v[4:5], v[4:5], v[2:3] op_sel_hi:[1,0] neg_lo:[0,1] neg_hi:[0,1]
	v_cndmask_b32_e32 v85, v190, v1, vcc
	v_mul_f32_e32 v1, 0x3fb8aa3b, v5
	v_fma_f32 v3, v5, s41, -v1
	v_rndne_f32_e32 v6, v1
	v_fmac_f32_e32 v3, 0x32a5705f, v5
	v_sub_f32_e32 v1, v1, v6
	v_add_f32_e32 v1, v1, v3
	v_exp_f32_e32 v1, v1
	v_cvt_i32_f32_e32 v3, v6
	v_cmp_ngt_f32_e32 vcc, s65, v5
	v_ldexp_f32 v1, v1, v3
	v_cndmask_b32_e32 v1, 0, v1, vcc
	v_cmp_nlt_f32_e32 vcc, s93, v5
	v_cndmask_b32_e32 v5, v190, v1, vcc
	v_mul_f32_e32 v1, 0x3fb8aa3b, v4
	v_fma_f32 v3, v4, s41, -v1
	v_rndne_f32_e32 v6, v1
	v_fmac_f32_e32 v3, 0x32a5705f, v4
	v_sub_f32_e32 v1, v1, v6
	v_add_f32_e32 v1, v1, v3
	v_exp_f32_e32 v1, v1
	v_cvt_i32_f32_e32 v3, v6
	v_cmp_ngt_f32_e32 vcc, s65, v4
	v_ldexp_f32 v1, v1, v3
	v_cndmask_b32_e32 v1, 0, v1, vcc
	v_cmp_nlt_f32_e32 vcc, s93, v4
	v_cndmask_b32_e32 v86, v190, v1, vcc
	v_add_f32_e32 v1, v85, v84
	v_add_f32_e32 v1, v86, v1
	;; [unrolled: 1-line block ×3, first 2 shown]
	v_sub_f32_e32 v1, v80, v2
	v_mul_f32_e32 v4, 0x3fb8aa3b, v1
	v_fma_f32 v6, v1, s41, -v4
	v_rndne_f32_e32 v7, v4
	v_fmac_f32_e32 v6, 0x32a5705f, v1
	v_sub_f32_e32 v4, v4, v7
	v_add_f32_e32 v4, v4, v6
	v_exp_f32_e32 v4, v4
	v_cvt_i32_f32_e32 v6, v7
	v_cmp_ngt_f32_e32 vcc, s65, v1
	v_cvt_f16_f32_e32 v80, v84
	v_cvt_f16_f32_e32 v5, v5
	v_ldexp_f32 v4, v4, v6
	v_cndmask_b32_e32 v4, 0, v4, vcc
	v_cmp_nlt_f32_e32 vcc, s93, v1
	v_cndmask_b32_e32 v4, v190, v4, vcc
	v_cmp_le_f32_e32 vcc, s94, v1
	v_cndmask_b32_e32 v1, 0, v4, vcc
	v_cvt_f16_f32_e32 v4, v1
	v_fmac_f32_e32 v3, v81, v1
	v_mov_b32_e32 v81, s8
	v_pk_mul_f16 v6, v4, v89 op_sel_hi:[0,1]
	v_pk_mul_f16 v1, v4, v88 op_sel_hi:[0,1]
	;; [unrolled: 1-line block ×32, first 2 shown]
	v_cvt_f16_f32_e32 v4, v85
	v_pack_b32_f16 v4, v4, v80
	v_cvt_f16_f32_e32 v80, v86
	v_pack_b32_f16 v5, v80, v5
	v_add_co_u32_e32 v80, vcc, s9, v40
	v_addc_co_u32_e32 v81, vcc, v81, v41, vcc
	v_add_co_u32_e32 v80, vcc, v80, v126
	v_addc_co_u32_e32 v81, vcc, 0, v81, vcc
	global_load_dwordx4 v[80:83], v[80:81], off
	s_waitcnt vmcnt(0)
	ds_write_b128 v119, v[80:83]
	v_add_co_u32_e32 v80, vcc, s9, v42
	v_mov_b32_e32 v81, s8
	v_addc_co_u32_e32 v81, vcc, v81, v43, vcc
	v_add_co_u32_e32 v80, vcc, v80, v126
	v_addc_co_u32_e32 v81, vcc, 0, v81, vcc
	global_load_dwordx4 v[80:83], v[80:81], off
	s_waitcnt vmcnt(0)
	ds_write_b128 v238, v[80:83]
	v_add_co_u32_e32 v80, vcc, s9, v44
	v_mov_b32_e32 v81, s8
	;; [unrolled: 8-line block ×7, first 2 shown]
	v_addc_co_u32_e32 v81, vcc, v81, v55, vcc
	v_add_co_u32_e32 v80, vcc, v80, v126
	v_addc_co_u32_e32 v81, vcc, 0, v81, vcc
	global_load_dwordx4 v[80:83], v[80:81], off
	s_cselect_b64 s[8:9], -1, 0
	s_xor_b64 s[10:11], s[0:1], -1
	s_or_b64 s[8:9], s[10:11], s[8:9]
	s_waitcnt vmcnt(0)
	ds_write_b128 v244, v[80:83]
	s_waitcnt lgkmcnt(0)
	s_barrier
	ds_read_u16 v84, v123 offset:528
	ds_read_u16 v85, v123 offset:1056
	v_cvt_f32_f16_e32 v82, v1
	v_cvt_f32_f16_sdwa v83, v1 dst_sel:DWORD dst_unused:UNUSED_PAD src0_sel:WORD_1
	ds_read_u16 v1, v124
	ds_read_u16 v86, v124 offset:32
	v_cvt_f32_f16_e32 v80, v6
	v_cvt_f32_f16_sdwa v81, v6 dst_sel:DWORD dst_unused:UNUSED_PAD src0_sel:WORD_1
	s_waitcnt lgkmcnt(1)
	v_perm_b32 v85, v1, v85, s95
	ds_read_u16 v1, v122
	ds_read_u16 v87, v122 offset:32
	v_accvgpr_write_b32 a0, v80
	v_accvgpr_write_b32 a1, v81
	;; [unrolled: 1-line block ×3, first 2 shown]
	s_waitcnt lgkmcnt(1)
	v_perm_b32 v84, v84, v1, s95
	v_accvgpr_write_b32 a3, v83
	v_cvt_f32_f16_e32 v82, v7
	v_cvt_f32_f16_sdwa v83, v7 dst_sel:DWORD dst_unused:UNUSED_PAD src0_sel:WORD_1
	v_mfma_f32_16x16x16f16 a[0:3], v[84:85], v[4:5], a[0:3]
	ds_read_u16 v84, v245 offset:528
	ds_read_u16 v85, v245 offset:1056
	s_waitcnt lgkmcnt(1)
	v_perm_b32 v84, v84, v87, s95
	s_waitcnt lgkmcnt(0)
	v_perm_b32 v85, v86, v85, s95
	s_nop 4
	v_accvgpr_read_b32 v1, a0
	v_accvgpr_read_b32 v6, a1
	v_accvgpr_read_b32 v80, a2
	v_accvgpr_read_b32 v81, a3
	v_cvt_f16_f32_e32 v1, v1
	v_cvt_f16_f32_e32 v6, v6
	v_cvt_f16_f32_e32 v80, v80
	v_cvt_f16_f32_e32 v81, v81
	v_pack_b32_f16 v6, v1, v6
	v_pack_b32_f16 v1, v80, v81
	v_cvt_f32_f16_e32 v80, v8
	v_cvt_f32_f16_sdwa v81, v8 dst_sel:DWORD dst_unused:UNUSED_PAD src0_sel:WORD_1
	v_accvgpr_write_b32 a0, v80
	v_accvgpr_write_b32 a1, v81
	v_accvgpr_write_b32 a2, v82
	v_accvgpr_write_b32 a3, v83
	v_cvt_f32_f16_e32 v82, v9
	v_cvt_f32_f16_sdwa v83, v9 dst_sel:DWORD dst_unused:UNUSED_PAD src0_sel:WORD_1
	v_mfma_f32_16x16x16f16 a[0:3], v[84:85], v[4:5], a[0:3]
	ds_read_u16 v84, v122 offset:64
	ds_read_u16 v86, v246 offset:528
	ds_read_u16 v85, v246 offset:1056
	ds_read_u16 v87, v124 offset:64
	s_waitcnt lgkmcnt(2)
	v_perm_b32 v84, v86, v84, s95
	s_waitcnt lgkmcnt(0)
	v_perm_b32 v85, v87, v85, s95
	s_nop 2
	v_accvgpr_read_b32 v7, a0
	v_accvgpr_read_b32 v8, a1
	v_accvgpr_read_b32 v80, a2
	v_accvgpr_read_b32 v81, a3
	v_cvt_f16_f32_e32 v7, v7
	v_cvt_f16_f32_e32 v8, v8
	v_cvt_f16_f32_e32 v80, v80
	v_cvt_f16_f32_e32 v81, v81
	v_pack_b32_f16 v8, v7, v8
	v_pack_b32_f16 v7, v80, v81
	v_cvt_f32_f16_e32 v80, v10
	v_cvt_f32_f16_sdwa v81, v10 dst_sel:DWORD dst_unused:UNUSED_PAD src0_sel:WORD_1
	v_accvgpr_write_b32 a0, v80
	v_accvgpr_write_b32 a1, v81
	v_accvgpr_write_b32 a2, v82
	v_accvgpr_write_b32 a3, v83
	v_cvt_f32_f16_e32 v82, v11
	v_cvt_f32_f16_sdwa v83, v11 dst_sel:DWORD dst_unused:UNUSED_PAD src0_sel:WORD_1
	v_mfma_f32_16x16x16f16 a[0:3], v[84:85], v[4:5], a[0:3]
	ds_read_u16 v84, v122 offset:96
	ds_read_u16 v86, v247 offset:528
	;; [unrolled: 28-line block ×13, first 2 shown]
	ds_read_u16 v85, v192 offset:1056
	ds_read_u16 v87, v124 offset:448
	s_waitcnt lgkmcnt(2)
	v_perm_b32 v84, v86, v84, s95
	v_cvt_f32_f16_e32 v86, v75
	s_waitcnt lgkmcnt(0)
	v_perm_b32 v85, v87, v85, s95
	v_cvt_f32_f16_sdwa v87, v75 dst_sel:DWORD dst_unused:UNUSED_PAD src0_sel:WORD_1
	s_nop 0
	v_accvgpr_read_b32 v31, a0
	v_accvgpr_read_b32 v32, a1
	;; [unrolled: 1-line block ×4, first 2 shown]
	v_cvt_f16_f32_e32 v31, v31
	v_cvt_f16_f32_e32 v32, v32
	;; [unrolled: 1-line block ×4, first 2 shown]
	v_pack_b32_f16 v32, v31, v32
	v_pack_b32_f16 v31, v80, v81
	v_cvt_f32_f16_e32 v80, v78
	v_cvt_f32_f16_sdwa v81, v78 dst_sel:DWORD dst_unused:UNUSED_PAD src0_sel:WORD_1
	v_accvgpr_write_b32 a0, v80
	v_accvgpr_write_b32 a1, v81
	v_accvgpr_write_b32 a2, v82
	v_accvgpr_write_b32 a3, v83
	s_nop 1
	v_mfma_f32_16x16x16f16 a[0:3], v[84:85], v[4:5], a[0:3]
	v_cvt_f32_f16_e32 v84, v79
	v_cvt_f32_f16_sdwa v85, v79 dst_sel:DWORD dst_unused:UNUSED_PAD src0_sel:WORD_1
	s_nop 7
	s_nop 0
	v_accvgpr_read_b32 v33, a0
	v_accvgpr_read_b32 v78, a1
	;; [unrolled: 1-line block ×4, first 2 shown]
	v_cvt_f16_f32_e32 v33, v33
	v_cvt_f16_f32_e32 v78, v78
	;; [unrolled: 1-line block ×4, first 2 shown]
	v_accvgpr_write_b32 a0, v84
	v_pack_b32_f16 v78, v33, v78
	v_accvgpr_write_b32 a1, v85
	v_pack_b32_f16 v33, v80, v81
	ds_read_u16 v80, v122 offset:480
	ds_read_u16 v81, v202 offset:528
	ds_read_u16 v82, v202 offset:1056
	ds_read_u16 v83, v124 offset:480
	v_accvgpr_write_b32 a2, v86
	v_accvgpr_write_b32 a3, v87
	s_waitcnt lgkmcnt(0)
	s_barrier
	v_perm_b32 v83, v83, v82, s95
	v_perm_b32 v82, v81, v80, s95
	s_nop 1
	v_mfma_f32_16x16x16f16 a[0:3], v[82:83], v[4:5], a[0:3]
	s_nop 7
	s_nop 2
	v_accvgpr_read_b32 v4, a0
	v_accvgpr_read_b32 v5, a1
	;; [unrolled: 1-line block ×4, first 2 shown]
	v_cvt_f16_f32_e32 v4, v4
	v_cvt_f16_f32_e32 v5, v5
	;; [unrolled: 1-line block ×4, first 2 shown]
	v_pack_b32_f16 v4, v4, v5
	v_pack_b32_f16 v5, v75, v79
	ds_bpermute_b32 v75, v73, v3
	s_waitcnt lgkmcnt(0)
	v_add_f32_e32 v3, v3, v75
	ds_bpermute_b32 v75, v39, v3
	s_waitcnt lgkmcnt(0)
	v_add_f32_e32 v3, v3, v75
	s_and_saveexec_b64 s[10:11], s[8:9]
	s_xor_b64 s[8:9], exec, s[10:11]
	s_andn2_saveexec_b64 s[8:9], s[8:9]
	s_cbranch_execz .LBB29_40
; %bb.39:                               ;   in Loop: Header=BB29_12 Depth=1
	v_lshlrev_b32_e32 v75, 2, v74
	global_load_dword v75, v75, s[70:71]
	v_max_f32_e32 v80, v2, v2
	s_waitcnt vmcnt(0)
	v_max_f32_e32 v79, v75, v75
	v_max_f32_e32 v80, v80, v79
	v_sub_f32_e32 v2, v2, v80
	v_mul_f32_e32 v79, 0x3fb8aa3b, v2
	v_fma_f32 v81, v2, s41, -v79
	v_rndne_f32_e32 v82, v79
	v_fmac_f32_e32 v81, 0x32a5705f, v2
	v_sub_f32_e32 v79, v79, v82
	v_add_f32_e32 v79, v79, v81
	v_exp_f32_e32 v79, v79
	v_cvt_i32_f32_e32 v81, v82
	v_cmp_ngt_f32_e32 vcc, s65, v2
	v_sub_f32_e32 v75, v75, v80
	v_ldexp_f32 v79, v79, v81
	v_cndmask_b32_e32 v79, 0, v79, vcc
	v_cmp_nlt_f32_e32 vcc, s93, v2
	v_cndmask_b32_e32 v79, v190, v79, vcc
	v_cmp_le_f32_e32 vcc, s94, v2
	v_cndmask_b32_e32 v2, 0, v79, vcc
	v_cvt_f16_f32_e32 v79, v2
	v_cmp_ngt_f32_e32 vcc, s65, v75
	v_pk_mul_f16 v6, v79, v6 op_sel_hi:[0,1]
	v_pk_mul_f16 v1, v79, v1 op_sel_hi:[0,1]
	;; [unrolled: 1-line block ×32, first 2 shown]
	v_mul_f32_e32 v79, 0x3fb8aa3b, v75
	v_fma_f32 v81, v75, s41, -v79
	v_rndne_f32_e32 v82, v79
	v_fmac_f32_e32 v81, 0x32a5705f, v75
	v_sub_f32_e32 v79, v79, v82
	v_add_f32_e32 v79, v79, v81
	v_exp_f32_e32 v79, v79
	v_cvt_i32_f32_e32 v81, v82
	v_ldexp_f32 v79, v79, v81
	v_cndmask_b32_e32 v79, 0, v79, vcc
	v_cmp_nlt_f32_e32 vcc, s93, v75
	v_cndmask_b32_e32 v81, v190, v79, vcc
	v_fmac_f32_e32 v81, v3, v2
	v_pk_mov_b32 v[2:3], v[80:81], v[80:81] op_sel:[0,1]
.LBB29_40:                              ;   in Loop: Header=BB29_12 Depth=1
	s_or_b64 exec, exec, s[8:9]
	s_and_saveexec_b64 s[8:9], s[4:5]
	s_cbranch_execz .LBB29_42
; %bb.41:                               ;   in Loop: Header=BB29_12 Depth=1
	v_add_u32_e32 v75, 0, v129
	ds_write2_b32 v75, v2, v3 offset0:128 offset1:129
.LBB29_42:                              ;   in Loop: Header=BB29_12 Depth=1
	s_or_b64 exec, exec, s[8:9]
	s_waitcnt lgkmcnt(0)
	s_barrier
	s_and_saveexec_b64 s[8:9], s[2:3]
	s_xor_b64 s[8:9], exec, s[8:9]
	s_cbranch_execz .LBB29_44
; %bb.43:                               ;   in Loop: Header=BB29_12 Depth=1
	s_barrier
	s_waitcnt lgkmcnt(0)
                                        ; implicit-def: $vgpr73
                                        ; implicit-def: $vgpr39
.LBB29_44:                              ;   in Loop: Header=BB29_12 Depth=1
	s_andn2_saveexec_b64 s[8:9], s[8:9]
	s_cbranch_execz .LBB29_48
; %bb.45:                               ;   in Loop: Header=BB29_12 Depth=1
	v_add_u32_e32 v3, 0, v130
	ds_read_b64 v[80:81], v3 offset:512
	s_waitcnt lgkmcnt(0)
	s_barrier
	ds_bpermute_b32 v2, v73, v80
	v_max_f32_e32 v75, v80, v80
	s_waitcnt lgkmcnt(0)
	v_max_f32_e32 v2, v2, v2
	v_max_f32_e32 v2, v75, v2
	ds_bpermute_b32 v75, v39, v2
	s_waitcnt lgkmcnt(0)
	v_max_f32_e32 v75, v75, v75
	v_max_f32_e32 v2, v2, v75
	v_sub_f32_e32 v75, v80, v2
	v_mul_f32_e32 v79, 0x3fb8aa3b, v75
	v_fma_f32 v80, v75, s41, -v79
	v_rndne_f32_e32 v82, v79
	v_fmac_f32_e32 v80, 0x32a5705f, v75
	v_sub_f32_e32 v79, v79, v82
	v_add_f32_e32 v79, v79, v80
	v_cvt_i32_f32_e32 v82, v82
	v_exp_f32_e32 v79, v79
	v_cmp_ngt_f32_e32 vcc, s65, v75
	v_ldexp_f32 v79, v79, v82
	v_cndmask_b32_e32 v79, 0, v79, vcc
	v_cmp_nlt_f32_e32 vcc, s93, v75
	v_cndmask_b32_e32 v80, v190, v79, vcc
	v_mul_f32_e32 v75, v81, v80
	ds_bpermute_b32 v73, v73, v75
	s_waitcnt lgkmcnt(0)
	v_fmac_f32_e32 v73, v81, v80
	ds_bpermute_b32 v39, v39, v73
	s_waitcnt lgkmcnt(0)
	v_add_f32_e32 v81, v73, v39
	ds_write_b64 v3, v[80:81] offset:512
	s_and_saveexec_b64 s[10:11], s[4:5]
	s_cbranch_execz .LBB29_47
; %bb.46:                               ;   in Loop: Header=BB29_12 Depth=1
	v_mov_b32_e32 v3, v81
	global_store_dwordx2 v[36:37], v[2:3], off
.LBB29_47:                              ;   in Loop: Header=BB29_12 Depth=1
	s_or_b64 exec, exec, s[10:11]
.LBB29_48:                              ;   in Loop: Header=BB29_12 Depth=1
	s_or_b64 exec, exec, s[8:9]
	ds_write2_b32 v131, v6, v1 offset1:1
	ds_write2_b32 v131, v8, v7 offset0:8 offset1:9
	ds_write2_b32 v131, v10, v9 offset0:16 offset1:17
	;; [unrolled: 1-line block ×15, first 2 shown]
	s_waitcnt lgkmcnt(0)
	s_barrier
	s_and_saveexec_b64 s[72:73], s[0:1]
	s_cbranch_execz .LBB29_126
; %bb.49:                               ;   in Loop: Header=BB29_12 Depth=1
	v_add_u32_e32 v2, s90, v195
	v_or_b32_e32 v1, s7, v187
	v_cmp_gt_i32_e64 s[8:9], s28, v2
	v_cmp_gt_i32_e32 vcc, s33, v1
	s_and_b64 s[8:9], s[8:9], vcc
	v_mov_b32_e32 v1, 0x47
	s_and_saveexec_b64 s[10:11], s[8:9]
	s_cbranch_execz .LBB29_51
; %bb.50:                               ;   in Loop: Header=BB29_12 Depth=1
	v_mul_lo_u32 v1, v2, s29
	v_add_lshl_u32 v1, v1, v187, 7
	v_accvgpr_read_b32 v2, a9
	v_add_u32_e32 v4, 0, v2
	v_add_u32_e32 v10, v34, v1
	ds_read2st64_b32 v[2:3], v4 offset0:2 offset1:35
	ds_read2st64_b32 v[4:5], v4 offset0:68 offset1:101
	ds_read2st64_b32 v[6:7], v132 offset1:1
	ds_read2st64_b32 v[8:9], v132 offset0:33 offset1:66
	ds_read_b32 v16, v132 offset:25344
	v_ashrrev_i32_e32 v11, 31, v10
	v_lshlrev_b64 v[10:11], 3, v[10:11]
	v_add_co_u32_e64 v10, s[8:9], s57, v10
	v_mov_b32_e32 v12, s64
	v_addc_co_u32_e64 v11, s[8:9], v12, v11, s[8:9]
	s_waitcnt lgkmcnt(2)
	v_cvt_f32_f16_sdwa v13, v6 dst_sel:DWORD dst_unused:UNUSED_PAD src0_sel:WORD_1
	v_cvt_f32_f16_e32 v12, v6
	s_waitcnt lgkmcnt(1)
	v_cvt_f32_f16_sdwa v15, v8 dst_sel:DWORD dst_unused:UNUSED_PAD src0_sel:WORD_1
	v_cvt_f32_f16_e32 v14, v8
	v_mov_b32_e32 v6, v3
	v_pk_fma_f32 v[12:13], v[2:3], v[12:13], 0 op_sel_hi:[0,1,0]
	v_ashrrev_i32_e32 v3, 31, v1
	v_pk_fma_f32 v[12:13], v[6:7], v[14:15], v[12:13] op_sel_hi:[0,1,1]
	v_cvt_f32_f16_sdwa v15, v9 dst_sel:DWORD dst_unused:UNUSED_PAD src0_sel:WORD_1
	v_cvt_f32_f16_e32 v14, v9
	v_pk_fma_f32 v[8:9], v[4:5], v[14:15], v[12:13] op_sel_hi:[0,1,1]
	s_waitcnt lgkmcnt(0)
	v_cvt_f32_f16_sdwa v13, v16 dst_sel:DWORD dst_unused:UNUSED_PAD src0_sel:WORD_1
	v_cvt_f32_f16_e32 v12, v16
	v_mov_b32_e32 v14, v5
	v_pk_fma_f32 v[8:9], v[14:15], v[12:13], v[8:9] op_sel_hi:[0,1,1]
	global_store_dwordx2 v[10:11], v[8:9], off
	ds_read2st64_b32 v[8:9], v134 offset0:33 offset1:66
	ds_read_b32 v15, v134 offset:25344
	v_cvt_f32_f16_sdwa v13, v7 dst_sel:DWORD dst_unused:UNUSED_PAD src0_sel:WORD_1
	v_cvt_f32_f16_e32 v12, v7
	v_add_co_u32_e64 v10, s[8:9], v34, v1
	v_addc_co_u32_e64 v11, s[8:9], 0, v3, s[8:9]
	v_pk_fma_f32 v[2:3], v[2:3], v[12:13], 0 op_sel_hi:[0,1,0]
	s_waitcnt lgkmcnt(1)
	v_cvt_f32_f16_sdwa v13, v8 dst_sel:DWORD dst_unused:UNUSED_PAD src0_sel:WORD_1
	v_cvt_f32_f16_e32 v12, v8
	v_lshlrev_b64 v[10:11], 3, v[10:11]
	v_add_co_u32_e64 v10, s[8:9], s57, v10
	v_pk_fma_f32 v[2:3], v[6:7], v[12:13], v[2:3] op_sel_hi:[0,1,1]
	v_cvt_f32_f16_sdwa v7, v9 dst_sel:DWORD dst_unused:UNUSED_PAD src0_sel:WORD_1
	v_cvt_f32_f16_e32 v6, v9
	v_mov_b32_e32 v1, s64
	v_addc_co_u32_e64 v11, s[8:9], v1, v11, s[8:9]
	v_pk_fma_f32 v[2:3], v[4:5], v[6:7], v[2:3] op_sel_hi:[0,1,1]
	s_waitcnt lgkmcnt(0)
	v_cvt_f32_f16_sdwa v5, v15 dst_sel:DWORD dst_unused:UNUSED_PAD src0_sel:WORD_1
	v_cvt_f32_f16_e32 v4, v15
	v_mov_b32_e32 v1, 0
	v_pk_fma_f32 v[2:3], v[14:15], v[4:5], v[2:3] op_sel_hi:[0,1,1]
	global_store_dwordx2 v[10:11], v[2:3], off offset:512
.LBB29_51:                              ;   in Loop: Header=BB29_12 Depth=1
	s_or_b64 exec, exec, s[10:11]
	s_movk_i32 s8, 0x47
	v_cmp_gt_i32_e64 s[8:9], s8, v1
	s_mov_b64 s[10:11], -1
	s_and_saveexec_b64 s[74:75], s[8:9]
; %bb.52:                               ;   in Loop: Header=BB29_12 Depth=1
	v_cmp_eq_u32_e64 s[8:9], 0, v1
	s_orn2_b64 s[10:11], s[8:9], exec
; %bb.53:                               ;   in Loop: Header=BB29_12 Depth=1
	s_or_b64 exec, exec, s[74:75]
	s_and_b64 exec, exec, s[10:11]
	s_cbranch_execz .LBB29_126
; %bb.54:                               ;   in Loop: Header=BB29_12 Depth=1
	v_add_u32_e32 v2, s90, v135
	v_or_b32_e32 v1, s7, v115
	v_cmp_gt_i32_e64 s[8:9], s28, v2
	v_cmp_gt_i32_e64 s[10:11], s33, v1
	s_and_b64 s[8:9], s[8:9], s[10:11]
	v_mov_b32_e32 v1, 0x47
	s_and_saveexec_b64 s[10:11], s[8:9]
	s_cbranch_execz .LBB29_56
; %bb.55:                               ;   in Loop: Header=BB29_12 Depth=1
	v_mul_lo_u32 v1, v2, s29
	v_add_lshl_u32 v1, v1, v115, 7
	v_accvgpr_read_b32 v2, a10
	v_add_u32_e32 v4, 0, v2
	v_add_u32_e32 v10, v34, v1
	ds_read2st64_b32 v[2:3], v4 offset0:2 offset1:35
	ds_read2st64_b32 v[4:5], v4 offset0:68 offset1:101
	ds_read2st64_b32 v[6:7], v133 offset1:1
	ds_read2st64_b32 v[8:9], v133 offset0:33 offset1:66
	ds_read_b32 v16, v133 offset:25344
	v_ashrrev_i32_e32 v11, 31, v10
	v_lshlrev_b64 v[10:11], 3, v[10:11]
	v_add_co_u32_e64 v10, s[8:9], s57, v10
	v_mov_b32_e32 v12, s64
	v_addc_co_u32_e64 v11, s[8:9], v12, v11, s[8:9]
	s_waitcnt lgkmcnt(2)
	v_cvt_f32_f16_sdwa v13, v6 dst_sel:DWORD dst_unused:UNUSED_PAD src0_sel:WORD_1
	v_cvt_f32_f16_e32 v12, v6
	s_waitcnt lgkmcnt(1)
	v_cvt_f32_f16_sdwa v15, v8 dst_sel:DWORD dst_unused:UNUSED_PAD src0_sel:WORD_1
	v_cvt_f32_f16_e32 v14, v8
	v_mov_b32_e32 v6, v3
	v_pk_fma_f32 v[12:13], v[2:3], v[12:13], 0 op_sel_hi:[0,1,0]
	v_ashrrev_i32_e32 v3, 31, v1
	v_pk_fma_f32 v[12:13], v[6:7], v[14:15], v[12:13] op_sel_hi:[0,1,1]
	v_cvt_f32_f16_sdwa v15, v9 dst_sel:DWORD dst_unused:UNUSED_PAD src0_sel:WORD_1
	v_cvt_f32_f16_e32 v14, v9
	v_pk_fma_f32 v[8:9], v[4:5], v[14:15], v[12:13] op_sel_hi:[0,1,1]
	s_waitcnt lgkmcnt(0)
	v_cvt_f32_f16_sdwa v13, v16 dst_sel:DWORD dst_unused:UNUSED_PAD src0_sel:WORD_1
	v_cvt_f32_f16_e32 v12, v16
	v_mov_b32_e32 v14, v5
	v_pk_fma_f32 v[8:9], v[14:15], v[12:13], v[8:9] op_sel_hi:[0,1,1]
	global_store_dwordx2 v[10:11], v[8:9], off
	ds_read2st64_b32 v[8:9], v139 offset0:33 offset1:66
	ds_read_b32 v15, v139 offset:25344
	v_cvt_f32_f16_sdwa v13, v7 dst_sel:DWORD dst_unused:UNUSED_PAD src0_sel:WORD_1
	v_cvt_f32_f16_e32 v12, v7
	v_add_co_u32_e64 v10, s[8:9], v34, v1
	v_addc_co_u32_e64 v11, s[8:9], 0, v3, s[8:9]
	v_pk_fma_f32 v[2:3], v[2:3], v[12:13], 0 op_sel_hi:[0,1,0]
	s_waitcnt lgkmcnt(1)
	v_cvt_f32_f16_sdwa v13, v8 dst_sel:DWORD dst_unused:UNUSED_PAD src0_sel:WORD_1
	v_cvt_f32_f16_e32 v12, v8
	v_lshlrev_b64 v[10:11], 3, v[10:11]
	v_add_co_u32_e64 v10, s[8:9], s57, v10
	v_pk_fma_f32 v[2:3], v[6:7], v[12:13], v[2:3] op_sel_hi:[0,1,1]
	v_cvt_f32_f16_sdwa v7, v9 dst_sel:DWORD dst_unused:UNUSED_PAD src0_sel:WORD_1
	v_cvt_f32_f16_e32 v6, v9
	v_mov_b32_e32 v1, s64
	v_addc_co_u32_e64 v11, s[8:9], v1, v11, s[8:9]
	v_pk_fma_f32 v[2:3], v[4:5], v[6:7], v[2:3] op_sel_hi:[0,1,1]
	s_waitcnt lgkmcnt(0)
	v_cvt_f32_f16_sdwa v5, v15 dst_sel:DWORD dst_unused:UNUSED_PAD src0_sel:WORD_1
	v_cvt_f32_f16_e32 v4, v15
	v_mov_b32_e32 v1, 0
	v_pk_fma_f32 v[2:3], v[14:15], v[4:5], v[2:3] op_sel_hi:[0,1,1]
	global_store_dwordx2 v[10:11], v[2:3], off offset:512
.LBB29_56:                              ;   in Loop: Header=BB29_12 Depth=1
	s_or_b64 exec, exec, s[10:11]
	s_movk_i32 s8, 0x47
	v_cmp_gt_i32_e64 s[8:9], s8, v1
	s_mov_b64 s[10:11], -1
	s_and_saveexec_b64 s[74:75], s[8:9]
; %bb.57:                               ;   in Loop: Header=BB29_12 Depth=1
	v_cmp_eq_u32_e64 s[8:9], 0, v1
	s_orn2_b64 s[10:11], s[8:9], exec
; %bb.58:                               ;   in Loop: Header=BB29_12 Depth=1
	s_or_b64 exec, exec, s[74:75]
	s_and_b64 exec, exec, s[10:11]
	s_cbranch_execz .LBB29_126
; %bb.59:                               ;   in Loop: Header=BB29_12 Depth=1
	v_accvgpr_read_b32 v1, a11
	v_add_u32_e32 v2, s90, v1
	v_cmp_gt_i32_e64 s[8:9], s28, v2
	s_and_b64 s[8:9], s[8:9], vcc
	v_mov_b32_e32 v1, 0x47
	s_and_saveexec_b64 s[10:11], s[8:9]
	s_cbranch_execz .LBB29_61
; %bb.60:                               ;   in Loop: Header=BB29_12 Depth=1
	v_mul_lo_u32 v1, v2, s29
	v_accvgpr_read_b32 v2, a13
	v_add_lshl_u32 v1, v1, v187, 7
	v_add_u32_e32 v4, 0, v2
	v_accvgpr_read_b32 v10, a12
	ds_read2st64_b32 v[2:3], v4 offset0:2 offset1:35
	ds_read2st64_b32 v[4:5], v4 offset0:68 offset1:101
	ds_read2st64_b32 v[6:7], v10 offset1:1
	ds_read2st64_b32 v[8:9], v10 offset0:33 offset1:66
	ds_read_b32 v16, v10 offset:25344
	v_add_u32_e32 v10, v34, v1
	v_ashrrev_i32_e32 v11, 31, v10
	v_lshlrev_b64 v[10:11], 3, v[10:11]
	v_add_co_u32_e64 v10, s[8:9], s57, v10
	v_mov_b32_e32 v12, s64
	v_addc_co_u32_e64 v11, s[8:9], v12, v11, s[8:9]
	s_waitcnt lgkmcnt(2)
	v_cvt_f32_f16_sdwa v13, v6 dst_sel:DWORD dst_unused:UNUSED_PAD src0_sel:WORD_1
	v_cvt_f32_f16_e32 v12, v6
	s_waitcnt lgkmcnt(1)
	v_cvt_f32_f16_sdwa v15, v8 dst_sel:DWORD dst_unused:UNUSED_PAD src0_sel:WORD_1
	v_cvt_f32_f16_e32 v14, v8
	v_mov_b32_e32 v6, v3
	v_pk_fma_f32 v[12:13], v[2:3], v[12:13], 0 op_sel_hi:[0,1,0]
	v_accvgpr_read_b32 v3, a14
	v_pk_fma_f32 v[12:13], v[6:7], v[14:15], v[12:13] op_sel_hi:[0,1,1]
	v_cvt_f32_f16_sdwa v15, v9 dst_sel:DWORD dst_unused:UNUSED_PAD src0_sel:WORD_1
	v_cvt_f32_f16_e32 v14, v9
	v_pk_fma_f32 v[8:9], v[4:5], v[14:15], v[12:13] op_sel_hi:[0,1,1]
	s_waitcnt lgkmcnt(0)
	v_cvt_f32_f16_sdwa v13, v16 dst_sel:DWORD dst_unused:UNUSED_PAD src0_sel:WORD_1
	v_cvt_f32_f16_e32 v12, v16
	v_mov_b32_e32 v14, v5
	v_pk_fma_f32 v[8:9], v[14:15], v[12:13], v[8:9] op_sel_hi:[0,1,1]
	global_store_dwordx2 v[10:11], v[8:9], off
	ds_read2st64_b32 v[8:9], v3 offset0:33 offset1:66
	ds_read_b32 v15, v3 offset:25344
	v_cvt_f32_f16_sdwa v13, v7 dst_sel:DWORD dst_unused:UNUSED_PAD src0_sel:WORD_1
	v_cvt_f32_f16_e32 v12, v7
	v_ashrrev_i32_e32 v3, 31, v1
	v_add_co_u32_e64 v10, s[8:9], v34, v1
	v_addc_co_u32_e64 v11, s[8:9], 0, v3, s[8:9]
	v_pk_fma_f32 v[2:3], v[2:3], v[12:13], 0 op_sel_hi:[0,1,0]
	s_waitcnt lgkmcnt(1)
	v_cvt_f32_f16_sdwa v13, v8 dst_sel:DWORD dst_unused:UNUSED_PAD src0_sel:WORD_1
	v_cvt_f32_f16_e32 v12, v8
	v_lshlrev_b64 v[10:11], 3, v[10:11]
	v_add_co_u32_e64 v10, s[8:9], s57, v10
	v_pk_fma_f32 v[2:3], v[6:7], v[12:13], v[2:3] op_sel_hi:[0,1,1]
	v_cvt_f32_f16_sdwa v7, v9 dst_sel:DWORD dst_unused:UNUSED_PAD src0_sel:WORD_1
	v_cvt_f32_f16_e32 v6, v9
	v_mov_b32_e32 v1, s64
	v_addc_co_u32_e64 v11, s[8:9], v1, v11, s[8:9]
	v_pk_fma_f32 v[2:3], v[4:5], v[6:7], v[2:3] op_sel_hi:[0,1,1]
	s_waitcnt lgkmcnt(0)
	v_cvt_f32_f16_sdwa v5, v15 dst_sel:DWORD dst_unused:UNUSED_PAD src0_sel:WORD_1
	v_cvt_f32_f16_e32 v4, v15
	v_mov_b32_e32 v1, 0
	v_pk_fma_f32 v[2:3], v[14:15], v[4:5], v[2:3] op_sel_hi:[0,1,1]
	global_store_dwordx2 v[10:11], v[2:3], off offset:512
.LBB29_61:                              ;   in Loop: Header=BB29_12 Depth=1
	s_or_b64 exec, exec, s[10:11]
	s_movk_i32 s8, 0x47
	v_cmp_gt_i32_e64 s[8:9], s8, v1
	s_mov_b64 s[10:11], -1
	s_and_saveexec_b64 s[74:75], s[8:9]
; %bb.62:                               ;   in Loop: Header=BB29_12 Depth=1
	v_cmp_eq_u32_e64 s[8:9], 0, v1
	s_orn2_b64 s[10:11], s[8:9], exec
; %bb.63:                               ;   in Loop: Header=BB29_12 Depth=1
	s_or_b64 exec, exec, s[74:75]
	s_and_b64 exec, exec, s[10:11]
	s_cbranch_execz .LBB29_126
; %bb.64:                               ;   in Loop: Header=BB29_12 Depth=1
	v_accvgpr_read_b32 v1, a15
	v_add_u32_e32 v2, s90, v1
	v_accvgpr_read_b32 v1, a16
	v_or_b32_e32 v1, s7, v1
	v_cmp_gt_i32_e64 s[8:9], s28, v2
	v_cmp_gt_i32_e64 s[10:11], s33, v1
	s_and_b64 s[8:9], s[8:9], s[10:11]
	v_mov_b32_e32 v1, 0x47
	s_and_saveexec_b64 s[10:11], s[8:9]
	s_cbranch_execz .LBB29_66
; %bb.65:                               ;   in Loop: Header=BB29_12 Depth=1
	v_mul_lo_u32 v1, v2, s29
	v_accvgpr_read_b32 v2, a16
	v_add_lshl_u32 v1, v1, v2, 7
	v_accvgpr_read_b32 v2, a18
	v_add_u32_e32 v4, 0, v2
	v_accvgpr_read_b32 v10, a17
	ds_read2st64_b32 v[2:3], v4 offset0:2 offset1:35
	ds_read2st64_b32 v[4:5], v4 offset0:68 offset1:101
	ds_read2st64_b32 v[6:7], v10 offset1:1
	ds_read2st64_b32 v[8:9], v10 offset0:33 offset1:66
	ds_read_b32 v16, v10 offset:25344
	v_add_u32_e32 v10, v34, v1
	v_ashrrev_i32_e32 v11, 31, v10
	v_lshlrev_b64 v[10:11], 3, v[10:11]
	v_add_co_u32_e64 v10, s[8:9], s57, v10
	v_mov_b32_e32 v12, s64
	v_addc_co_u32_e64 v11, s[8:9], v12, v11, s[8:9]
	s_waitcnt lgkmcnt(2)
	v_cvt_f32_f16_sdwa v13, v6 dst_sel:DWORD dst_unused:UNUSED_PAD src0_sel:WORD_1
	v_cvt_f32_f16_e32 v12, v6
	s_waitcnt lgkmcnt(1)
	v_cvt_f32_f16_sdwa v15, v8 dst_sel:DWORD dst_unused:UNUSED_PAD src0_sel:WORD_1
	v_cvt_f32_f16_e32 v14, v8
	v_mov_b32_e32 v6, v3
	v_pk_fma_f32 v[12:13], v[2:3], v[12:13], 0 op_sel_hi:[0,1,0]
	v_accvgpr_read_b32 v3, a19
	v_pk_fma_f32 v[12:13], v[6:7], v[14:15], v[12:13] op_sel_hi:[0,1,1]
	v_cvt_f32_f16_sdwa v15, v9 dst_sel:DWORD dst_unused:UNUSED_PAD src0_sel:WORD_1
	v_cvt_f32_f16_e32 v14, v9
	v_pk_fma_f32 v[8:9], v[4:5], v[14:15], v[12:13] op_sel_hi:[0,1,1]
	s_waitcnt lgkmcnt(0)
	v_cvt_f32_f16_sdwa v13, v16 dst_sel:DWORD dst_unused:UNUSED_PAD src0_sel:WORD_1
	v_cvt_f32_f16_e32 v12, v16
	v_mov_b32_e32 v14, v5
	v_pk_fma_f32 v[8:9], v[14:15], v[12:13], v[8:9] op_sel_hi:[0,1,1]
	global_store_dwordx2 v[10:11], v[8:9], off
	ds_read2st64_b32 v[8:9], v3 offset0:33 offset1:66
	ds_read_b32 v15, v3 offset:25344
	v_cvt_f32_f16_sdwa v13, v7 dst_sel:DWORD dst_unused:UNUSED_PAD src0_sel:WORD_1
	v_cvt_f32_f16_e32 v12, v7
	v_ashrrev_i32_e32 v3, 31, v1
	v_add_co_u32_e64 v10, s[8:9], v34, v1
	v_addc_co_u32_e64 v11, s[8:9], 0, v3, s[8:9]
	v_pk_fma_f32 v[2:3], v[2:3], v[12:13], 0 op_sel_hi:[0,1,0]
	s_waitcnt lgkmcnt(1)
	v_cvt_f32_f16_sdwa v13, v8 dst_sel:DWORD dst_unused:UNUSED_PAD src0_sel:WORD_1
	v_cvt_f32_f16_e32 v12, v8
	v_lshlrev_b64 v[10:11], 3, v[10:11]
	v_add_co_u32_e64 v10, s[8:9], s57, v10
	v_pk_fma_f32 v[2:3], v[6:7], v[12:13], v[2:3] op_sel_hi:[0,1,1]
	v_cvt_f32_f16_sdwa v7, v9 dst_sel:DWORD dst_unused:UNUSED_PAD src0_sel:WORD_1
	v_cvt_f32_f16_e32 v6, v9
	v_mov_b32_e32 v1, s64
	v_addc_co_u32_e64 v11, s[8:9], v1, v11, s[8:9]
	v_pk_fma_f32 v[2:3], v[4:5], v[6:7], v[2:3] op_sel_hi:[0,1,1]
	s_waitcnt lgkmcnt(0)
	v_cvt_f32_f16_sdwa v5, v15 dst_sel:DWORD dst_unused:UNUSED_PAD src0_sel:WORD_1
	v_cvt_f32_f16_e32 v4, v15
	v_mov_b32_e32 v1, 0
	v_pk_fma_f32 v[2:3], v[14:15], v[4:5], v[2:3] op_sel_hi:[0,1,1]
	global_store_dwordx2 v[10:11], v[2:3], off offset:512
.LBB29_66:                              ;   in Loop: Header=BB29_12 Depth=1
	s_or_b64 exec, exec, s[10:11]
	s_movk_i32 s8, 0x47
	v_cmp_gt_i32_e64 s[8:9], s8, v1
	s_mov_b64 s[10:11], -1
	s_and_saveexec_b64 s[74:75], s[8:9]
; %bb.67:                               ;   in Loop: Header=BB29_12 Depth=1
	v_cmp_eq_u32_e64 s[8:9], 0, v1
	s_orn2_b64 s[10:11], s[8:9], exec
; %bb.68:                               ;   in Loop: Header=BB29_12 Depth=1
	s_or_b64 exec, exec, s[74:75]
	s_and_b64 exec, exec, s[10:11]
	s_cbranch_execz .LBB29_126
; %bb.69:                               ;   in Loop: Header=BB29_12 Depth=1
	v_accvgpr_read_b32 v1, a20
	v_add_u32_e32 v2, s90, v1
	v_cmp_gt_i32_e64 s[8:9], s28, v2
	s_and_b64 s[8:9], s[8:9], vcc
	v_mov_b32_e32 v1, 0x47
	s_and_saveexec_b64 s[10:11], s[8:9]
	s_cbranch_execz .LBB29_71
; %bb.70:                               ;   in Loop: Header=BB29_12 Depth=1
	v_mul_lo_u32 v1, v2, s29
	v_accvgpr_read_b32 v2, a22
	v_add_lshl_u32 v1, v1, v187, 7
	v_add_u32_e32 v4, 0, v2
	v_accvgpr_read_b32 v10, a21
	ds_read2st64_b32 v[2:3], v4 offset0:2 offset1:35
	ds_read2st64_b32 v[4:5], v4 offset0:68 offset1:101
	ds_read2st64_b32 v[6:7], v10 offset1:1
	ds_read2st64_b32 v[8:9], v10 offset0:33 offset1:66
	ds_read_b32 v16, v10 offset:25344
	v_add_u32_e32 v10, v34, v1
	v_ashrrev_i32_e32 v11, 31, v10
	v_lshlrev_b64 v[10:11], 3, v[10:11]
	v_add_co_u32_e64 v10, s[8:9], s57, v10
	v_mov_b32_e32 v12, s64
	v_addc_co_u32_e64 v11, s[8:9], v12, v11, s[8:9]
	s_waitcnt lgkmcnt(2)
	v_cvt_f32_f16_sdwa v13, v6 dst_sel:DWORD dst_unused:UNUSED_PAD src0_sel:WORD_1
	v_cvt_f32_f16_e32 v12, v6
	s_waitcnt lgkmcnt(1)
	v_cvt_f32_f16_sdwa v15, v8 dst_sel:DWORD dst_unused:UNUSED_PAD src0_sel:WORD_1
	v_cvt_f32_f16_e32 v14, v8
	v_mov_b32_e32 v6, v3
	v_pk_fma_f32 v[12:13], v[2:3], v[12:13], 0 op_sel_hi:[0,1,0]
	v_accvgpr_read_b32 v3, a23
	v_pk_fma_f32 v[12:13], v[6:7], v[14:15], v[12:13] op_sel_hi:[0,1,1]
	v_cvt_f32_f16_sdwa v15, v9 dst_sel:DWORD dst_unused:UNUSED_PAD src0_sel:WORD_1
	v_cvt_f32_f16_e32 v14, v9
	v_pk_fma_f32 v[8:9], v[4:5], v[14:15], v[12:13] op_sel_hi:[0,1,1]
	s_waitcnt lgkmcnt(0)
	v_cvt_f32_f16_sdwa v13, v16 dst_sel:DWORD dst_unused:UNUSED_PAD src0_sel:WORD_1
	v_cvt_f32_f16_e32 v12, v16
	v_mov_b32_e32 v14, v5
	v_pk_fma_f32 v[8:9], v[14:15], v[12:13], v[8:9] op_sel_hi:[0,1,1]
	global_store_dwordx2 v[10:11], v[8:9], off
	ds_read2st64_b32 v[8:9], v3 offset0:33 offset1:66
	ds_read_b32 v15, v3 offset:25344
	v_cvt_f32_f16_sdwa v13, v7 dst_sel:DWORD dst_unused:UNUSED_PAD src0_sel:WORD_1
	v_cvt_f32_f16_e32 v12, v7
	v_ashrrev_i32_e32 v3, 31, v1
	v_add_co_u32_e64 v10, s[8:9], v34, v1
	v_addc_co_u32_e64 v11, s[8:9], 0, v3, s[8:9]
	v_pk_fma_f32 v[2:3], v[2:3], v[12:13], 0 op_sel_hi:[0,1,0]
	s_waitcnt lgkmcnt(1)
	v_cvt_f32_f16_sdwa v13, v8 dst_sel:DWORD dst_unused:UNUSED_PAD src0_sel:WORD_1
	v_cvt_f32_f16_e32 v12, v8
	v_lshlrev_b64 v[10:11], 3, v[10:11]
	v_add_co_u32_e64 v10, s[8:9], s57, v10
	v_pk_fma_f32 v[2:3], v[6:7], v[12:13], v[2:3] op_sel_hi:[0,1,1]
	v_cvt_f32_f16_sdwa v7, v9 dst_sel:DWORD dst_unused:UNUSED_PAD src0_sel:WORD_1
	v_cvt_f32_f16_e32 v6, v9
	v_mov_b32_e32 v1, s64
	v_addc_co_u32_e64 v11, s[8:9], v1, v11, s[8:9]
	v_pk_fma_f32 v[2:3], v[4:5], v[6:7], v[2:3] op_sel_hi:[0,1,1]
	s_waitcnt lgkmcnt(0)
	v_cvt_f32_f16_sdwa v5, v15 dst_sel:DWORD dst_unused:UNUSED_PAD src0_sel:WORD_1
	v_cvt_f32_f16_e32 v4, v15
	v_mov_b32_e32 v1, 0
	v_pk_fma_f32 v[2:3], v[14:15], v[4:5], v[2:3] op_sel_hi:[0,1,1]
	global_store_dwordx2 v[10:11], v[2:3], off offset:512
.LBB29_71:                              ;   in Loop: Header=BB29_12 Depth=1
	s_or_b64 exec, exec, s[10:11]
	s_movk_i32 s8, 0x47
	v_cmp_gt_i32_e64 s[8:9], s8, v1
	s_mov_b64 s[10:11], -1
	s_and_saveexec_b64 s[74:75], s[8:9]
; %bb.72:                               ;   in Loop: Header=BB29_12 Depth=1
	v_cmp_eq_u32_e64 s[8:9], 0, v1
	s_orn2_b64 s[10:11], s[8:9], exec
; %bb.73:                               ;   in Loop: Header=BB29_12 Depth=1
	s_or_b64 exec, exec, s[74:75]
	s_and_b64 exec, exec, s[10:11]
	s_cbranch_execz .LBB29_126
; %bb.74:                               ;   in Loop: Header=BB29_12 Depth=1
	v_accvgpr_read_b32 v1, a24
	v_add_u32_e32 v2, s90, v1
	v_accvgpr_read_b32 v1, a25
	v_or_b32_e32 v1, s7, v1
	v_cmp_gt_i32_e64 s[8:9], s28, v2
	v_cmp_gt_i32_e64 s[10:11], s33, v1
	s_and_b64 s[8:9], s[8:9], s[10:11]
	v_mov_b32_e32 v1, 0x47
	s_and_saveexec_b64 s[10:11], s[8:9]
	s_cbranch_execz .LBB29_76
; %bb.75:                               ;   in Loop: Header=BB29_12 Depth=1
	v_mul_lo_u32 v1, v2, s29
	v_accvgpr_read_b32 v2, a25
	v_add_lshl_u32 v1, v1, v2, 7
	v_accvgpr_read_b32 v2, a27
	v_add_u32_e32 v4, 0, v2
	v_accvgpr_read_b32 v10, a26
	ds_read2st64_b32 v[2:3], v4 offset0:2 offset1:35
	ds_read2st64_b32 v[4:5], v4 offset0:68 offset1:101
	ds_read2st64_b32 v[6:7], v10 offset1:1
	ds_read2st64_b32 v[8:9], v10 offset0:33 offset1:66
	ds_read_b32 v16, v10 offset:25344
	v_add_u32_e32 v10, v34, v1
	v_ashrrev_i32_e32 v11, 31, v10
	v_lshlrev_b64 v[10:11], 3, v[10:11]
	v_add_co_u32_e64 v10, s[8:9], s57, v10
	v_mov_b32_e32 v12, s64
	v_addc_co_u32_e64 v11, s[8:9], v12, v11, s[8:9]
	s_waitcnt lgkmcnt(2)
	v_cvt_f32_f16_sdwa v13, v6 dst_sel:DWORD dst_unused:UNUSED_PAD src0_sel:WORD_1
	v_cvt_f32_f16_e32 v12, v6
	s_waitcnt lgkmcnt(1)
	v_cvt_f32_f16_sdwa v15, v8 dst_sel:DWORD dst_unused:UNUSED_PAD src0_sel:WORD_1
	v_cvt_f32_f16_e32 v14, v8
	v_mov_b32_e32 v6, v3
	v_pk_fma_f32 v[12:13], v[2:3], v[12:13], 0 op_sel_hi:[0,1,0]
	v_accvgpr_read_b32 v3, a28
	v_pk_fma_f32 v[12:13], v[6:7], v[14:15], v[12:13] op_sel_hi:[0,1,1]
	v_cvt_f32_f16_sdwa v15, v9 dst_sel:DWORD dst_unused:UNUSED_PAD src0_sel:WORD_1
	v_cvt_f32_f16_e32 v14, v9
	v_pk_fma_f32 v[8:9], v[4:5], v[14:15], v[12:13] op_sel_hi:[0,1,1]
	s_waitcnt lgkmcnt(0)
	v_cvt_f32_f16_sdwa v13, v16 dst_sel:DWORD dst_unused:UNUSED_PAD src0_sel:WORD_1
	v_cvt_f32_f16_e32 v12, v16
	v_mov_b32_e32 v14, v5
	v_pk_fma_f32 v[8:9], v[14:15], v[12:13], v[8:9] op_sel_hi:[0,1,1]
	global_store_dwordx2 v[10:11], v[8:9], off
	ds_read2st64_b32 v[8:9], v3 offset0:33 offset1:66
	ds_read_b32 v15, v3 offset:25344
	v_cvt_f32_f16_sdwa v13, v7 dst_sel:DWORD dst_unused:UNUSED_PAD src0_sel:WORD_1
	v_cvt_f32_f16_e32 v12, v7
	v_ashrrev_i32_e32 v3, 31, v1
	v_add_co_u32_e64 v10, s[8:9], v34, v1
	v_addc_co_u32_e64 v11, s[8:9], 0, v3, s[8:9]
	v_pk_fma_f32 v[2:3], v[2:3], v[12:13], 0 op_sel_hi:[0,1,0]
	s_waitcnt lgkmcnt(1)
	v_cvt_f32_f16_sdwa v13, v8 dst_sel:DWORD dst_unused:UNUSED_PAD src0_sel:WORD_1
	v_cvt_f32_f16_e32 v12, v8
	v_lshlrev_b64 v[10:11], 3, v[10:11]
	v_add_co_u32_e64 v10, s[8:9], s57, v10
	v_pk_fma_f32 v[2:3], v[6:7], v[12:13], v[2:3] op_sel_hi:[0,1,1]
	v_cvt_f32_f16_sdwa v7, v9 dst_sel:DWORD dst_unused:UNUSED_PAD src0_sel:WORD_1
	v_cvt_f32_f16_e32 v6, v9
	v_mov_b32_e32 v1, s64
	v_addc_co_u32_e64 v11, s[8:9], v1, v11, s[8:9]
	v_pk_fma_f32 v[2:3], v[4:5], v[6:7], v[2:3] op_sel_hi:[0,1,1]
	s_waitcnt lgkmcnt(0)
	v_cvt_f32_f16_sdwa v5, v15 dst_sel:DWORD dst_unused:UNUSED_PAD src0_sel:WORD_1
	v_cvt_f32_f16_e32 v4, v15
	v_mov_b32_e32 v1, 0
	v_pk_fma_f32 v[2:3], v[14:15], v[4:5], v[2:3] op_sel_hi:[0,1,1]
	global_store_dwordx2 v[10:11], v[2:3], off offset:512
.LBB29_76:                              ;   in Loop: Header=BB29_12 Depth=1
	s_or_b64 exec, exec, s[10:11]
	s_movk_i32 s8, 0x47
	v_cmp_gt_i32_e64 s[8:9], s8, v1
	s_mov_b64 s[10:11], -1
	s_and_saveexec_b64 s[74:75], s[8:9]
; %bb.77:                               ;   in Loop: Header=BB29_12 Depth=1
	v_cmp_eq_u32_e64 s[8:9], 0, v1
	s_orn2_b64 s[10:11], s[8:9], exec
; %bb.78:                               ;   in Loop: Header=BB29_12 Depth=1
	s_or_b64 exec, exec, s[74:75]
	s_and_b64 exec, exec, s[10:11]
	s_cbranch_execz .LBB29_126
; %bb.79:                               ;   in Loop: Header=BB29_12 Depth=1
	v_accvgpr_read_b32 v1, a29
	v_add_u32_e32 v2, s90, v1
	v_cmp_gt_i32_e64 s[8:9], s28, v2
	s_and_b64 s[8:9], s[8:9], vcc
	v_mov_b32_e32 v1, 0x47
	s_and_saveexec_b64 s[10:11], s[8:9]
	s_cbranch_execz .LBB29_81
; %bb.80:                               ;   in Loop: Header=BB29_12 Depth=1
	v_mul_lo_u32 v1, v2, s29
	v_accvgpr_read_b32 v2, a31
	v_add_lshl_u32 v1, v1, v187, 7
	v_add_u32_e32 v4, 0, v2
	v_accvgpr_read_b32 v10, a30
	ds_read2st64_b32 v[2:3], v4 offset0:2 offset1:35
	ds_read2st64_b32 v[4:5], v4 offset0:68 offset1:101
	ds_read2st64_b32 v[6:7], v10 offset1:1
	ds_read2st64_b32 v[8:9], v10 offset0:33 offset1:66
	ds_read_b32 v16, v10 offset:25344
	v_add_u32_e32 v10, v34, v1
	v_ashrrev_i32_e32 v11, 31, v10
	v_lshlrev_b64 v[10:11], 3, v[10:11]
	v_add_co_u32_e64 v10, s[8:9], s57, v10
	v_mov_b32_e32 v12, s64
	v_addc_co_u32_e64 v11, s[8:9], v12, v11, s[8:9]
	s_waitcnt lgkmcnt(2)
	v_cvt_f32_f16_sdwa v13, v6 dst_sel:DWORD dst_unused:UNUSED_PAD src0_sel:WORD_1
	v_cvt_f32_f16_e32 v12, v6
	s_waitcnt lgkmcnt(1)
	v_cvt_f32_f16_sdwa v15, v8 dst_sel:DWORD dst_unused:UNUSED_PAD src0_sel:WORD_1
	v_cvt_f32_f16_e32 v14, v8
	v_mov_b32_e32 v6, v3
	v_pk_fma_f32 v[12:13], v[2:3], v[12:13], 0 op_sel_hi:[0,1,0]
	v_accvgpr_read_b32 v3, a32
	v_pk_fma_f32 v[12:13], v[6:7], v[14:15], v[12:13] op_sel_hi:[0,1,1]
	v_cvt_f32_f16_sdwa v15, v9 dst_sel:DWORD dst_unused:UNUSED_PAD src0_sel:WORD_1
	v_cvt_f32_f16_e32 v14, v9
	v_pk_fma_f32 v[8:9], v[4:5], v[14:15], v[12:13] op_sel_hi:[0,1,1]
	s_waitcnt lgkmcnt(0)
	v_cvt_f32_f16_sdwa v13, v16 dst_sel:DWORD dst_unused:UNUSED_PAD src0_sel:WORD_1
	v_cvt_f32_f16_e32 v12, v16
	v_mov_b32_e32 v14, v5
	v_pk_fma_f32 v[8:9], v[14:15], v[12:13], v[8:9] op_sel_hi:[0,1,1]
	global_store_dwordx2 v[10:11], v[8:9], off
	ds_read2st64_b32 v[8:9], v3 offset0:33 offset1:66
	ds_read_b32 v15, v3 offset:25344
	v_cvt_f32_f16_sdwa v13, v7 dst_sel:DWORD dst_unused:UNUSED_PAD src0_sel:WORD_1
	v_cvt_f32_f16_e32 v12, v7
	v_ashrrev_i32_e32 v3, 31, v1
	v_add_co_u32_e64 v10, s[8:9], v34, v1
	v_addc_co_u32_e64 v11, s[8:9], 0, v3, s[8:9]
	v_pk_fma_f32 v[2:3], v[2:3], v[12:13], 0 op_sel_hi:[0,1,0]
	s_waitcnt lgkmcnt(1)
	v_cvt_f32_f16_sdwa v13, v8 dst_sel:DWORD dst_unused:UNUSED_PAD src0_sel:WORD_1
	v_cvt_f32_f16_e32 v12, v8
	v_lshlrev_b64 v[10:11], 3, v[10:11]
	v_add_co_u32_e64 v10, s[8:9], s57, v10
	v_pk_fma_f32 v[2:3], v[6:7], v[12:13], v[2:3] op_sel_hi:[0,1,1]
	v_cvt_f32_f16_sdwa v7, v9 dst_sel:DWORD dst_unused:UNUSED_PAD src0_sel:WORD_1
	v_cvt_f32_f16_e32 v6, v9
	v_mov_b32_e32 v1, s64
	v_addc_co_u32_e64 v11, s[8:9], v1, v11, s[8:9]
	v_pk_fma_f32 v[2:3], v[4:5], v[6:7], v[2:3] op_sel_hi:[0,1,1]
	s_waitcnt lgkmcnt(0)
	v_cvt_f32_f16_sdwa v5, v15 dst_sel:DWORD dst_unused:UNUSED_PAD src0_sel:WORD_1
	v_cvt_f32_f16_e32 v4, v15
	v_mov_b32_e32 v1, 0
	v_pk_fma_f32 v[2:3], v[14:15], v[4:5], v[2:3] op_sel_hi:[0,1,1]
	global_store_dwordx2 v[10:11], v[2:3], off offset:512
.LBB29_81:                              ;   in Loop: Header=BB29_12 Depth=1
	s_or_b64 exec, exec, s[10:11]
	s_movk_i32 s8, 0x47
	v_cmp_gt_i32_e64 s[8:9], s8, v1
	s_mov_b64 s[10:11], -1
	s_and_saveexec_b64 s[74:75], s[8:9]
; %bb.82:                               ;   in Loop: Header=BB29_12 Depth=1
	v_cmp_eq_u32_e64 s[8:9], 0, v1
	s_orn2_b64 s[10:11], s[8:9], exec
; %bb.83:                               ;   in Loop: Header=BB29_12 Depth=1
	s_or_b64 exec, exec, s[74:75]
	s_and_b64 exec, exec, s[10:11]
	s_cbranch_execz .LBB29_126
; %bb.84:                               ;   in Loop: Header=BB29_12 Depth=1
	v_accvgpr_read_b32 v1, a33
	v_add_u32_e32 v2, s90, v1
	v_accvgpr_read_b32 v1, a34
	v_or_b32_e32 v1, s7, v1
	v_cmp_gt_i32_e64 s[8:9], s28, v2
	v_cmp_gt_i32_e64 s[10:11], s33, v1
	s_and_b64 s[8:9], s[8:9], s[10:11]
	v_mov_b32_e32 v1, 0x47
	s_and_saveexec_b64 s[10:11], s[8:9]
	s_cbranch_execz .LBB29_86
; %bb.85:                               ;   in Loop: Header=BB29_12 Depth=1
	v_mul_lo_u32 v1, v2, s29
	v_accvgpr_read_b32 v2, a34
	v_add_lshl_u32 v1, v1, v2, 7
	v_accvgpr_read_b32 v2, a36
	v_add_u32_e32 v4, 0, v2
	v_accvgpr_read_b32 v10, a35
	ds_read2st64_b32 v[2:3], v4 offset0:2 offset1:35
	ds_read2st64_b32 v[4:5], v4 offset0:68 offset1:101
	ds_read2st64_b32 v[6:7], v10 offset1:1
	ds_read2st64_b32 v[8:9], v10 offset0:33 offset1:66
	ds_read_b32 v16, v10 offset:25344
	v_add_u32_e32 v10, v34, v1
	v_ashrrev_i32_e32 v11, 31, v10
	v_lshlrev_b64 v[10:11], 3, v[10:11]
	v_add_co_u32_e64 v10, s[8:9], s57, v10
	v_mov_b32_e32 v12, s64
	v_addc_co_u32_e64 v11, s[8:9], v12, v11, s[8:9]
	s_waitcnt lgkmcnt(2)
	v_cvt_f32_f16_sdwa v13, v6 dst_sel:DWORD dst_unused:UNUSED_PAD src0_sel:WORD_1
	v_cvt_f32_f16_e32 v12, v6
	s_waitcnt lgkmcnt(1)
	v_cvt_f32_f16_sdwa v15, v8 dst_sel:DWORD dst_unused:UNUSED_PAD src0_sel:WORD_1
	v_cvt_f32_f16_e32 v14, v8
	v_mov_b32_e32 v6, v3
	v_pk_fma_f32 v[12:13], v[2:3], v[12:13], 0 op_sel_hi:[0,1,0]
	v_accvgpr_read_b32 v3, a37
	v_pk_fma_f32 v[12:13], v[6:7], v[14:15], v[12:13] op_sel_hi:[0,1,1]
	v_cvt_f32_f16_sdwa v15, v9 dst_sel:DWORD dst_unused:UNUSED_PAD src0_sel:WORD_1
	v_cvt_f32_f16_e32 v14, v9
	v_pk_fma_f32 v[8:9], v[4:5], v[14:15], v[12:13] op_sel_hi:[0,1,1]
	s_waitcnt lgkmcnt(0)
	v_cvt_f32_f16_sdwa v13, v16 dst_sel:DWORD dst_unused:UNUSED_PAD src0_sel:WORD_1
	v_cvt_f32_f16_e32 v12, v16
	v_mov_b32_e32 v14, v5
	v_pk_fma_f32 v[8:9], v[14:15], v[12:13], v[8:9] op_sel_hi:[0,1,1]
	global_store_dwordx2 v[10:11], v[8:9], off
	ds_read2st64_b32 v[8:9], v3 offset0:33 offset1:66
	ds_read_b32 v15, v3 offset:25344
	v_cvt_f32_f16_sdwa v13, v7 dst_sel:DWORD dst_unused:UNUSED_PAD src0_sel:WORD_1
	v_cvt_f32_f16_e32 v12, v7
	v_ashrrev_i32_e32 v3, 31, v1
	v_add_co_u32_e64 v10, s[8:9], v34, v1
	v_addc_co_u32_e64 v11, s[8:9], 0, v3, s[8:9]
	v_pk_fma_f32 v[2:3], v[2:3], v[12:13], 0 op_sel_hi:[0,1,0]
	s_waitcnt lgkmcnt(1)
	v_cvt_f32_f16_sdwa v13, v8 dst_sel:DWORD dst_unused:UNUSED_PAD src0_sel:WORD_1
	v_cvt_f32_f16_e32 v12, v8
	v_lshlrev_b64 v[10:11], 3, v[10:11]
	v_add_co_u32_e64 v10, s[8:9], s57, v10
	v_pk_fma_f32 v[2:3], v[6:7], v[12:13], v[2:3] op_sel_hi:[0,1,1]
	v_cvt_f32_f16_sdwa v7, v9 dst_sel:DWORD dst_unused:UNUSED_PAD src0_sel:WORD_1
	v_cvt_f32_f16_e32 v6, v9
	v_mov_b32_e32 v1, s64
	v_addc_co_u32_e64 v11, s[8:9], v1, v11, s[8:9]
	v_pk_fma_f32 v[2:3], v[4:5], v[6:7], v[2:3] op_sel_hi:[0,1,1]
	s_waitcnt lgkmcnt(0)
	v_cvt_f32_f16_sdwa v5, v15 dst_sel:DWORD dst_unused:UNUSED_PAD src0_sel:WORD_1
	v_cvt_f32_f16_e32 v4, v15
	v_mov_b32_e32 v1, 0
	v_pk_fma_f32 v[2:3], v[14:15], v[4:5], v[2:3] op_sel_hi:[0,1,1]
	global_store_dwordx2 v[10:11], v[2:3], off offset:512
.LBB29_86:                              ;   in Loop: Header=BB29_12 Depth=1
	s_or_b64 exec, exec, s[10:11]
	s_movk_i32 s8, 0x47
	v_cmp_gt_i32_e64 s[8:9], s8, v1
	s_mov_b64 s[10:11], -1
	s_and_saveexec_b64 s[74:75], s[8:9]
; %bb.87:                               ;   in Loop: Header=BB29_12 Depth=1
	v_cmp_eq_u32_e64 s[8:9], 0, v1
	s_orn2_b64 s[10:11], s[8:9], exec
; %bb.88:                               ;   in Loop: Header=BB29_12 Depth=1
	s_or_b64 exec, exec, s[74:75]
	s_and_b64 exec, exec, s[10:11]
	s_cbranch_execz .LBB29_126
; %bb.89:                               ;   in Loop: Header=BB29_12 Depth=1
	v_accvgpr_read_b32 v1, a38
	v_add_u32_e32 v2, s90, v1
	v_cmp_gt_i32_e64 s[8:9], s28, v2
	s_and_b64 s[8:9], s[8:9], vcc
	v_mov_b32_e32 v1, 0x47
	s_and_saveexec_b64 s[10:11], s[8:9]
	s_cbranch_execz .LBB29_91
; %bb.90:                               ;   in Loop: Header=BB29_12 Depth=1
	v_mul_lo_u32 v1, v2, s29
	v_accvgpr_read_b32 v2, a40
	v_add_lshl_u32 v1, v1, v187, 7
	v_add_u32_e32 v4, 0, v2
	v_accvgpr_read_b32 v10, a39
	ds_read2st64_b32 v[2:3], v4 offset0:2 offset1:35
	ds_read2st64_b32 v[4:5], v4 offset0:68 offset1:101
	ds_read2st64_b32 v[6:7], v10 offset1:1
	ds_read2st64_b32 v[8:9], v10 offset0:33 offset1:66
	ds_read_b32 v16, v10 offset:25344
	v_add_u32_e32 v10, v34, v1
	v_ashrrev_i32_e32 v11, 31, v10
	v_lshlrev_b64 v[10:11], 3, v[10:11]
	v_add_co_u32_e64 v10, s[8:9], s57, v10
	v_mov_b32_e32 v12, s64
	v_addc_co_u32_e64 v11, s[8:9], v12, v11, s[8:9]
	s_waitcnt lgkmcnt(2)
	v_cvt_f32_f16_sdwa v13, v6 dst_sel:DWORD dst_unused:UNUSED_PAD src0_sel:WORD_1
	v_cvt_f32_f16_e32 v12, v6
	s_waitcnt lgkmcnt(1)
	v_cvt_f32_f16_sdwa v15, v8 dst_sel:DWORD dst_unused:UNUSED_PAD src0_sel:WORD_1
	v_cvt_f32_f16_e32 v14, v8
	v_mov_b32_e32 v6, v3
	v_pk_fma_f32 v[12:13], v[2:3], v[12:13], 0 op_sel_hi:[0,1,0]
	v_accvgpr_read_b32 v3, a41
	v_pk_fma_f32 v[12:13], v[6:7], v[14:15], v[12:13] op_sel_hi:[0,1,1]
	v_cvt_f32_f16_sdwa v15, v9 dst_sel:DWORD dst_unused:UNUSED_PAD src0_sel:WORD_1
	v_cvt_f32_f16_e32 v14, v9
	v_pk_fma_f32 v[8:9], v[4:5], v[14:15], v[12:13] op_sel_hi:[0,1,1]
	s_waitcnt lgkmcnt(0)
	v_cvt_f32_f16_sdwa v13, v16 dst_sel:DWORD dst_unused:UNUSED_PAD src0_sel:WORD_1
	v_cvt_f32_f16_e32 v12, v16
	v_mov_b32_e32 v14, v5
	v_pk_fma_f32 v[8:9], v[14:15], v[12:13], v[8:9] op_sel_hi:[0,1,1]
	global_store_dwordx2 v[10:11], v[8:9], off
	ds_read2st64_b32 v[8:9], v3 offset0:33 offset1:66
	ds_read_b32 v15, v3 offset:25344
	v_cvt_f32_f16_sdwa v13, v7 dst_sel:DWORD dst_unused:UNUSED_PAD src0_sel:WORD_1
	v_cvt_f32_f16_e32 v12, v7
	v_ashrrev_i32_e32 v3, 31, v1
	v_add_co_u32_e64 v10, s[8:9], v34, v1
	v_addc_co_u32_e64 v11, s[8:9], 0, v3, s[8:9]
	v_pk_fma_f32 v[2:3], v[2:3], v[12:13], 0 op_sel_hi:[0,1,0]
	s_waitcnt lgkmcnt(1)
	v_cvt_f32_f16_sdwa v13, v8 dst_sel:DWORD dst_unused:UNUSED_PAD src0_sel:WORD_1
	v_cvt_f32_f16_e32 v12, v8
	v_lshlrev_b64 v[10:11], 3, v[10:11]
	v_add_co_u32_e64 v10, s[8:9], s57, v10
	v_pk_fma_f32 v[2:3], v[6:7], v[12:13], v[2:3] op_sel_hi:[0,1,1]
	v_cvt_f32_f16_sdwa v7, v9 dst_sel:DWORD dst_unused:UNUSED_PAD src0_sel:WORD_1
	v_cvt_f32_f16_e32 v6, v9
	v_mov_b32_e32 v1, s64
	v_addc_co_u32_e64 v11, s[8:9], v1, v11, s[8:9]
	v_pk_fma_f32 v[2:3], v[4:5], v[6:7], v[2:3] op_sel_hi:[0,1,1]
	s_waitcnt lgkmcnt(0)
	v_cvt_f32_f16_sdwa v5, v15 dst_sel:DWORD dst_unused:UNUSED_PAD src0_sel:WORD_1
	v_cvt_f32_f16_e32 v4, v15
	v_mov_b32_e32 v1, 0
	v_pk_fma_f32 v[2:3], v[14:15], v[4:5], v[2:3] op_sel_hi:[0,1,1]
	global_store_dwordx2 v[10:11], v[2:3], off offset:512
.LBB29_91:                              ;   in Loop: Header=BB29_12 Depth=1
	s_or_b64 exec, exec, s[10:11]
	s_movk_i32 s8, 0x47
	v_cmp_gt_i32_e64 s[8:9], s8, v1
	s_mov_b64 s[10:11], -1
	s_and_saveexec_b64 s[74:75], s[8:9]
; %bb.92:                               ;   in Loop: Header=BB29_12 Depth=1
	v_cmp_eq_u32_e64 s[8:9], 0, v1
	s_orn2_b64 s[10:11], s[8:9], exec
; %bb.93:                               ;   in Loop: Header=BB29_12 Depth=1
	s_or_b64 exec, exec, s[74:75]
	s_and_b64 exec, exec, s[10:11]
	s_cbranch_execz .LBB29_126
; %bb.94:                               ;   in Loop: Header=BB29_12 Depth=1
	v_accvgpr_read_b32 v1, a42
	v_add_u32_e32 v2, s90, v1
	v_accvgpr_read_b32 v1, a43
	v_or_b32_e32 v1, s7, v1
	v_cmp_gt_i32_e64 s[8:9], s28, v2
	v_cmp_gt_i32_e64 s[10:11], s33, v1
	s_and_b64 s[8:9], s[8:9], s[10:11]
	v_mov_b32_e32 v1, 0x47
	s_and_saveexec_b64 s[10:11], s[8:9]
	s_cbranch_execz .LBB29_96
; %bb.95:                               ;   in Loop: Header=BB29_12 Depth=1
	v_mul_lo_u32 v1, v2, s29
	v_accvgpr_read_b32 v2, a43
	v_add_lshl_u32 v1, v1, v2, 7
	v_accvgpr_read_b32 v2, a45
	v_add_u32_e32 v4, 0, v2
	v_accvgpr_read_b32 v10, a44
	ds_read2st64_b32 v[2:3], v4 offset0:2 offset1:35
	ds_read2st64_b32 v[4:5], v4 offset0:68 offset1:101
	ds_read2st64_b32 v[6:7], v10 offset1:1
	ds_read2st64_b32 v[8:9], v10 offset0:33 offset1:66
	ds_read_b32 v16, v10 offset:25344
	v_add_u32_e32 v10, v34, v1
	v_ashrrev_i32_e32 v11, 31, v10
	v_lshlrev_b64 v[10:11], 3, v[10:11]
	v_add_co_u32_e64 v10, s[8:9], s57, v10
	v_mov_b32_e32 v12, s64
	v_addc_co_u32_e64 v11, s[8:9], v12, v11, s[8:9]
	s_waitcnt lgkmcnt(2)
	v_cvt_f32_f16_sdwa v13, v6 dst_sel:DWORD dst_unused:UNUSED_PAD src0_sel:WORD_1
	v_cvt_f32_f16_e32 v12, v6
	s_waitcnt lgkmcnt(1)
	v_cvt_f32_f16_sdwa v15, v8 dst_sel:DWORD dst_unused:UNUSED_PAD src0_sel:WORD_1
	v_cvt_f32_f16_e32 v14, v8
	v_mov_b32_e32 v6, v3
	v_pk_fma_f32 v[12:13], v[2:3], v[12:13], 0 op_sel_hi:[0,1,0]
	v_accvgpr_read_b32 v3, a46
	v_pk_fma_f32 v[12:13], v[6:7], v[14:15], v[12:13] op_sel_hi:[0,1,1]
	v_cvt_f32_f16_sdwa v15, v9 dst_sel:DWORD dst_unused:UNUSED_PAD src0_sel:WORD_1
	v_cvt_f32_f16_e32 v14, v9
	v_pk_fma_f32 v[8:9], v[4:5], v[14:15], v[12:13] op_sel_hi:[0,1,1]
	s_waitcnt lgkmcnt(0)
	v_cvt_f32_f16_sdwa v13, v16 dst_sel:DWORD dst_unused:UNUSED_PAD src0_sel:WORD_1
	v_cvt_f32_f16_e32 v12, v16
	v_mov_b32_e32 v14, v5
	v_pk_fma_f32 v[8:9], v[14:15], v[12:13], v[8:9] op_sel_hi:[0,1,1]
	global_store_dwordx2 v[10:11], v[8:9], off
	ds_read2st64_b32 v[8:9], v3 offset0:33 offset1:66
	ds_read_b32 v15, v3 offset:25344
	v_cvt_f32_f16_sdwa v13, v7 dst_sel:DWORD dst_unused:UNUSED_PAD src0_sel:WORD_1
	v_cvt_f32_f16_e32 v12, v7
	v_ashrrev_i32_e32 v3, 31, v1
	v_add_co_u32_e64 v10, s[8:9], v34, v1
	v_addc_co_u32_e64 v11, s[8:9], 0, v3, s[8:9]
	v_pk_fma_f32 v[2:3], v[2:3], v[12:13], 0 op_sel_hi:[0,1,0]
	s_waitcnt lgkmcnt(1)
	v_cvt_f32_f16_sdwa v13, v8 dst_sel:DWORD dst_unused:UNUSED_PAD src0_sel:WORD_1
	v_cvt_f32_f16_e32 v12, v8
	v_lshlrev_b64 v[10:11], 3, v[10:11]
	v_add_co_u32_e64 v10, s[8:9], s57, v10
	v_pk_fma_f32 v[2:3], v[6:7], v[12:13], v[2:3] op_sel_hi:[0,1,1]
	v_cvt_f32_f16_sdwa v7, v9 dst_sel:DWORD dst_unused:UNUSED_PAD src0_sel:WORD_1
	v_cvt_f32_f16_e32 v6, v9
	v_mov_b32_e32 v1, s64
	v_addc_co_u32_e64 v11, s[8:9], v1, v11, s[8:9]
	v_pk_fma_f32 v[2:3], v[4:5], v[6:7], v[2:3] op_sel_hi:[0,1,1]
	s_waitcnt lgkmcnt(0)
	v_cvt_f32_f16_sdwa v5, v15 dst_sel:DWORD dst_unused:UNUSED_PAD src0_sel:WORD_1
	v_cvt_f32_f16_e32 v4, v15
	v_mov_b32_e32 v1, 0
	v_pk_fma_f32 v[2:3], v[14:15], v[4:5], v[2:3] op_sel_hi:[0,1,1]
	global_store_dwordx2 v[10:11], v[2:3], off offset:512
.LBB29_96:                              ;   in Loop: Header=BB29_12 Depth=1
	s_or_b64 exec, exec, s[10:11]
	s_movk_i32 s8, 0x47
	v_cmp_gt_i32_e64 s[8:9], s8, v1
	s_mov_b64 s[10:11], -1
	s_and_saveexec_b64 s[74:75], s[8:9]
; %bb.97:                               ;   in Loop: Header=BB29_12 Depth=1
	v_cmp_eq_u32_e64 s[8:9], 0, v1
	s_orn2_b64 s[10:11], s[8:9], exec
; %bb.98:                               ;   in Loop: Header=BB29_12 Depth=1
	s_or_b64 exec, exec, s[74:75]
	s_and_b64 exec, exec, s[10:11]
	s_cbranch_execz .LBB29_126
; %bb.99:                               ;   in Loop: Header=BB29_12 Depth=1
	v_accvgpr_read_b32 v1, a47
	v_add_u32_e32 v2, s90, v1
	v_cmp_gt_i32_e64 s[8:9], s28, v2
	s_and_b64 s[8:9], s[8:9], vcc
	v_mov_b32_e32 v1, 0x47
	s_and_saveexec_b64 s[10:11], s[8:9]
	s_cbranch_execz .LBB29_101
; %bb.100:                              ;   in Loop: Header=BB29_12 Depth=1
	v_mul_lo_u32 v1, v2, s29
	v_accvgpr_read_b32 v2, a49
	v_add_lshl_u32 v1, v1, v187, 7
	v_add_u32_e32 v4, 0, v2
	v_accvgpr_read_b32 v10, a48
	ds_read2st64_b32 v[2:3], v4 offset0:2 offset1:35
	ds_read2st64_b32 v[4:5], v4 offset0:68 offset1:101
	ds_read2st64_b32 v[6:7], v10 offset1:1
	ds_read2st64_b32 v[8:9], v10 offset0:33 offset1:66
	ds_read_b32 v16, v10 offset:25344
	v_add_u32_e32 v10, v34, v1
	v_ashrrev_i32_e32 v11, 31, v10
	v_lshlrev_b64 v[10:11], 3, v[10:11]
	v_add_co_u32_e64 v10, s[8:9], s57, v10
	v_mov_b32_e32 v12, s64
	v_addc_co_u32_e64 v11, s[8:9], v12, v11, s[8:9]
	s_waitcnt lgkmcnt(2)
	v_cvt_f32_f16_sdwa v13, v6 dst_sel:DWORD dst_unused:UNUSED_PAD src0_sel:WORD_1
	v_cvt_f32_f16_e32 v12, v6
	s_waitcnt lgkmcnt(1)
	v_cvt_f32_f16_sdwa v15, v8 dst_sel:DWORD dst_unused:UNUSED_PAD src0_sel:WORD_1
	v_cvt_f32_f16_e32 v14, v8
	v_mov_b32_e32 v6, v3
	v_pk_fma_f32 v[12:13], v[2:3], v[12:13], 0 op_sel_hi:[0,1,0]
	v_accvgpr_read_b32 v3, a50
	v_pk_fma_f32 v[12:13], v[6:7], v[14:15], v[12:13] op_sel_hi:[0,1,1]
	v_cvt_f32_f16_sdwa v15, v9 dst_sel:DWORD dst_unused:UNUSED_PAD src0_sel:WORD_1
	v_cvt_f32_f16_e32 v14, v9
	v_pk_fma_f32 v[8:9], v[4:5], v[14:15], v[12:13] op_sel_hi:[0,1,1]
	s_waitcnt lgkmcnt(0)
	v_cvt_f32_f16_sdwa v13, v16 dst_sel:DWORD dst_unused:UNUSED_PAD src0_sel:WORD_1
	v_cvt_f32_f16_e32 v12, v16
	v_mov_b32_e32 v14, v5
	v_pk_fma_f32 v[8:9], v[14:15], v[12:13], v[8:9] op_sel_hi:[0,1,1]
	global_store_dwordx2 v[10:11], v[8:9], off
	ds_read2st64_b32 v[8:9], v3 offset0:33 offset1:66
	ds_read_b32 v15, v3 offset:25344
	v_cvt_f32_f16_sdwa v13, v7 dst_sel:DWORD dst_unused:UNUSED_PAD src0_sel:WORD_1
	v_cvt_f32_f16_e32 v12, v7
	v_ashrrev_i32_e32 v3, 31, v1
	v_add_co_u32_e64 v10, s[8:9], v34, v1
	v_addc_co_u32_e64 v11, s[8:9], 0, v3, s[8:9]
	v_pk_fma_f32 v[2:3], v[2:3], v[12:13], 0 op_sel_hi:[0,1,0]
	s_waitcnt lgkmcnt(1)
	v_cvt_f32_f16_sdwa v13, v8 dst_sel:DWORD dst_unused:UNUSED_PAD src0_sel:WORD_1
	v_cvt_f32_f16_e32 v12, v8
	v_lshlrev_b64 v[10:11], 3, v[10:11]
	v_add_co_u32_e64 v10, s[8:9], s57, v10
	v_pk_fma_f32 v[2:3], v[6:7], v[12:13], v[2:3] op_sel_hi:[0,1,1]
	v_cvt_f32_f16_sdwa v7, v9 dst_sel:DWORD dst_unused:UNUSED_PAD src0_sel:WORD_1
	v_cvt_f32_f16_e32 v6, v9
	v_mov_b32_e32 v1, s64
	v_addc_co_u32_e64 v11, s[8:9], v1, v11, s[8:9]
	v_pk_fma_f32 v[2:3], v[4:5], v[6:7], v[2:3] op_sel_hi:[0,1,1]
	s_waitcnt lgkmcnt(0)
	v_cvt_f32_f16_sdwa v5, v15 dst_sel:DWORD dst_unused:UNUSED_PAD src0_sel:WORD_1
	v_cvt_f32_f16_e32 v4, v15
	v_mov_b32_e32 v1, 0
	v_pk_fma_f32 v[2:3], v[14:15], v[4:5], v[2:3] op_sel_hi:[0,1,1]
	global_store_dwordx2 v[10:11], v[2:3], off offset:512
.LBB29_101:                             ;   in Loop: Header=BB29_12 Depth=1
	s_or_b64 exec, exec, s[10:11]
	s_movk_i32 s8, 0x47
	v_cmp_gt_i32_e64 s[8:9], s8, v1
	s_mov_b64 s[10:11], -1
	s_and_saveexec_b64 s[74:75], s[8:9]
; %bb.102:                              ;   in Loop: Header=BB29_12 Depth=1
	v_cmp_eq_u32_e64 s[8:9], 0, v1
	s_orn2_b64 s[10:11], s[8:9], exec
; %bb.103:                              ;   in Loop: Header=BB29_12 Depth=1
	s_or_b64 exec, exec, s[74:75]
	s_and_b64 exec, exec, s[10:11]
	s_cbranch_execz .LBB29_126
; %bb.104:                              ;   in Loop: Header=BB29_12 Depth=1
	v_accvgpr_read_b32 v1, a51
	v_add_u32_e32 v2, s90, v1
	v_accvgpr_read_b32 v1, a52
	v_or_b32_e32 v1, s7, v1
	v_cmp_gt_i32_e64 s[8:9], s28, v2
	v_cmp_gt_i32_e64 s[10:11], s33, v1
	s_and_b64 s[8:9], s[8:9], s[10:11]
	v_mov_b32_e32 v1, 0x47
	s_and_saveexec_b64 s[10:11], s[8:9]
	s_cbranch_execz .LBB29_106
; %bb.105:                              ;   in Loop: Header=BB29_12 Depth=1
	v_mul_lo_u32 v1, v2, s29
	v_accvgpr_read_b32 v2, a52
	v_add_lshl_u32 v1, v1, v2, 7
	v_accvgpr_read_b32 v2, a54
	v_add_u32_e32 v4, 0, v2
	v_accvgpr_read_b32 v10, a53
	ds_read2st64_b32 v[2:3], v4 offset0:2 offset1:35
	ds_read2st64_b32 v[4:5], v4 offset0:68 offset1:101
	ds_read2st64_b32 v[6:7], v10 offset1:1
	ds_read2st64_b32 v[8:9], v10 offset0:33 offset1:66
	ds_read_b32 v16, v10 offset:25344
	v_add_u32_e32 v10, v34, v1
	v_ashrrev_i32_e32 v11, 31, v10
	v_lshlrev_b64 v[10:11], 3, v[10:11]
	v_add_co_u32_e64 v10, s[8:9], s57, v10
	v_mov_b32_e32 v12, s64
	v_addc_co_u32_e64 v11, s[8:9], v12, v11, s[8:9]
	s_waitcnt lgkmcnt(2)
	v_cvt_f32_f16_sdwa v13, v6 dst_sel:DWORD dst_unused:UNUSED_PAD src0_sel:WORD_1
	v_cvt_f32_f16_e32 v12, v6
	s_waitcnt lgkmcnt(1)
	v_cvt_f32_f16_sdwa v15, v8 dst_sel:DWORD dst_unused:UNUSED_PAD src0_sel:WORD_1
	v_cvt_f32_f16_e32 v14, v8
	v_mov_b32_e32 v6, v3
	v_pk_fma_f32 v[12:13], v[2:3], v[12:13], 0 op_sel_hi:[0,1,0]
	v_accvgpr_read_b32 v3, a55
	v_pk_fma_f32 v[12:13], v[6:7], v[14:15], v[12:13] op_sel_hi:[0,1,1]
	v_cvt_f32_f16_sdwa v15, v9 dst_sel:DWORD dst_unused:UNUSED_PAD src0_sel:WORD_1
	v_cvt_f32_f16_e32 v14, v9
	v_pk_fma_f32 v[8:9], v[4:5], v[14:15], v[12:13] op_sel_hi:[0,1,1]
	s_waitcnt lgkmcnt(0)
	v_cvt_f32_f16_sdwa v13, v16 dst_sel:DWORD dst_unused:UNUSED_PAD src0_sel:WORD_1
	v_cvt_f32_f16_e32 v12, v16
	v_mov_b32_e32 v14, v5
	v_pk_fma_f32 v[8:9], v[14:15], v[12:13], v[8:9] op_sel_hi:[0,1,1]
	global_store_dwordx2 v[10:11], v[8:9], off
	ds_read2st64_b32 v[8:9], v3 offset0:33 offset1:66
	ds_read_b32 v15, v3 offset:25344
	v_cvt_f32_f16_sdwa v13, v7 dst_sel:DWORD dst_unused:UNUSED_PAD src0_sel:WORD_1
	v_cvt_f32_f16_e32 v12, v7
	v_ashrrev_i32_e32 v3, 31, v1
	v_add_co_u32_e64 v10, s[8:9], v34, v1
	v_addc_co_u32_e64 v11, s[8:9], 0, v3, s[8:9]
	v_pk_fma_f32 v[2:3], v[2:3], v[12:13], 0 op_sel_hi:[0,1,0]
	s_waitcnt lgkmcnt(1)
	v_cvt_f32_f16_sdwa v13, v8 dst_sel:DWORD dst_unused:UNUSED_PAD src0_sel:WORD_1
	v_cvt_f32_f16_e32 v12, v8
	v_lshlrev_b64 v[10:11], 3, v[10:11]
	v_add_co_u32_e64 v10, s[8:9], s57, v10
	v_pk_fma_f32 v[2:3], v[6:7], v[12:13], v[2:3] op_sel_hi:[0,1,1]
	v_cvt_f32_f16_sdwa v7, v9 dst_sel:DWORD dst_unused:UNUSED_PAD src0_sel:WORD_1
	v_cvt_f32_f16_e32 v6, v9
	v_mov_b32_e32 v1, s64
	v_addc_co_u32_e64 v11, s[8:9], v1, v11, s[8:9]
	v_pk_fma_f32 v[2:3], v[4:5], v[6:7], v[2:3] op_sel_hi:[0,1,1]
	s_waitcnt lgkmcnt(0)
	v_cvt_f32_f16_sdwa v5, v15 dst_sel:DWORD dst_unused:UNUSED_PAD src0_sel:WORD_1
	v_cvt_f32_f16_e32 v4, v15
	v_mov_b32_e32 v1, 0
	v_pk_fma_f32 v[2:3], v[14:15], v[4:5], v[2:3] op_sel_hi:[0,1,1]
	global_store_dwordx2 v[10:11], v[2:3], off offset:512
.LBB29_106:                             ;   in Loop: Header=BB29_12 Depth=1
	s_or_b64 exec, exec, s[10:11]
	s_movk_i32 s8, 0x47
	v_cmp_gt_i32_e64 s[8:9], s8, v1
	s_mov_b64 s[10:11], -1
	s_and_saveexec_b64 s[74:75], s[8:9]
; %bb.107:                              ;   in Loop: Header=BB29_12 Depth=1
	v_cmp_eq_u32_e64 s[8:9], 0, v1
	s_orn2_b64 s[10:11], s[8:9], exec
; %bb.108:                              ;   in Loop: Header=BB29_12 Depth=1
	s_or_b64 exec, exec, s[74:75]
	s_and_b64 exec, exec, s[10:11]
	s_cbranch_execz .LBB29_126
; %bb.109:                              ;   in Loop: Header=BB29_12 Depth=1
	v_accvgpr_read_b32 v1, a56
	v_add_u32_e32 v2, s90, v1
	v_cmp_gt_i32_e64 s[8:9], s28, v2
	s_and_b64 s[8:9], s[8:9], vcc
	v_mov_b32_e32 v1, 0x47
	s_and_saveexec_b64 s[10:11], s[8:9]
	s_cbranch_execz .LBB29_111
; %bb.110:                              ;   in Loop: Header=BB29_12 Depth=1
	v_mul_lo_u32 v1, v2, s29
	v_accvgpr_read_b32 v2, a58
	v_add_lshl_u32 v1, v1, v187, 7
	v_add_u32_e32 v4, 0, v2
	v_accvgpr_read_b32 v10, a57
	ds_read2st64_b32 v[2:3], v4 offset0:2 offset1:35
	ds_read2st64_b32 v[4:5], v4 offset0:68 offset1:101
	ds_read2st64_b32 v[6:7], v10 offset1:1
	ds_read2st64_b32 v[8:9], v10 offset0:33 offset1:66
	ds_read_b32 v16, v10 offset:25344
	v_add_u32_e32 v10, v34, v1
	v_ashrrev_i32_e32 v11, 31, v10
	v_lshlrev_b64 v[10:11], 3, v[10:11]
	v_add_co_u32_e64 v10, s[8:9], s57, v10
	v_mov_b32_e32 v12, s64
	v_addc_co_u32_e64 v11, s[8:9], v12, v11, s[8:9]
	s_waitcnt lgkmcnt(2)
	v_cvt_f32_f16_sdwa v13, v6 dst_sel:DWORD dst_unused:UNUSED_PAD src0_sel:WORD_1
	v_cvt_f32_f16_e32 v12, v6
	s_waitcnt lgkmcnt(1)
	v_cvt_f32_f16_sdwa v15, v8 dst_sel:DWORD dst_unused:UNUSED_PAD src0_sel:WORD_1
	v_cvt_f32_f16_e32 v14, v8
	v_mov_b32_e32 v6, v3
	v_pk_fma_f32 v[12:13], v[2:3], v[12:13], 0 op_sel_hi:[0,1,0]
	v_accvgpr_read_b32 v3, a59
	v_pk_fma_f32 v[12:13], v[6:7], v[14:15], v[12:13] op_sel_hi:[0,1,1]
	v_cvt_f32_f16_sdwa v15, v9 dst_sel:DWORD dst_unused:UNUSED_PAD src0_sel:WORD_1
	v_cvt_f32_f16_e32 v14, v9
	v_pk_fma_f32 v[8:9], v[4:5], v[14:15], v[12:13] op_sel_hi:[0,1,1]
	s_waitcnt lgkmcnt(0)
	v_cvt_f32_f16_sdwa v13, v16 dst_sel:DWORD dst_unused:UNUSED_PAD src0_sel:WORD_1
	v_cvt_f32_f16_e32 v12, v16
	v_mov_b32_e32 v14, v5
	v_pk_fma_f32 v[8:9], v[14:15], v[12:13], v[8:9] op_sel_hi:[0,1,1]
	global_store_dwordx2 v[10:11], v[8:9], off
	ds_read2st64_b32 v[8:9], v3 offset0:33 offset1:66
	ds_read_b32 v15, v3 offset:25344
	v_cvt_f32_f16_sdwa v13, v7 dst_sel:DWORD dst_unused:UNUSED_PAD src0_sel:WORD_1
	v_cvt_f32_f16_e32 v12, v7
	v_ashrrev_i32_e32 v3, 31, v1
	v_add_co_u32_e64 v10, s[8:9], v34, v1
	v_addc_co_u32_e64 v11, s[8:9], 0, v3, s[8:9]
	v_pk_fma_f32 v[2:3], v[2:3], v[12:13], 0 op_sel_hi:[0,1,0]
	s_waitcnt lgkmcnt(1)
	v_cvt_f32_f16_sdwa v13, v8 dst_sel:DWORD dst_unused:UNUSED_PAD src0_sel:WORD_1
	v_cvt_f32_f16_e32 v12, v8
	v_lshlrev_b64 v[10:11], 3, v[10:11]
	v_add_co_u32_e64 v10, s[8:9], s57, v10
	v_pk_fma_f32 v[2:3], v[6:7], v[12:13], v[2:3] op_sel_hi:[0,1,1]
	v_cvt_f32_f16_sdwa v7, v9 dst_sel:DWORD dst_unused:UNUSED_PAD src0_sel:WORD_1
	v_cvt_f32_f16_e32 v6, v9
	v_mov_b32_e32 v1, s64
	v_addc_co_u32_e64 v11, s[8:9], v1, v11, s[8:9]
	v_pk_fma_f32 v[2:3], v[4:5], v[6:7], v[2:3] op_sel_hi:[0,1,1]
	s_waitcnt lgkmcnt(0)
	v_cvt_f32_f16_sdwa v5, v15 dst_sel:DWORD dst_unused:UNUSED_PAD src0_sel:WORD_1
	v_cvt_f32_f16_e32 v4, v15
	v_mov_b32_e32 v1, 0
	v_pk_fma_f32 v[2:3], v[14:15], v[4:5], v[2:3] op_sel_hi:[0,1,1]
	global_store_dwordx2 v[10:11], v[2:3], off offset:512
.LBB29_111:                             ;   in Loop: Header=BB29_12 Depth=1
	s_or_b64 exec, exec, s[10:11]
	s_movk_i32 s8, 0x47
	v_cmp_gt_i32_e64 s[8:9], s8, v1
	s_mov_b64 s[10:11], -1
	s_and_saveexec_b64 s[74:75], s[8:9]
; %bb.112:                              ;   in Loop: Header=BB29_12 Depth=1
	v_cmp_eq_u32_e64 s[8:9], 0, v1
	s_orn2_b64 s[10:11], s[8:9], exec
; %bb.113:                              ;   in Loop: Header=BB29_12 Depth=1
	s_or_b64 exec, exec, s[74:75]
	s_and_b64 exec, exec, s[10:11]
	s_cbranch_execz .LBB29_126
; %bb.114:                              ;   in Loop: Header=BB29_12 Depth=1
	v_accvgpr_read_b32 v1, a60
	v_add_u32_e32 v2, s90, v1
	v_accvgpr_read_b32 v1, a61
	v_or_b32_e32 v1, s7, v1
	v_cmp_gt_i32_e64 s[8:9], s28, v2
	v_cmp_gt_i32_e64 s[10:11], s33, v1
	s_and_b64 s[8:9], s[8:9], s[10:11]
	v_mov_b32_e32 v1, 0x47
	s_and_saveexec_b64 s[10:11], s[8:9]
	s_cbranch_execz .LBB29_116
; %bb.115:                              ;   in Loop: Header=BB29_12 Depth=1
	v_mul_lo_u32 v1, v2, s29
	v_accvgpr_read_b32 v2, a61
	v_add_lshl_u32 v1, v1, v2, 7
	v_accvgpr_read_b32 v2, a63
	v_add_u32_e32 v4, 0, v2
	v_accvgpr_read_b32 v10, a62
	ds_read2st64_b32 v[2:3], v4 offset0:2 offset1:35
	ds_read2st64_b32 v[4:5], v4 offset0:68 offset1:101
	ds_read2st64_b32 v[6:7], v10 offset1:1
	ds_read2st64_b32 v[8:9], v10 offset0:33 offset1:66
	ds_read_b32 v16, v10 offset:25344
	v_add_u32_e32 v10, v34, v1
	v_ashrrev_i32_e32 v11, 31, v10
	v_lshlrev_b64 v[10:11], 3, v[10:11]
	v_add_co_u32_e64 v10, s[8:9], s57, v10
	v_mov_b32_e32 v12, s64
	v_addc_co_u32_e64 v11, s[8:9], v12, v11, s[8:9]
	s_waitcnt lgkmcnt(2)
	v_cvt_f32_f16_sdwa v13, v6 dst_sel:DWORD dst_unused:UNUSED_PAD src0_sel:WORD_1
	v_cvt_f32_f16_e32 v12, v6
	s_waitcnt lgkmcnt(1)
	v_cvt_f32_f16_sdwa v15, v8 dst_sel:DWORD dst_unused:UNUSED_PAD src0_sel:WORD_1
	v_cvt_f32_f16_e32 v14, v8
	v_mov_b32_e32 v6, v3
	v_pk_fma_f32 v[12:13], v[2:3], v[12:13], 0 op_sel_hi:[0,1,0]
	v_accvgpr_read_b32 v3, a64
	v_pk_fma_f32 v[12:13], v[6:7], v[14:15], v[12:13] op_sel_hi:[0,1,1]
	v_cvt_f32_f16_sdwa v15, v9 dst_sel:DWORD dst_unused:UNUSED_PAD src0_sel:WORD_1
	v_cvt_f32_f16_e32 v14, v9
	v_pk_fma_f32 v[8:9], v[4:5], v[14:15], v[12:13] op_sel_hi:[0,1,1]
	s_waitcnt lgkmcnt(0)
	v_cvt_f32_f16_sdwa v13, v16 dst_sel:DWORD dst_unused:UNUSED_PAD src0_sel:WORD_1
	v_cvt_f32_f16_e32 v12, v16
	v_mov_b32_e32 v14, v5
	v_pk_fma_f32 v[8:9], v[14:15], v[12:13], v[8:9] op_sel_hi:[0,1,1]
	global_store_dwordx2 v[10:11], v[8:9], off
	ds_read2st64_b32 v[8:9], v3 offset0:33 offset1:66
	ds_read_b32 v15, v3 offset:25344
	v_cvt_f32_f16_sdwa v13, v7 dst_sel:DWORD dst_unused:UNUSED_PAD src0_sel:WORD_1
	v_cvt_f32_f16_e32 v12, v7
	v_ashrrev_i32_e32 v3, 31, v1
	v_add_co_u32_e64 v10, s[8:9], v34, v1
	v_addc_co_u32_e64 v11, s[8:9], 0, v3, s[8:9]
	v_pk_fma_f32 v[2:3], v[2:3], v[12:13], 0 op_sel_hi:[0,1,0]
	s_waitcnt lgkmcnt(1)
	v_cvt_f32_f16_sdwa v13, v8 dst_sel:DWORD dst_unused:UNUSED_PAD src0_sel:WORD_1
	v_cvt_f32_f16_e32 v12, v8
	v_lshlrev_b64 v[10:11], 3, v[10:11]
	v_add_co_u32_e64 v10, s[8:9], s57, v10
	v_pk_fma_f32 v[2:3], v[6:7], v[12:13], v[2:3] op_sel_hi:[0,1,1]
	v_cvt_f32_f16_sdwa v7, v9 dst_sel:DWORD dst_unused:UNUSED_PAD src0_sel:WORD_1
	v_cvt_f32_f16_e32 v6, v9
	v_mov_b32_e32 v1, s64
	v_addc_co_u32_e64 v11, s[8:9], v1, v11, s[8:9]
	v_pk_fma_f32 v[2:3], v[4:5], v[6:7], v[2:3] op_sel_hi:[0,1,1]
	s_waitcnt lgkmcnt(0)
	v_cvt_f32_f16_sdwa v5, v15 dst_sel:DWORD dst_unused:UNUSED_PAD src0_sel:WORD_1
	v_cvt_f32_f16_e32 v4, v15
	v_mov_b32_e32 v1, 0
	v_pk_fma_f32 v[2:3], v[14:15], v[4:5], v[2:3] op_sel_hi:[0,1,1]
	global_store_dwordx2 v[10:11], v[2:3], off offset:512
.LBB29_116:                             ;   in Loop: Header=BB29_12 Depth=1
	s_or_b64 exec, exec, s[10:11]
	s_movk_i32 s8, 0x47
	v_cmp_gt_i32_e64 s[8:9], s8, v1
	s_mov_b64 s[10:11], -1
	s_and_saveexec_b64 s[74:75], s[8:9]
; %bb.117:                              ;   in Loop: Header=BB29_12 Depth=1
	v_cmp_eq_u32_e64 s[8:9], 0, v1
	s_orn2_b64 s[10:11], s[8:9], exec
; %bb.118:                              ;   in Loop: Header=BB29_12 Depth=1
	s_or_b64 exec, exec, s[74:75]
	s_and_b64 exec, exec, s[10:11]
	s_cbranch_execz .LBB29_126
; %bb.119:                              ;   in Loop: Header=BB29_12 Depth=1
	v_accvgpr_read_b32 v1, a65
	v_add_u32_e32 v2, s90, v1
	v_cmp_gt_i32_e64 s[8:9], s28, v2
	s_and_b64 s[10:11], s[8:9], vcc
	v_mov_b32_e32 v1, 0x47
	s_and_saveexec_b64 s[8:9], s[10:11]
	s_cbranch_execz .LBB29_121
; %bb.120:                              ;   in Loop: Header=BB29_12 Depth=1
	v_mul_lo_u32 v1, v2, s29
	v_accvgpr_read_b32 v2, a67
	v_add_lshl_u32 v1, v1, v187, 7
	v_add_u32_e32 v4, 0, v2
	v_accvgpr_read_b32 v10, a66
	ds_read2st64_b32 v[2:3], v4 offset0:2 offset1:35
	ds_read2st64_b32 v[4:5], v4 offset0:68 offset1:101
	ds_read2st64_b32 v[6:7], v10 offset1:1
	ds_read2st64_b32 v[8:9], v10 offset0:33 offset1:66
	ds_read_b32 v16, v10 offset:25344
	v_add_u32_e32 v10, v34, v1
	v_ashrrev_i32_e32 v11, 31, v10
	v_lshlrev_b64 v[10:11], 3, v[10:11]
	v_add_co_u32_e32 v10, vcc, s57, v10
	v_mov_b32_e32 v12, s64
	v_addc_co_u32_e32 v11, vcc, v12, v11, vcc
	s_waitcnt lgkmcnt(2)
	v_cvt_f32_f16_sdwa v13, v6 dst_sel:DWORD dst_unused:UNUSED_PAD src0_sel:WORD_1
	v_cvt_f32_f16_e32 v12, v6
	s_waitcnt lgkmcnt(1)
	v_cvt_f32_f16_sdwa v15, v8 dst_sel:DWORD dst_unused:UNUSED_PAD src0_sel:WORD_1
	v_cvt_f32_f16_e32 v14, v8
	v_mov_b32_e32 v6, v3
	v_pk_fma_f32 v[12:13], v[2:3], v[12:13], 0 op_sel_hi:[0,1,0]
	v_accvgpr_read_b32 v3, a68
	v_pk_fma_f32 v[12:13], v[6:7], v[14:15], v[12:13] op_sel_hi:[0,1,1]
	v_cvt_f32_f16_sdwa v15, v9 dst_sel:DWORD dst_unused:UNUSED_PAD src0_sel:WORD_1
	v_cvt_f32_f16_e32 v14, v9
	v_pk_fma_f32 v[8:9], v[4:5], v[14:15], v[12:13] op_sel_hi:[0,1,1]
	s_waitcnt lgkmcnt(0)
	v_cvt_f32_f16_sdwa v13, v16 dst_sel:DWORD dst_unused:UNUSED_PAD src0_sel:WORD_1
	v_cvt_f32_f16_e32 v12, v16
	v_mov_b32_e32 v14, v5
	v_pk_fma_f32 v[8:9], v[14:15], v[12:13], v[8:9] op_sel_hi:[0,1,1]
	global_store_dwordx2 v[10:11], v[8:9], off
	ds_read2st64_b32 v[8:9], v3 offset0:33 offset1:66
	ds_read_b32 v15, v3 offset:25344
	v_cvt_f32_f16_sdwa v13, v7 dst_sel:DWORD dst_unused:UNUSED_PAD src0_sel:WORD_1
	v_cvt_f32_f16_e32 v12, v7
	v_ashrrev_i32_e32 v3, 31, v1
	v_add_co_u32_e32 v10, vcc, v34, v1
	v_addc_co_u32_e32 v11, vcc, 0, v3, vcc
	v_pk_fma_f32 v[2:3], v[2:3], v[12:13], 0 op_sel_hi:[0,1,0]
	s_waitcnt lgkmcnt(1)
	v_cvt_f32_f16_sdwa v13, v8 dst_sel:DWORD dst_unused:UNUSED_PAD src0_sel:WORD_1
	v_cvt_f32_f16_e32 v12, v8
	v_lshlrev_b64 v[10:11], 3, v[10:11]
	v_add_co_u32_e32 v10, vcc, s57, v10
	v_pk_fma_f32 v[2:3], v[6:7], v[12:13], v[2:3] op_sel_hi:[0,1,1]
	v_cvt_f32_f16_sdwa v7, v9 dst_sel:DWORD dst_unused:UNUSED_PAD src0_sel:WORD_1
	v_cvt_f32_f16_e32 v6, v9
	v_mov_b32_e32 v1, s64
	v_addc_co_u32_e32 v11, vcc, v1, v11, vcc
	v_pk_fma_f32 v[2:3], v[4:5], v[6:7], v[2:3] op_sel_hi:[0,1,1]
	s_waitcnt lgkmcnt(0)
	v_cvt_f32_f16_sdwa v5, v15 dst_sel:DWORD dst_unused:UNUSED_PAD src0_sel:WORD_1
	v_cvt_f32_f16_e32 v4, v15
	v_mov_b32_e32 v1, 0
	v_pk_fma_f32 v[2:3], v[14:15], v[4:5], v[2:3] op_sel_hi:[0,1,1]
	global_store_dwordx2 v[10:11], v[2:3], off offset:512
.LBB29_121:                             ;   in Loop: Header=BB29_12 Depth=1
	s_or_b64 exec, exec, s[8:9]
	s_movk_i32 s8, 0x47
	v_cmp_gt_i32_e32 vcc, s8, v1
	s_mov_b64 s[8:9], -1
	s_and_saveexec_b64 s[10:11], vcc
; %bb.122:                              ;   in Loop: Header=BB29_12 Depth=1
	v_cmp_eq_u32_e32 vcc, 0, v1
	s_orn2_b64 s[8:9], vcc, exec
; %bb.123:                              ;   in Loop: Header=BB29_12 Depth=1
	s_or_b64 exec, exec, s[10:11]
	s_and_b64 exec, exec, s[8:9]
	s_cbranch_execz .LBB29_126
; %bb.124:                              ;   in Loop: Header=BB29_12 Depth=1
	v_accvgpr_read_b32 v1, a69
	v_accvgpr_read_b32 v2, a70
	v_add_u32_e32 v1, s90, v1
	v_or_b32_e32 v2, s7, v2
	v_cmp_gt_i32_e32 vcc, s28, v1
	v_cmp_gt_i32_e64 s[8:9], s33, v2
	s_and_b64 s[8:9], vcc, s[8:9]
	s_and_b64 exec, exec, s[8:9]
	s_cbranch_execz .LBB29_126
; %bb.125:                              ;   in Loop: Header=BB29_12 Depth=1
	v_mul_lo_u32 v1, v1, s29
	v_accvgpr_read_b32 v2, a70
	v_add_lshl_u32 v1, v1, v2, 7
	v_accvgpr_read_b32 v2, a71
	v_add_u32_e32 v4, 0, v2
	v_accvgpr_read_b32 v10, a72
	ds_read2st64_b32 v[2:3], v4 offset0:2 offset1:35
	ds_read2st64_b32 v[4:5], v4 offset0:68 offset1:101
	ds_read2st64_b32 v[6:7], v10 offset1:1
	ds_read2st64_b32 v[8:9], v10 offset0:33 offset1:66
	ds_read_b32 v16, v10 offset:25344
	v_add_u32_e32 v10, v34, v1
	v_ashrrev_i32_e32 v11, 31, v10
	v_lshlrev_b64 v[10:11], 3, v[10:11]
	v_add_co_u32_e32 v10, vcc, s57, v10
	v_mov_b32_e32 v12, s64
	v_addc_co_u32_e32 v11, vcc, v12, v11, vcc
	s_waitcnt lgkmcnt(2)
	v_cvt_f32_f16_sdwa v13, v6 dst_sel:DWORD dst_unused:UNUSED_PAD src0_sel:WORD_1
	v_cvt_f32_f16_e32 v12, v6
	s_waitcnt lgkmcnt(1)
	v_cvt_f32_f16_sdwa v15, v8 dst_sel:DWORD dst_unused:UNUSED_PAD src0_sel:WORD_1
	v_cvt_f32_f16_e32 v14, v8
	v_mov_b32_e32 v6, v3
	v_pk_fma_f32 v[12:13], v[2:3], v[12:13], 0 op_sel_hi:[0,1,0]
	v_accvgpr_read_b32 v3, a73
	v_pk_fma_f32 v[12:13], v[6:7], v[14:15], v[12:13] op_sel_hi:[0,1,1]
	v_cvt_f32_f16_sdwa v15, v9 dst_sel:DWORD dst_unused:UNUSED_PAD src0_sel:WORD_1
	v_cvt_f32_f16_e32 v14, v9
	v_pk_fma_f32 v[8:9], v[4:5], v[14:15], v[12:13] op_sel_hi:[0,1,1]
	s_waitcnt lgkmcnt(0)
	v_cvt_f32_f16_sdwa v13, v16 dst_sel:DWORD dst_unused:UNUSED_PAD src0_sel:WORD_1
	v_cvt_f32_f16_e32 v12, v16
	v_mov_b32_e32 v14, v5
	v_pk_fma_f32 v[8:9], v[14:15], v[12:13], v[8:9] op_sel_hi:[0,1,1]
	global_store_dwordx2 v[10:11], v[8:9], off
	ds_read2st64_b32 v[8:9], v3 offset0:33 offset1:66
	ds_read_b32 v15, v3 offset:25344
	v_cvt_f32_f16_sdwa v13, v7 dst_sel:DWORD dst_unused:UNUSED_PAD src0_sel:WORD_1
	v_cvt_f32_f16_e32 v12, v7
	v_ashrrev_i32_e32 v3, 31, v1
	v_add_co_u32_e32 v10, vcc, v34, v1
	v_addc_co_u32_e32 v11, vcc, 0, v3, vcc
	v_pk_fma_f32 v[2:3], v[2:3], v[12:13], 0 op_sel_hi:[0,1,0]
	s_waitcnt lgkmcnt(1)
	v_cvt_f32_f16_sdwa v13, v8 dst_sel:DWORD dst_unused:UNUSED_PAD src0_sel:WORD_1
	v_cvt_f32_f16_e32 v12, v8
	v_lshlrev_b64 v[10:11], 3, v[10:11]
	v_add_co_u32_e32 v10, vcc, s57, v10
	v_pk_fma_f32 v[2:3], v[6:7], v[12:13], v[2:3] op_sel_hi:[0,1,1]
	v_cvt_f32_f16_sdwa v7, v9 dst_sel:DWORD dst_unused:UNUSED_PAD src0_sel:WORD_1
	v_cvt_f32_f16_e32 v6, v9
	v_mov_b32_e32 v1, s64
	v_addc_co_u32_e32 v11, vcc, v1, v11, vcc
	v_pk_fma_f32 v[2:3], v[4:5], v[6:7], v[2:3] op_sel_hi:[0,1,1]
	s_waitcnt lgkmcnt(0)
	v_cvt_f32_f16_sdwa v5, v15 dst_sel:DWORD dst_unused:UNUSED_PAD src0_sel:WORD_1
	v_cvt_f32_f16_e32 v4, v15
	v_pk_fma_f32 v[2:3], v[14:15], v[4:5], v[2:3] op_sel_hi:[0,1,1]
	global_store_dwordx2 v[10:11], v[2:3], off offset:512
.LBB29_126:                             ;   in Loop: Header=BB29_12 Depth=1
	s_or_b64 exec, exec, s[72:73]
	s_barrier
	s_branch .LBB29_11
.LBB29_127:                             ;   in Loop: Header=BB29_12 Depth=1
	s_lshl_b32 s74, s89, 3
	v_add_u32_e32 v1, s74, v116
	v_cmp_gt_i32_e64 s[8:9], s33, v35
	v_cmp_le_i32_e32 vcc, s28, v1
	s_xor_b64 s[8:9], s[8:9], -1
	s_or_b64 s[10:11], vcc, s[8:9]
	s_and_saveexec_b64 s[72:73], s[10:11]
	s_xor_b64 s[10:11], exec, s[72:73]
	s_cbranch_execz .LBB29_129
; %bb.128:                              ;   in Loop: Header=BB29_12 Depth=1
	ds_write2st64_b32 v128, v237, v237 offset1:1
                                        ; implicit-def: $vgpr1
.LBB29_129:                             ;   in Loop: Header=BB29_12 Depth=1
	s_andn2_saveexec_b64 s[10:11], s[10:11]
	s_cbranch_execz .LBB29_131
; %bb.130:                              ;   in Loop: Header=BB29_12 Depth=1
	v_mul_lo_u32 v1, v1, s53
	v_add3_u32 v2, v1, v199, v34
	v_ashrrev_i32_e32 v3, 31, v2
	v_lshlrev_b64 v[2:3], 3, v[2:3]
	v_mov_b32_e32 v1, s88
	v_add_co_u32_e32 v2, vcc, s87, v2
	v_addc_co_u32_e32 v3, vcc, v1, v3, vcc
	global_load_dwordx2 v[4:5], v[2:3], off
	s_nop 0
	global_load_dwordx2 v[2:3], v[2:3], off offset:512
	s_waitcnt vmcnt(1)
	v_cvt_f16_f32_e32 v1, v4
	v_cvt_f16_f32_e32 v4, v5
	s_waitcnt vmcnt(0)
	v_cvt_f16_f32_e32 v2, v2
	v_cvt_f16_f32_e32 v3, v3
	v_pack_b32_f16 v1, v1, v4
	v_pk_mul_f16 v1, v101, v1
	v_pack_b32_f16 v2, v2, v3
	v_pk_mul_f16 v2, v101, v2
	ds_write2st64_b32 v128, v1, v2 offset1:1
.LBB29_131:                             ;   in Loop: Header=BB29_12 Depth=1
	s_or_b64 exec, exec, s[10:11]
	v_add_u32_e32 v1, s74, v194
	v_cmp_le_i32_e32 vcc, s28, v1
	s_or_b64 s[10:11], vcc, s[8:9]
	s_and_saveexec_b64 s[72:73], s[10:11]
	s_xor_b64 s[10:11], exec, s[72:73]
	s_cbranch_execz .LBB29_133
; %bb.132:                              ;   in Loop: Header=BB29_12 Depth=1
	v_add_u32_e32 v1, 64, v128
	ds_write2st64_b32 v1, v237, v237 offset0:8 offset1:9
                                        ; implicit-def: $vgpr1
.LBB29_133:                             ;   in Loop: Header=BB29_12 Depth=1
	s_andn2_saveexec_b64 s[10:11], s[10:11]
	s_cbranch_execz .LBB29_135
; %bb.134:                              ;   in Loop: Header=BB29_12 Depth=1
	v_mul_lo_u32 v1, v1, s53
	v_add3_u32 v2, v1, v199, v34
	v_ashrrev_i32_e32 v3, 31, v2
	v_lshlrev_b64 v[2:3], 3, v[2:3]
	v_mov_b32_e32 v1, s88
	v_add_co_u32_e32 v2, vcc, s87, v2
	v_addc_co_u32_e32 v3, vcc, v1, v3, vcc
	global_load_dwordx2 v[4:5], v[2:3], off
	s_nop 0
	global_load_dwordx2 v[2:3], v[2:3], off offset:512
	s_waitcnt vmcnt(1)
	v_cvt_f16_f32_e32 v1, v4
	v_cvt_f16_f32_e32 v4, v5
	s_waitcnt vmcnt(0)
	v_cvt_f16_f32_e32 v2, v2
	v_cvt_f16_f32_e32 v3, v3
	v_pack_b32_f16 v1, v1, v4
	v_pk_mul_f16 v1, v101, v1
	v_pack_b32_f16 v2, v2, v3
	v_pk_mul_f16 v2, v101, v2
	v_add_u32_e32 v3, 64, v128
	ds_write2st64_b32 v3, v1, v2 offset0:8 offset1:9
.LBB29_135:                             ;   in Loop: Header=BB29_12 Depth=1
	s_or_b64 exec, exec, s[10:11]
	v_add_u32_e32 v1, s74, v201
	v_cmp_le_i32_e32 vcc, s28, v1
	s_or_b64 s[10:11], vcc, s[8:9]
	s_and_saveexec_b64 s[72:73], s[10:11]
	s_xor_b64 s[10:11], exec, s[72:73]
	s_cbranch_execz .LBB29_137
; %bb.136:                              ;   in Loop: Header=BB29_12 Depth=1
	v_add_u32_e32 v1, 0x80, v128
	ds_write2st64_b32 v1, v237, v237 offset0:16 offset1:17
                                        ; implicit-def: $vgpr1
.LBB29_137:                             ;   in Loop: Header=BB29_12 Depth=1
	s_andn2_saveexec_b64 s[10:11], s[10:11]
	s_cbranch_execz .LBB29_139
; %bb.138:                              ;   in Loop: Header=BB29_12 Depth=1
	v_mul_lo_u32 v1, v1, s53
	v_add3_u32 v2, v1, v199, v34
	v_ashrrev_i32_e32 v3, 31, v2
	v_lshlrev_b64 v[2:3], 3, v[2:3]
	v_mov_b32_e32 v1, s88
	v_add_co_u32_e32 v2, vcc, s87, v2
	v_addc_co_u32_e32 v3, vcc, v1, v3, vcc
	global_load_dwordx2 v[4:5], v[2:3], off
	s_nop 0
	global_load_dwordx2 v[2:3], v[2:3], off offset:512
	s_waitcnt vmcnt(1)
	v_cvt_f16_f32_e32 v1, v4
	v_cvt_f16_f32_e32 v4, v5
	s_waitcnt vmcnt(0)
	v_cvt_f16_f32_e32 v2, v2
	v_cvt_f16_f32_e32 v3, v3
	v_pack_b32_f16 v1, v1, v4
	v_pk_mul_f16 v1, v101, v1
	v_pack_b32_f16 v2, v2, v3
	v_pk_mul_f16 v2, v101, v2
	v_add_u32_e32 v3, 0x80, v128
	ds_write2st64_b32 v3, v1, v2 offset0:16 offset1:17
.LBB29_139:                             ;   in Loop: Header=BB29_12 Depth=1
	;; [unrolled: 38-line block ×3, first 2 shown]
	s_or_b64 exec, exec, s[8:9]
	s_waitcnt lgkmcnt(0)
	s_barrier
	ds_read2_b64 v[30:33], v117 offset1:4
	ds_read2_b64 v[26:29], v117 offset0:8 offset1:12
	ds_read2_b64 v[22:25], v117 offset0:16 offset1:20
	;; [unrolled: 1-line block ×7, first 2 shown]
	v_add_u32_e32 v1, s74, v118
	v_mul_hi_u32 v35, s42, v1
	v_add_u32_e32 v35, v1, v35
	v_lshrrev_b32_e32 v35, s43, v35
	v_mul_lo_u32 v35, v35, s28
	s_cmp_gt_i32 s77, 1
	v_sub_u32_e32 v180, v1, v35
	s_waitcnt lgkmcnt(0)
	s_barrier
	s_cbranch_scc1 .LBB29_145
; %bb.144:                              ;   in Loop: Header=BB29_12 Depth=1
	v_mbcnt_hi_u32_b32 v185, -1, v189
	v_and_b32_e32 v1, 64, v185
	s_mov_b32 s10, 0
	v_add_u32_e32 v188, 64, v1
	v_xor_b32_e32 v178, 32, v185
	v_xor_b32_e32 v186, 16, v185
	s_mov_b64 s[8:9], 0
	s_mov_b32 s11, 0xfeffffff
	s_branch .LBB29_146
.LBB29_145:                             ;   in Loop: Header=BB29_12 Depth=1
	s_mov_b64 s[8:9], -1
                                        ; implicit-def: $sgpr10
                                        ; implicit-def: $sgpr11
                                        ; implicit-def: $vgpr185
                                        ; implicit-def: $vgpr188
                                        ; implicit-def: $vgpr178
                                        ; implicit-def: $vgpr186
.LBB29_146:                             ;   in Loop: Header=BB29_12 Depth=1
	s_andn2_b64 vcc, exec, s[8:9]
	v_mov_b32_e32 v174, s10
	v_mov_b32_e32 v184, s10
	;; [unrolled: 1-line block ×34, first 2 shown]
	s_cbranch_vccnz .LBB29_149
; %bb.147:                              ;   in Loop: Header=BB29_12 Depth=1
	v_mbcnt_hi_u32_b32 v185, -1, v189
	v_and_b32_e32 v1, 64, v185
	v_add_u32_e32 v188, 64, v1
	v_xor_b32_e32 v178, 32, v185
	v_readlane_b32 s8, v255, 17
	v_cmp_lt_i32_e32 vcc, v178, v188
	v_xor_b32_e32 v186, 16, v185
	v_readlane_b32 s9, v255, 18
	s_add_i32 s10, s77, -1
	v_cndmask_b32_e32 v1, v185, v178, vcc
	v_cmp_lt_i32_e32 vcc, v186, v188
	v_mad_i64_i32 v[76:77], s[8:9], s8, v180, v[76:77]
	v_lshlrev_b32_e32 v181, 2, v1
	v_cndmask_b32_e32 v1, v185, v186, vcc
	v_add_co_u32_e32 v76, vcc, v203, v76
	s_add_u32 s8, s61, s62
	v_addc_co_u32_e32 v77, vcc, v141, v77, vcc
	s_addc_u32 s9, s58, s63
	v_lshlrev_b32_e32 v182, 2, v1
	v_mov_b32_e32 v1, s9
	v_add_co_u32_e32 v80, vcc, s8, v105
	v_addc_co_u32_e32 v1, vcc, v109, v1, vcc
	v_mov_b32_e32 v35, s9
	v_add_co_u32_e32 v82, vcc, s8, v114
	v_addc_co_u32_e32 v35, vcc, v208, v35, vcc
	v_mov_b32_e32 v39, s9
	v_add_co_u32_e32 v84, vcc, s8, v209
	v_addc_co_u32_e32 v39, vcc, v210, v39, vcc
	v_mov_b32_e32 v73, s9
	v_add_co_u32_e32 v86, vcc, s8, v211
	v_addc_co_u32_e32 v73, vcc, v212, v73, vcc
	v_mov_b32_e32 v75, s9
	v_add_co_u32_e32 v88, vcc, s8, v213
	v_addc_co_u32_e32 v75, vcc, v214, v75, vcc
	v_mov_b32_e32 v78, s9
	v_add_co_u32_e32 v90, vcc, s8, v215
	v_addc_co_u32_e32 v79, vcc, v216, v78, vcc
	v_add_co_u32_e32 v92, vcc, s8, v217
	v_addc_co_u32_e32 v81, vcc, v218, v78, vcc
	v_add_co_u32_e32 v94, vcc, s8, v219
	s_add_u32 s8, s79, s76
	v_addc_co_u32_e32 v83, vcc, v220, v78, vcc
	s_addc_u32 s9, s78, s60
	v_mov_b32_e32 v78, s9
	v_add_co_u32_e32 v96, vcc, s8, v221
	v_addc_co_u32_e32 v85, vcc, v222, v78, vcc
	v_add_co_u32_e32 v98, vcc, s8, v223
	v_addc_co_u32_e32 v87, vcc, v224, v78, vcc
	;; [unrolled: 2-line block ×7, first 2 shown]
	v_add_co_u32_e32 v110, vcc, s8, v235
	v_mov_b32_e32 v112, 0
	v_addc_co_u32_e32 v99, vcc, v236, v78, vcc
	v_mov_b32_e32 v184, 0
	v_mov_b32_e32 v78, 0xfeffffff
	s_mov_b32 s8, s10
	v_mov_b32_e32 v113, 0
	v_mov_b32_e32 v152, 0
	;; [unrolled: 1-line block ×31, first 2 shown]
.LBB29_148:                             ;   Parent Loop BB29_12 Depth=1
                                        ; =>  This Inner Loop Header: Depth=2
	v_add_co_u32_e32 v142, vcc, v96, v72
	v_addc_co_u32_e32 v143, vcc, 0, v85, vcc
	v_mov_b32_e32 v107, v78
	global_load_dword v78, v[76:77], off
	v_mov_b32_e32 v136, v184
	global_load_dwordx4 v[142:145], v[142:143], off
	s_add_i32 s8, s8, -1
	s_cmp_lg_u32 s8, 0
	s_waitcnt vmcnt(1)
	ds_write_b32 v127, v78 offset:33792
	v_add_u32_e32 v78, 0x8400, v121
	s_waitcnt vmcnt(0)
	ds_write_b128 v119, v[142:145]
	v_add_co_u32_e32 v142, vcc, v98, v72
	v_addc_co_u32_e32 v143, vcc, 0, v87, vcc
	global_load_dwordx4 v[142:145], v[142:143], off
	s_waitcnt vmcnt(0)
	ds_write_b128 v238, v[142:145]
	v_add_co_u32_e32 v142, vcc, v100, v72
	v_addc_co_u32_e32 v143, vcc, 0, v89, vcc
	global_load_dwordx4 v[142:145], v[142:143], off
	;; [unrolled: 5-line block ×7, first 2 shown]
	s_waitcnt vmcnt(0)
	ds_write_b128 v244, v[142:145]
	s_waitcnt lgkmcnt(0)
	s_barrier
	ds_read2_b64 v[142:145], v120 offset1:4
	s_waitcnt lgkmcnt(0)
	v_mfma_f32_16x16x16f16 a[0:3], v[142:143], v[30:31], 0
	v_mfma_f32_16x16x16f16 a[0:3], v[144:145], v[32:33], a[0:3]
	ds_read2_b64 v[142:145], v120 offset0:8 offset1:12
	s_waitcnt lgkmcnt(0)
	v_mfma_f32_16x16x16f16 a[0:3], v[142:143], v[26:27], a[0:3]
	v_mfma_f32_16x16x16f16 a[0:3], v[144:145], v[28:29], a[0:3]
	ds_read2_b64 v[142:145], v120 offset0:16 offset1:20
	;; [unrolled: 4-line block ×7, first 2 shown]
	s_waitcnt lgkmcnt(0)
	s_barrier
	v_mfma_f32_16x16x16f16 a[0:3], v[142:143], v[2:3], a[0:3]
	v_mfma_f32_16x16x16f16 a[0:3], v[144:145], v[4:5], a[0:3]
	ds_read2_b32 v[144:145], v78 offset1:1
	s_waitcnt lgkmcnt(0)
	v_cvt_f32_f16_e32 v204, v144
	v_cvt_f32_f16_sdwa v205, v144 dst_sel:DWORD dst_unused:UNUSED_PAD src0_sel:WORD_1
	v_cvt_f32_f16_e32 v144, v145
	v_cvt_f32_f16_sdwa v145, v145 dst_sel:DWORD dst_unused:UNUSED_PAD src0_sel:WORD_1
	s_nop 4
	v_accvgpr_read_b32 v207, a1
	v_accvgpr_read_b32 v206, a0
	;; [unrolled: 1-line block ×4, first 2 shown]
	v_pk_add_f32 v[204:205], v[206:207], v[204:205]
	v_add_f32_e32 v78, 0x40051340, v204
	v_add_f32_e32 v137, 0x40051340, v205
	v_pk_add_f32 v[142:143], v[142:143], v[144:145]
	v_max3_f32 v78, v107, v78, v137
	v_add_f32_e32 v137, 0x40051340, v142
	v_add_f32_e32 v138, 0x40051340, v143
	v_max3_f32 v78, v78, v137, v138
	ds_bpermute_b32 v137, v181, v78
	s_waitcnt lgkmcnt(0)
	v_max_f32_e32 v137, v137, v137
	v_max_f32_e32 v78, v78, v137
	ds_bpermute_b32 v137, v182, v78
	s_waitcnt lgkmcnt(0)
	v_max_f32_e32 v137, v137, v137
	v_max_f32_e32 v78, v78, v137
	v_pk_add_f32 v[144:145], v[204:205], v[78:79] op_sel_hi:[1,0] neg_lo:[0,1] neg_hi:[0,1]
	v_mul_f32_e32 v137, 0x3fb8aa3b, v145
	v_fma_f32 v138, v145, s41, -v137
	v_rndne_f32_e32 v140, v137
	v_fmac_f32_e32 v138, 0x32a5705f, v145
	v_sub_f32_e32 v137, v137, v140
	v_add_f32_e32 v137, v137, v138
	v_exp_f32_e32 v137, v137
	v_cvt_i32_f32_e32 v138, v140
	v_cmp_ngt_f32_e32 vcc, s65, v145
	v_pk_add_f32 v[142:143], v[142:143], v[78:79] op_sel_hi:[1,0] neg_lo:[0,1] neg_hi:[0,1]
	v_sub_f32_e32 v107, v107, v78
	v_ldexp_f32 v137, v137, v138
	v_mul_f32_e32 v138, 0x3fb8aa3b, v144
	v_cndmask_b32_e32 v137, 0, v137, vcc
	v_cmp_nlt_f32_e32 vcc, s93, v145
	v_fma_f32 v140, v144, s41, -v138
	v_rndne_f32_e32 v145, v138
	v_fmac_f32_e32 v140, 0x32a5705f, v144
	v_sub_f32_e32 v138, v138, v145
	v_add_f32_e32 v138, v138, v140
	v_exp_f32_e32 v138, v138
	v_cvt_i32_f32_e32 v140, v145
	v_cndmask_b32_e32 v137, v190, v137, vcc
	v_cmp_ngt_f32_e32 vcc, s65, v144
	v_ldexp_f32 v138, v138, v140
	v_cndmask_b32_e32 v138, 0, v138, vcc
	v_cmp_nlt_f32_e32 vcc, s93, v144
	v_cndmask_b32_e32 v204, v190, v138, vcc
	v_mul_f32_e32 v138, 0x3fb8aa3b, v143
	v_fma_f32 v140, v143, s41, -v138
	v_rndne_f32_e32 v144, v138
	v_fmac_f32_e32 v140, 0x32a5705f, v143
	v_sub_f32_e32 v138, v138, v144
	v_add_f32_e32 v138, v138, v140
	v_exp_f32_e32 v138, v138
	v_cvt_i32_f32_e32 v140, v144
	v_cmp_ngt_f32_e32 vcc, s65, v143
	v_ldexp_f32 v138, v138, v140
	v_cndmask_b32_e32 v138, 0, v138, vcc
	v_cmp_nlt_f32_e32 vcc, s93, v143
	v_cndmask_b32_e32 v143, v190, v138, vcc
	v_mul_f32_e32 v138, 0x3fb8aa3b, v142
	v_fma_f32 v140, v142, s41, -v138
	v_rndne_f32_e32 v144, v138
	v_fmac_f32_e32 v140, 0x32a5705f, v142
	v_sub_f32_e32 v138, v138, v144
	v_add_f32_e32 v138, v138, v140
	v_exp_f32_e32 v138, v138
	v_cvt_i32_f32_e32 v140, v144
	v_cmp_ngt_f32_e32 vcc, s65, v142
	v_ldexp_f32 v138, v138, v140
	v_cndmask_b32_e32 v138, 0, v138, vcc
	v_cmp_nlt_f32_e32 vcc, s93, v142
	v_cndmask_b32_e32 v205, v190, v138, vcc
	v_add_f32_e32 v138, v204, v137
	v_add_f32_e32 v138, v205, v138
	;; [unrolled: 1-line block ×3, first 2 shown]
	v_mul_f32_e32 v138, 0x3fb8aa3b, v107
	v_fma_f32 v140, v107, s41, -v138
	v_rndne_f32_e32 v142, v138
	v_fmac_f32_e32 v140, 0x32a5705f, v107
	v_sub_f32_e32 v138, v138, v142
	v_add_f32_e32 v138, v138, v140
	v_exp_f32_e32 v138, v138
	v_cvt_i32_f32_e32 v140, v142
	v_cmp_ngt_f32_e32 vcc, s65, v107
	v_ldexp_f32 v138, v138, v140
	v_cndmask_b32_e32 v138, 0, v138, vcc
	v_cmp_nlt_f32_e32 vcc, s93, v107
	v_cndmask_b32_e32 v138, v190, v138, vcc
	v_cmp_le_f32_e32 vcc, s94, v107
	v_cndmask_b32_e32 v107, 0, v138, vcc
	v_fmac_f32_e32 v184, v136, v107
	v_cvt_f16_f32_e32 v136, v107
	v_pk_mul_f16 v142, v136, v112 op_sel_hi:[0,1]
	v_cvt_f16_f32_e32 v112, v204
	v_add_co_u32_e32 v204, vcc, v80, v72
	v_pk_mul_f16 v176, v136, v176 op_sel_hi:[0,1]
	v_pk_mul_f16 v174, v136, v174 op_sel_hi:[0,1]
	;; [unrolled: 1-line block ×31, first 2 shown]
	v_cvt_f16_f32_e32 v136, v205
	v_addc_co_u32_e32 v205, vcc, 0, v1, vcc
	global_load_dwordx4 v[204:207], v[204:205], off
	v_cvt_f16_f32_e32 v113, v137
	v_pack_b32_f16 v112, v112, v113
	v_cvt_f16_f32_e32 v113, v143
	v_pack_b32_f16 v113, v136, v113
	s_waitcnt vmcnt(0)
	ds_write_b128 v119, v[204:207]
	v_add_co_u32_e32 v204, vcc, v82, v72
	v_addc_co_u32_e32 v205, vcc, 0, v35, vcc
	global_load_dwordx4 v[204:207], v[204:205], off
	s_waitcnt vmcnt(0)
	ds_write_b128 v238, v[204:207]
	v_add_co_u32_e32 v204, vcc, v84, v72
	v_addc_co_u32_e32 v205, vcc, 0, v39, vcc
	global_load_dwordx4 v[204:207], v[204:205], off
	;; [unrolled: 5-line block ×7, first 2 shown]
	v_add_co_u32_e32 v76, vcc, s86, v76
	v_addc_co_u32_e32 v77, vcc, 0, v77, vcc
	v_add_co_u32_e32 v80, vcc, s66, v80
	s_waitcnt vmcnt(0)
	ds_write_b128 v244, v[204:207]
	s_waitcnt lgkmcnt(0)
	s_barrier
	ds_read_u16 v136, v123 offset:528
	ds_read_u16 v137, v123 offset:1056
	ds_read_u16 v143, v124
	ds_read_u16 v155, v124 offset:32
	v_cvt_f32_f16_e32 v204, v176
	v_cvt_f32_f16_sdwa v205, v176 dst_sel:DWORD dst_unused:UNUSED_PAD src0_sel:WORD_1
	v_cvt_f32_f16_e32 v206, v174
	s_waitcnt lgkmcnt(1)
	v_perm_b32 v175, v143, v137, s95
	ds_read_u16 v137, v122
	ds_read_u16 v143, v122 offset:32
	v_cvt_f32_f16_sdwa v207, v174 dst_sel:DWORD dst_unused:UNUSED_PAD src0_sel:WORD_1
	v_accvgpr_write_b32 a0, v204
	v_accvgpr_write_b32 a1, v205
	s_waitcnt lgkmcnt(1)
	v_perm_b32 v174, v136, v137, s95
	v_accvgpr_write_b32 a2, v206
	v_accvgpr_write_b32 a3, v207
	v_cvt_f32_f16_e32 v204, v140
	v_cvt_f32_f16_sdwa v205, v140 dst_sel:DWORD dst_unused:UNUSED_PAD src0_sel:WORD_1
	v_mfma_f32_16x16x16f16 a[0:3], v[174:175], v[112:113], a[0:3]
	v_cvt_f32_f16_e32 v206, v177
	v_cvt_f32_f16_sdwa v207, v177 dst_sel:DWORD dst_unused:UNUSED_PAD src0_sel:WORD_1
	s_nop 7
	s_nop 0
	v_accvgpr_read_b32 v136, a0
	v_accvgpr_read_b32 v137, a1
	v_cvt_f16_f32_e32 v136, v136
	v_cvt_f16_f32_e32 v137, v137
	v_accvgpr_read_b32 v157, a2
	v_accvgpr_read_b32 v161, a3
	v_accvgpr_write_b32 a0, v204
	v_pack_b32_f16 v176, v136, v137
	ds_read_u16 v136, v245 offset:528
	ds_read_u16 v137, v245 offset:1056
	v_accvgpr_write_b32 a1, v205
	v_accvgpr_write_b32 a2, v206
	v_accvgpr_write_b32 a3, v207
	s_waitcnt lgkmcnt(1)
	v_perm_b32 v136, v136, v143, s95
	s_waitcnt lgkmcnt(0)
	v_perm_b32 v137, v155, v137, s95
	v_cvt_f32_f16_e32 v204, v171
	v_cvt_f32_f16_sdwa v205, v171 dst_sel:DWORD dst_unused:UNUSED_PAD src0_sel:WORD_1
	v_mfma_f32_16x16x16f16 a[0:3], v[136:137], v[112:113], a[0:3]
	v_cvt_f32_f16_e32 v206, v169
	v_cvt_f32_f16_sdwa v207, v169 dst_sel:DWORD dst_unused:UNUSED_PAD src0_sel:WORD_1
	v_cvt_f16_f32_e32 v157, v157
	v_cvt_f16_f32_e32 v161, v161
	v_pack_b32_f16 v174, v157, v161
	s_nop 5
	v_accvgpr_read_b32 v136, a0
	v_accvgpr_read_b32 v137, a1
	v_accvgpr_read_b32 v140, a2
	v_accvgpr_read_b32 v143, a3
	v_cvt_f16_f32_e32 v136, v136
	v_cvt_f16_f32_e32 v137, v137
	v_cvt_f16_f32_e32 v140, v140
	v_cvt_f16_f32_e32 v143, v143
	v_accvgpr_write_b32 a0, v204
	v_pack_b32_f16 v177, v136, v137
	v_accvgpr_write_b32 a1, v205
	v_pack_b32_f16 v179, v140, v143
	ds_read_u16 v136, v122 offset:64
	ds_read_u16 v140, v246 offset:528
	ds_read_u16 v137, v246 offset:1056
	ds_read_u16 v143, v124 offset:64
	v_accvgpr_write_b32 a2, v206
	v_accvgpr_write_b32 a3, v207
	s_waitcnt lgkmcnt(2)
	v_perm_b32 v136, v140, v136, s95
	v_cvt_f32_f16_e32 v204, v138
	s_waitcnt lgkmcnt(0)
	v_perm_b32 v137, v143, v137, s95
	v_cvt_f32_f16_sdwa v205, v138 dst_sel:DWORD dst_unused:UNUSED_PAD src0_sel:WORD_1
	v_cvt_f32_f16_e32 v206, v172
	v_mfma_f32_16x16x16f16 a[0:3], v[136:137], v[112:113], a[0:3]
	v_cvt_f32_f16_sdwa v207, v172 dst_sel:DWORD dst_unused:UNUSED_PAD src0_sel:WORD_1
	s_nop 7
	s_nop 1
	v_accvgpr_read_b32 v136, a0
	v_accvgpr_read_b32 v137, a1
	v_accvgpr_read_b32 v140, a2
	v_accvgpr_read_b32 v143, a3
	v_cvt_f16_f32_e32 v136, v136
	v_cvt_f16_f32_e32 v137, v137
	v_cvt_f16_f32_e32 v140, v140
	v_cvt_f16_f32_e32 v143, v143
	v_accvgpr_write_b32 a0, v204
	v_pack_b32_f16 v171, v136, v137
	v_accvgpr_write_b32 a1, v205
	v_pack_b32_f16 v169, v140, v143
	ds_read_u16 v136, v122 offset:96
	ds_read_u16 v140, v247 offset:528
	ds_read_u16 v137, v247 offset:1056
	ds_read_u16 v143, v124 offset:96
	v_accvgpr_write_b32 a2, v206
	v_accvgpr_write_b32 a3, v207
	s_waitcnt lgkmcnt(2)
	v_perm_b32 v136, v140, v136, s95
	v_cvt_f32_f16_e32 v204, v107
	s_waitcnt lgkmcnt(0)
	v_perm_b32 v137, v143, v137, s95
	v_cvt_f32_f16_sdwa v205, v107 dst_sel:DWORD dst_unused:UNUSED_PAD src0_sel:WORD_1
	v_cvt_f32_f16_e32 v206, v165
	v_mfma_f32_16x16x16f16 a[0:3], v[136:137], v[112:113], a[0:3]
	v_cvt_f32_f16_sdwa v207, v165 dst_sel:DWORD dst_unused:UNUSED_PAD src0_sel:WORD_1
	s_nop 7
	;; [unrolled: 29-line block ×13, first 2 shown]
	s_nop 1
	v_accvgpr_read_b32 v107, a0
	v_accvgpr_read_b32 v136, a1
	;; [unrolled: 1-line block ×4, first 2 shown]
	v_cvt_f16_f32_e32 v107, v107
	v_cvt_f16_f32_e32 v136, v136
	;; [unrolled: 1-line block ×4, first 2 shown]
	v_accvgpr_write_b32 a0, v204
	v_pack_b32_f16 v152, v107, v136
	v_accvgpr_write_b32 a1, v205
	v_pack_b32_f16 v149, v137, v138
	ds_read_u16 v107, v122 offset:480
	ds_read_u16 v136, v202 offset:528
	;; [unrolled: 1-line block ×4, first 2 shown]
	v_accvgpr_write_b32 a2, v206
	v_accvgpr_write_b32 a3, v207
	s_waitcnt lgkmcnt(2)
	v_perm_b32 v136, v136, v107, s95
	s_waitcnt lgkmcnt(0)
	v_perm_b32 v137, v138, v137, s95
	s_barrier
	s_nop 0
	v_mfma_f32_16x16x16f16 a[0:3], v[136:137], v[112:113], a[0:3]
	s_nop 7
	s_nop 2
	v_accvgpr_read_b32 v107, a0
	v_accvgpr_read_b32 v112, a1
	v_cvt_f16_f32_e32 v107, v107
	v_cvt_f16_f32_e32 v112, v112
	v_accvgpr_read_b32 v113, a2
	v_accvgpr_read_b32 v136, a3
	v_cvt_f16_f32_e32 v113, v113
	v_pack_b32_f16 v112, v107, v112
	v_mov_b32_e32 v107, s67
	v_addc_co_u32_e32 v1, vcc, v1, v107, vcc
	v_add_co_u32_e32 v82, vcc, s66, v82
	v_addc_co_u32_e32 v35, vcc, v35, v107, vcc
	v_add_co_u32_e32 v84, vcc, s66, v84
	v_addc_co_u32_e32 v39, vcc, v39, v107, vcc
	v_add_co_u32_e32 v86, vcc, s66, v86
	v_addc_co_u32_e32 v73, vcc, v73, v107, vcc
	v_add_co_u32_e32 v88, vcc, s66, v88
	v_addc_co_u32_e32 v75, vcc, v75, v107, vcc
	v_add_co_u32_e32 v90, vcc, s66, v90
	v_addc_co_u32_e32 v79, vcc, v79, v107, vcc
	v_add_co_u32_e32 v92, vcc, s66, v92
	v_addc_co_u32_e32 v81, vcc, v81, v107, vcc
	v_add_co_u32_e32 v94, vcc, s66, v94
	v_addc_co_u32_e32 v83, vcc, v83, v107, vcc
	v_add_co_u32_e32 v96, vcc, s68, v96
	v_mov_b32_e32 v107, s69
	v_addc_co_u32_e32 v85, vcc, v85, v107, vcc
	v_add_co_u32_e32 v98, vcc, s68, v98
	v_addc_co_u32_e32 v87, vcc, v87, v107, vcc
	v_add_co_u32_e32 v100, vcc, s68, v100
	;; [unrolled: 2-line block ×5, first 2 shown]
	v_cvt_f16_f32_e32 v136, v136
	v_addc_co_u32_e32 v95, vcc, v95, v107, vcc
	v_add_co_u32_e32 v108, vcc, s68, v108
	v_addc_co_u32_e32 v97, vcc, v97, v107, vcc
	v_add_co_u32_e32 v110, vcc, s68, v110
	v_pack_b32_f16 v113, v113, v136
	v_addc_co_u32_e32 v99, vcc, v99, v107, vcc
	s_cbranch_scc1 .LBB29_148
.LBB29_149:                             ;   in Loop: Header=BB29_12 Depth=1
	v_mad_i64_i32 v[76:77], s[8:9], v180, s40, 0
	s_lshl_b32 s58, s10, 6
	s_lshl_b64 s[8:9], s[58:59], 1
	v_add_co_u32_e32 v1, vcc, s8, v183
	v_mov_b32_e32 v35, s9
	v_addc_co_u32_e32 v35, vcc, v191, v35, vcc
	v_lshlrev_b64 v[76:77], 1, v[76:77]
	v_add_co_u32_e32 v1, vcc, v1, v76
	v_addc_co_u32_e32 v35, vcc, v35, v77, vcc
	v_lshlrev_b32_e32 v39, 1, v38
	v_add_co_u32_e32 v76, vcc, v1, v39
	v_addc_co_u32_e32 v77, vcc, 0, v35, vcc
	global_load_dword v1, v[76:77], off
	s_mul_i32 s8, s35, s58
	s_mul_hi_u32 s9, s34, s58
	s_add_i32 s9, s9, s8
	s_mul_i32 s8, s34, s58
	s_lshl_b64 s[8:9], s[8:9], 2
	s_add_u32 s8, s49, s8
	s_addc_u32 s9, s54, s9
	v_mov_b32_e32 v35, s9
	s_waitcnt vmcnt(0)
	ds_write_b32 v127, v1 offset:33792
	v_add_co_u32_e32 v1, vcc, s8, v56
	v_addc_co_u32_e32 v35, vcc, v35, v57, vcc
	v_add_co_u32_e32 v76, vcc, v1, v126
	v_addc_co_u32_e32 v77, vcc, 0, v35, vcc
	global_load_dwordx4 v[80:83], v[76:77], off
	v_add_co_u32_e32 v1, vcc, s8, v58
	v_mov_b32_e32 v35, s9
	v_addc_co_u32_e32 v35, vcc, v35, v59, vcc
	v_add_co_u32_e32 v76, vcc, v1, v126
	v_addc_co_u32_e32 v77, vcc, 0, v35, vcc
	v_add_co_u32_e32 v1, vcc, s8, v60
	v_mov_b32_e32 v35, s9
	v_addc_co_u32_e32 v35, vcc, v35, v61, vcc
	s_waitcnt vmcnt(0)
	ds_write_b128 v119, v[80:83]
	global_load_dwordx4 v[80:83], v[76:77], off
	v_add_co_u32_e32 v76, vcc, v1, v126
	v_addc_co_u32_e32 v77, vcc, 0, v35, vcc
	v_add_co_u32_e32 v1, vcc, s8, v62
	v_mov_b32_e32 v35, s9
	v_addc_co_u32_e32 v35, vcc, v35, v63, vcc
	s_waitcnt vmcnt(0)
	ds_write_b128 v238, v[80:83]
	global_load_dwordx4 v[80:83], v[76:77], off
	;; [unrolled: 8-line block ×5, first 2 shown]
	v_add_co_u32_e32 v76, vcc, v1, v126
	v_addc_co_u32_e32 v77, vcc, 0, v35, vcc
	v_add_co_u32_e32 v1, vcc, s8, v70
	v_mov_b32_e32 v35, s9
	v_addc_co_u32_e32 v35, vcc, v35, v71, vcc
	s_mul_i32 s8, s31, s58
	s_mul_hi_u32 s9, s30, s58
	s_add_i32 s9, s9, s8
	s_mul_i32 s8, s30, s58
	s_lshl_b64 s[8:9], s[8:9], 2
	s_add_u32 s8, s6, s8
	s_addc_u32 s6, s55, s9
	s_cmp_eq_u64 s[70:71], 0
	s_waitcnt vmcnt(0)
	ds_write_b128 v242, v[80:83]
	global_load_dwordx4 v[80:83], v[76:77], off
	v_add_co_u32_e32 v76, vcc, v1, v126
	v_addc_co_u32_e32 v77, vcc, 0, v35, vcc
	v_add_u32_e32 v1, 0x8400, v121
	v_cmp_lt_i32_e32 vcc, v178, v188
	s_waitcnt vmcnt(0)
	ds_write_b128 v243, v[80:83]
	global_load_dwordx4 v[80:83], v[76:77], off
	s_waitcnt vmcnt(0)
	ds_write_b128 v244, v[80:83]
	s_waitcnt lgkmcnt(0)
	s_barrier
	ds_read2_b64 v[80:83], v120 offset1:4
	s_waitcnt lgkmcnt(0)
	v_mfma_f32_16x16x16f16 a[0:3], v[80:81], v[30:31], 0
	v_mfma_f32_16x16x16f16 a[0:3], v[82:83], v[32:33], a[0:3]
	ds_read2_b64 v[30:33], v120 offset0:8 offset1:12
	s_waitcnt lgkmcnt(0)
	v_mfma_f32_16x16x16f16 a[0:3], v[30:31], v[26:27], a[0:3]
	v_mfma_f32_16x16x16f16 a[0:3], v[32:33], v[28:29], a[0:3]
	ds_read2_b64 v[26:29], v120 offset0:16 offset1:20
	;; [unrolled: 4-line block ×7, first 2 shown]
	s_waitcnt lgkmcnt(0)
	s_barrier
	v_mfma_f32_16x16x16f16 a[0:3], v[6:7], v[2:3], a[0:3]
	v_mfma_f32_16x16x16f16 a[0:3], v[8:9], v[4:5], a[0:3]
	ds_read2_b32 v[4:5], v1 offset1:1
	v_cndmask_b32_e32 v1, v185, v178, vcc
	v_cmp_lt_i32_e32 vcc, v186, v188
	v_lshlrev_b32_e32 v35, 2, v1
	v_cndmask_b32_e32 v1, v185, v186, vcc
	s_waitcnt lgkmcnt(0)
	v_cvt_f32_f16_e32 v6, v4
	v_cvt_f32_f16_sdwa v7, v4 dst_sel:DWORD dst_unused:UNUSED_PAD src0_sel:WORD_1
	v_lshlrev_b32_e32 v39, 2, v1
	s_nop 1
	v_accvgpr_read_b32 v9, a1
	v_accvgpr_read_b32 v8, a0
	v_pk_add_f32 v[6:7], v[8:9], v[6:7]
	v_add_f32_e32 v1, 0x40051340, v6
	v_add_f32_e32 v4, 0x40051340, v7
	v_max3_f32 v1, v78, v1, v4
	v_cvt_f32_f16_e32 v4, v5
	v_cvt_f32_f16_sdwa v5, v5 dst_sel:DWORD dst_unused:UNUSED_PAD src0_sel:WORD_1
	v_accvgpr_read_b32 v3, a3
	v_accvgpr_read_b32 v2, a2
	v_pk_add_f32 v[4:5], v[2:3], v[4:5]
	v_add_f32_e32 v2, 0x40051340, v4
	v_add_f32_e32 v3, 0x40051340, v5
	v_max3_f32 v1, v1, v2, v3
	ds_bpermute_b32 v2, v35, v1
	s_waitcnt lgkmcnt(0)
	v_max_f32_e32 v2, v2, v2
	v_max_f32_e32 v1, v1, v2
	ds_bpermute_b32 v2, v39, v1
	s_waitcnt lgkmcnt(0)
	v_max_f32_e32 v2, v2, v2
	v_max_f32_e32 v2, v1, v2
	v_pk_add_f32 v[6:7], v[6:7], v[2:3] op_sel_hi:[1,0] neg_lo:[0,1] neg_hi:[0,1]
	v_mul_f32_e32 v1, 0x3fb8aa3b, v7
	v_fma_f32 v3, v7, s41, -v1
	v_rndne_f32_e32 v8, v1
	v_fmac_f32_e32 v3, 0x32a5705f, v7
	v_sub_f32_e32 v1, v1, v8
	v_add_f32_e32 v1, v1, v3
	v_exp_f32_e32 v1, v1
	v_cvt_i32_f32_e32 v3, v8
	v_cmp_ngt_f32_e32 vcc, s65, v7
	v_ldexp_f32 v1, v1, v3
	v_cndmask_b32_e32 v1, 0, v1, vcc
	v_cmp_nlt_f32_e32 vcc, s93, v7
	v_cndmask_b32_e32 v77, v190, v1, vcc
	v_mul_f32_e32 v1, 0x3fb8aa3b, v6
	v_fma_f32 v3, v6, s41, -v1
	v_rndne_f32_e32 v7, v1
	v_fmac_f32_e32 v3, 0x32a5705f, v6
	v_sub_f32_e32 v1, v1, v7
	v_add_f32_e32 v1, v1, v3
	v_exp_f32_e32 v1, v1
	v_cvt_i32_f32_e32 v3, v7
	v_cmp_ngt_f32_e32 vcc, s65, v6
	v_ldexp_f32 v1, v1, v3
	v_cndmask_b32_e32 v1, 0, v1, vcc
	v_cmp_nlt_f32_e32 vcc, s93, v6
	v_pk_add_f32 v[4:5], v[4:5], v[2:3] op_sel_hi:[1,0] neg_lo:[0,1] neg_hi:[0,1]
	v_cndmask_b32_e32 v79, v190, v1, vcc
	v_mul_f32_e32 v1, 0x3fb8aa3b, v5
	v_fma_f32 v3, v5, s41, -v1
	v_rndne_f32_e32 v6, v1
	v_fmac_f32_e32 v3, 0x32a5705f, v5
	v_sub_f32_e32 v1, v1, v6
	v_add_f32_e32 v1, v1, v3
	v_exp_f32_e32 v1, v1
	v_cvt_i32_f32_e32 v3, v6
	v_cmp_ngt_f32_e32 vcc, s65, v5
	v_ldexp_f32 v1, v1, v3
	v_cndmask_b32_e32 v1, 0, v1, vcc
	v_cmp_nlt_f32_e32 vcc, s93, v5
	v_cndmask_b32_e32 v5, v190, v1, vcc
	v_mul_f32_e32 v1, 0x3fb8aa3b, v4
	v_fma_f32 v3, v4, s41, -v1
	v_rndne_f32_e32 v6, v1
	v_fmac_f32_e32 v3, 0x32a5705f, v4
	v_sub_f32_e32 v1, v1, v6
	v_add_f32_e32 v1, v1, v3
	v_exp_f32_e32 v1, v1
	v_cvt_i32_f32_e32 v3, v6
	v_cmp_ngt_f32_e32 vcc, s65, v4
	v_ldexp_f32 v1, v1, v3
	v_cndmask_b32_e32 v1, 0, v1, vcc
	v_cmp_nlt_f32_e32 vcc, s93, v4
	v_cndmask_b32_e32 v80, v190, v1, vcc
	v_add_f32_e32 v1, v79, v77
	v_add_f32_e32 v1, v80, v1
	;; [unrolled: 1-line block ×3, first 2 shown]
	v_sub_f32_e32 v1, v78, v2
	v_mul_f32_e32 v4, 0x3fb8aa3b, v1
	v_fma_f32 v6, v1, s41, -v4
	v_rndne_f32_e32 v7, v4
	v_fmac_f32_e32 v6, 0x32a5705f, v1
	v_sub_f32_e32 v4, v4, v7
	v_add_f32_e32 v4, v4, v6
	v_exp_f32_e32 v4, v4
	v_cvt_i32_f32_e32 v6, v7
	v_cmp_ngt_f32_e32 vcc, s65, v1
	v_cvt_f16_f32_e32 v77, v77
	v_cvt_f16_f32_e32 v5, v5
	v_ldexp_f32 v4, v4, v6
	v_cndmask_b32_e32 v4, 0, v4, vcc
	v_cmp_nlt_f32_e32 vcc, s93, v1
	v_cndmask_b32_e32 v4, v190, v4, vcc
	v_cmp_le_f32_e32 vcc, s94, v1
	v_cndmask_b32_e32 v1, 0, v4, vcc
	v_cvt_f16_f32_e32 v4, v1
	v_fmac_f32_e32 v3, v184, v1
	v_mov_b32_e32 v78, s6
	v_pk_mul_f16 v6, v4, v176 op_sel_hi:[0,1]
	v_pk_mul_f16 v1, v4, v174 op_sel_hi:[0,1]
	;; [unrolled: 1-line block ×32, first 2 shown]
	v_cvt_f16_f32_e32 v4, v79
	v_pack_b32_f16 v4, v4, v77
	v_cvt_f16_f32_e32 v77, v80
	v_pack_b32_f16 v5, v77, v5
	v_add_co_u32_e32 v77, vcc, s8, v40
	v_addc_co_u32_e32 v79, vcc, v78, v41, vcc
	v_add_co_u32_e32 v78, vcc, v77, v126
	v_addc_co_u32_e32 v79, vcc, 0, v79, vcc
	global_load_dwordx4 v[78:81], v[78:79], off
	v_add_co_u32_e32 v77, vcc, s8, v42
	s_waitcnt vmcnt(0)
	ds_write_b128 v119, v[78:81]
	v_mov_b32_e32 v78, s6
	v_addc_co_u32_e32 v79, vcc, v78, v43, vcc
	v_add_co_u32_e32 v78, vcc, v77, v126
	v_addc_co_u32_e32 v79, vcc, 0, v79, vcc
	global_load_dwordx4 v[78:81], v[78:79], off
	v_add_co_u32_e32 v77, vcc, s8, v44
	s_waitcnt vmcnt(0)
	ds_write_b128 v238, v[78:81]
	v_mov_b32_e32 v78, s6
	;; [unrolled: 8-line block ×6, first 2 shown]
	v_addc_co_u32_e32 v79, vcc, v78, v53, vcc
	v_add_co_u32_e32 v78, vcc, v77, v126
	v_addc_co_u32_e32 v79, vcc, 0, v79, vcc
	global_load_dwordx4 v[78:81], v[78:79], off
	v_add_co_u32_e32 v77, vcc, s8, v54
	s_cselect_b64 s[8:9], -1, 0
	s_xor_b64 s[10:11], s[0:1], -1
	s_or_b64 s[8:9], s[10:11], s[8:9]
	s_waitcnt vmcnt(0)
	ds_write_b128 v243, v[78:81]
	v_mov_b32_e32 v78, s6
	v_addc_co_u32_e32 v79, vcc, v78, v55, vcc
	v_add_co_u32_e32 v78, vcc, v77, v126
	v_addc_co_u32_e32 v79, vcc, 0, v79, vcc
	global_load_dwordx4 v[78:81], v[78:79], off
	s_waitcnt vmcnt(0)
	ds_write_b128 v244, v[78:81]
	s_waitcnt lgkmcnt(0)
	s_barrier
	ds_read_u16 v77, v123 offset:528
	ds_read_u16 v82, v123 offset:1056
	v_cvt_f32_f16_e32 v80, v1
	v_cvt_f32_f16_sdwa v81, v1 dst_sel:DWORD dst_unused:UNUSED_PAD src0_sel:WORD_1
	ds_read_u16 v1, v124
	ds_read_u16 v84, v124 offset:32
	v_cvt_f32_f16_e32 v78, v6
	v_cvt_f32_f16_sdwa v79, v6 dst_sel:DWORD dst_unused:UNUSED_PAD src0_sel:WORD_1
	s_waitcnt lgkmcnt(1)
	v_perm_b32 v83, v1, v82, s95
	ds_read_u16 v1, v122
	ds_read_u16 v85, v122 offset:32
	v_accvgpr_write_b32 a0, v78
	v_accvgpr_write_b32 a1, v79
	;; [unrolled: 1-line block ×3, first 2 shown]
	s_waitcnt lgkmcnt(1)
	v_perm_b32 v82, v77, v1, s95
	v_accvgpr_write_b32 a3, v81
	v_cvt_f32_f16_sdwa v79, v8 dst_sel:DWORD dst_unused:UNUSED_PAD src0_sel:WORD_1
	v_cvt_f32_f16_e32 v80, v7
	v_mfma_f32_16x16x16f16 a[0:3], v[82:83], v[4:5], a[0:3]
	v_cvt_f32_f16_sdwa v81, v7 dst_sel:DWORD dst_unused:UNUSED_PAD src0_sel:WORD_1
	s_nop 7
	s_nop 1
	v_accvgpr_read_b32 v1, a0
	v_accvgpr_read_b32 v6, a1
	;; [unrolled: 1-line block ×4, first 2 shown]
	v_cvt_f16_f32_e32 v1, v1
	v_cvt_f16_f32_e32 v6, v6
	v_cvt_f16_f32_e32 v77, v77
	v_cvt_f16_f32_e32 v78, v78
	v_pack_b32_f16 v6, v1, v6
	v_pack_b32_f16 v1, v77, v78
	ds_read_u16 v77, v245 offset:528
	ds_read_u16 v82, v245 offset:1056
	v_cvt_f32_f16_e32 v78, v8
	s_waitcnt lgkmcnt(0)
	v_perm_b32 v83, v84, v82, s95
	v_perm_b32 v82, v77, v85, s95
	v_accvgpr_write_b32 a0, v78
	v_accvgpr_write_b32 a1, v79
	;; [unrolled: 1-line block ×4, first 2 shown]
	v_cvt_f32_f16_sdwa v79, v10 dst_sel:DWORD dst_unused:UNUSED_PAD src0_sel:WORD_1
	v_cvt_f32_f16_e32 v80, v9
	v_mfma_f32_16x16x16f16 a[0:3], v[82:83], v[4:5], a[0:3]
	v_cvt_f32_f16_sdwa v81, v9 dst_sel:DWORD dst_unused:UNUSED_PAD src0_sel:WORD_1
	v_cvt_f32_f16_sdwa v85, v73 dst_sel:DWORD dst_unused:UNUSED_PAD src0_sel:WORD_1
	s_nop 7
	s_nop 0
	v_accvgpr_read_b32 v7, a0
	v_accvgpr_read_b32 v8, a1
	v_accvgpr_read_b32 v77, a2
	v_accvgpr_read_b32 v78, a3
	v_cvt_f16_f32_e32 v7, v7
	v_cvt_f16_f32_e32 v8, v8
	v_cvt_f16_f32_e32 v77, v77
	v_cvt_f16_f32_e32 v78, v78
	v_pack_b32_f16 v8, v7, v8
	v_pack_b32_f16 v7, v77, v78
	ds_read_u16 v77, v122 offset:64
	ds_read_u16 v82, v246 offset:528
	ds_read_u16 v83, v246 offset:1056
	ds_read_u16 v84, v124 offset:64
	v_cvt_f32_f16_e32 v78, v10
	s_waitcnt lgkmcnt(2)
	v_perm_b32 v82, v82, v77, s95
	s_waitcnt lgkmcnt(0)
	v_perm_b32 v83, v84, v83, s95
	v_accvgpr_write_b32 a0, v78
	v_accvgpr_write_b32 a1, v79
	v_accvgpr_write_b32 a2, v80
	v_accvgpr_write_b32 a3, v81
	v_cvt_f32_f16_sdwa v79, v12 dst_sel:DWORD dst_unused:UNUSED_PAD src0_sel:WORD_1
	v_cvt_f32_f16_e32 v80, v11
	v_mfma_f32_16x16x16f16 a[0:3], v[82:83], v[4:5], a[0:3]
	v_cvt_f32_f16_sdwa v81, v11 dst_sel:DWORD dst_unused:UNUSED_PAD src0_sel:WORD_1
	s_nop 7
	s_nop 1
	v_accvgpr_read_b32 v9, a0
	v_accvgpr_read_b32 v10, a1
	v_accvgpr_read_b32 v77, a2
	v_accvgpr_read_b32 v78, a3
	v_cvt_f16_f32_e32 v9, v9
	v_cvt_f16_f32_e32 v10, v10
	v_cvt_f16_f32_e32 v77, v77
	v_cvt_f16_f32_e32 v78, v78
	v_pack_b32_f16 v10, v9, v10
	v_pack_b32_f16 v9, v77, v78
	ds_read_u16 v77, v122 offset:96
	ds_read_u16 v82, v247 offset:528
	ds_read_u16 v83, v247 offset:1056
	ds_read_u16 v84, v124 offset:96
	v_cvt_f32_f16_e32 v78, v12
	s_waitcnt lgkmcnt(2)
	v_perm_b32 v82, v82, v77, s95
	s_waitcnt lgkmcnt(0)
	v_perm_b32 v83, v84, v83, s95
	v_accvgpr_write_b32 a0, v78
	v_accvgpr_write_b32 a1, v79
	v_accvgpr_write_b32 a2, v80
	v_accvgpr_write_b32 a3, v81
	v_cvt_f32_f16_sdwa v79, v14 dst_sel:DWORD dst_unused:UNUSED_PAD src0_sel:WORD_1
	v_cvt_f32_f16_e32 v80, v13
	v_mfma_f32_16x16x16f16 a[0:3], v[82:83], v[4:5], a[0:3]
	v_cvt_f32_f16_sdwa v81, v13 dst_sel:DWORD dst_unused:UNUSED_PAD src0_sel:WORD_1
	s_nop 7
	s_nop 1
	v_accvgpr_read_b32 v11, a0
	v_accvgpr_read_b32 v12, a1
	v_accvgpr_read_b32 v77, a2
	v_accvgpr_read_b32 v78, a3
	v_cvt_f16_f32_e32 v11, v11
	v_cvt_f16_f32_e32 v12, v12
	v_cvt_f16_f32_e32 v77, v77
	v_cvt_f16_f32_e32 v78, v78
	v_pack_b32_f16 v12, v11, v12
	v_pack_b32_f16 v11, v77, v78
	ds_read_u16 v77, v122 offset:128
	ds_read_u16 v82, v248 offset:528
	ds_read_u16 v83, v248 offset:1056
	ds_read_u16 v84, v124 offset:128
	v_cvt_f32_f16_e32 v78, v14
	s_waitcnt lgkmcnt(2)
	v_perm_b32 v82, v82, v77, s95
	s_waitcnt lgkmcnt(0)
	v_perm_b32 v83, v84, v83, s95
	v_accvgpr_write_b32 a0, v78
	v_accvgpr_write_b32 a1, v79
	v_accvgpr_write_b32 a2, v80
	v_accvgpr_write_b32 a3, v81
	v_cvt_f32_f16_sdwa v79, v16 dst_sel:DWORD dst_unused:UNUSED_PAD src0_sel:WORD_1
	v_cvt_f32_f16_e32 v80, v15
	v_mfma_f32_16x16x16f16 a[0:3], v[82:83], v[4:5], a[0:3]
	v_cvt_f32_f16_sdwa v81, v15 dst_sel:DWORD dst_unused:UNUSED_PAD src0_sel:WORD_1
	s_nop 7
	s_nop 1
	v_accvgpr_read_b32 v13, a0
	v_accvgpr_read_b32 v14, a1
	v_accvgpr_read_b32 v77, a2
	v_accvgpr_read_b32 v78, a3
	v_cvt_f16_f32_e32 v13, v13
	v_cvt_f16_f32_e32 v14, v14
	v_cvt_f16_f32_e32 v77, v77
	v_cvt_f16_f32_e32 v78, v78
	v_pack_b32_f16 v14, v13, v14
	v_pack_b32_f16 v13, v77, v78
	ds_read_u16 v77, v122 offset:160
	ds_read_u16 v82, v249 offset:528
	ds_read_u16 v83, v249 offset:1056
	ds_read_u16 v84, v124 offset:160
	v_cvt_f32_f16_e32 v78, v16
	s_waitcnt lgkmcnt(2)
	v_perm_b32 v82, v82, v77, s95
	s_waitcnt lgkmcnt(0)
	v_perm_b32 v83, v84, v83, s95
	v_accvgpr_write_b32 a0, v78
	v_accvgpr_write_b32 a1, v79
	v_accvgpr_write_b32 a2, v80
	v_accvgpr_write_b32 a3, v81
	v_cvt_f32_f16_sdwa v79, v18 dst_sel:DWORD dst_unused:UNUSED_PAD src0_sel:WORD_1
	v_cvt_f32_f16_e32 v80, v17
	v_mfma_f32_16x16x16f16 a[0:3], v[82:83], v[4:5], a[0:3]
	v_cvt_f32_f16_sdwa v81, v17 dst_sel:DWORD dst_unused:UNUSED_PAD src0_sel:WORD_1
	s_nop 7
	s_nop 1
	v_accvgpr_read_b32 v15, a0
	v_accvgpr_read_b32 v16, a1
	v_accvgpr_read_b32 v77, a2
	v_accvgpr_read_b32 v78, a3
	v_cvt_f16_f32_e32 v15, v15
	v_cvt_f16_f32_e32 v16, v16
	v_cvt_f16_f32_e32 v77, v77
	v_cvt_f16_f32_e32 v78, v78
	v_pack_b32_f16 v16, v15, v16
	v_pack_b32_f16 v15, v77, v78
	ds_read_u16 v77, v122 offset:192
	ds_read_u16 v82, v250 offset:528
	ds_read_u16 v83, v250 offset:1056
	ds_read_u16 v84, v124 offset:192
	v_cvt_f32_f16_e32 v78, v18
	s_waitcnt lgkmcnt(2)
	v_perm_b32 v82, v82, v77, s95
	s_waitcnt lgkmcnt(0)
	v_perm_b32 v83, v84, v83, s95
	v_accvgpr_write_b32 a0, v78
	v_accvgpr_write_b32 a1, v79
	v_accvgpr_write_b32 a2, v80
	v_accvgpr_write_b32 a3, v81
	v_cvt_f32_f16_sdwa v79, v20 dst_sel:DWORD dst_unused:UNUSED_PAD src0_sel:WORD_1
	v_cvt_f32_f16_e32 v80, v19
	v_mfma_f32_16x16x16f16 a[0:3], v[82:83], v[4:5], a[0:3]
	v_cvt_f32_f16_sdwa v81, v19 dst_sel:DWORD dst_unused:UNUSED_PAD src0_sel:WORD_1
	s_nop 7
	s_nop 1
	v_accvgpr_read_b32 v17, a0
	v_accvgpr_read_b32 v18, a1
	v_accvgpr_read_b32 v77, a2
	v_accvgpr_read_b32 v78, a3
	v_cvt_f16_f32_e32 v17, v17
	v_cvt_f16_f32_e32 v18, v18
	v_cvt_f16_f32_e32 v77, v77
	v_cvt_f16_f32_e32 v78, v78
	v_pack_b32_f16 v18, v17, v18
	v_pack_b32_f16 v17, v77, v78
	ds_read_u16 v77, v122 offset:224
	ds_read_u16 v82, v251 offset:528
	ds_read_u16 v83, v251 offset:1056
	ds_read_u16 v84, v124 offset:224
	v_cvt_f32_f16_e32 v78, v20
	s_waitcnt lgkmcnt(2)
	v_perm_b32 v82, v82, v77, s95
	s_waitcnt lgkmcnt(0)
	v_perm_b32 v83, v84, v83, s95
	v_accvgpr_write_b32 a0, v78
	v_accvgpr_write_b32 a1, v79
	v_accvgpr_write_b32 a2, v80
	v_accvgpr_write_b32 a3, v81
	v_cvt_f32_f16_sdwa v79, v22 dst_sel:DWORD dst_unused:UNUSED_PAD src0_sel:WORD_1
	v_cvt_f32_f16_e32 v80, v21
	v_mfma_f32_16x16x16f16 a[0:3], v[82:83], v[4:5], a[0:3]
	v_cvt_f32_f16_sdwa v81, v21 dst_sel:DWORD dst_unused:UNUSED_PAD src0_sel:WORD_1
	s_nop 7
	s_nop 1
	v_accvgpr_read_b32 v19, a0
	v_accvgpr_read_b32 v20, a1
	v_accvgpr_read_b32 v77, a2
	v_accvgpr_read_b32 v78, a3
	v_cvt_f16_f32_e32 v19, v19
	v_cvt_f16_f32_e32 v20, v20
	v_cvt_f16_f32_e32 v77, v77
	v_cvt_f16_f32_e32 v78, v78
	v_pack_b32_f16 v20, v19, v20
	v_pack_b32_f16 v19, v77, v78
	ds_read_u16 v77, v122 offset:256
	ds_read_u16 v82, v252 offset:528
	ds_read_u16 v83, v252 offset:1056
	ds_read_u16 v84, v124 offset:256
	v_cvt_f32_f16_e32 v78, v22
	s_waitcnt lgkmcnt(2)
	v_perm_b32 v82, v82, v77, s95
	s_waitcnt lgkmcnt(0)
	v_perm_b32 v83, v84, v83, s95
	v_accvgpr_write_b32 a0, v78
	v_accvgpr_write_b32 a1, v79
	v_accvgpr_write_b32 a2, v80
	v_accvgpr_write_b32 a3, v81
	v_cvt_f32_f16_sdwa v79, v24 dst_sel:DWORD dst_unused:UNUSED_PAD src0_sel:WORD_1
	v_cvt_f32_f16_e32 v80, v23
	v_mfma_f32_16x16x16f16 a[0:3], v[82:83], v[4:5], a[0:3]
	v_cvt_f32_f16_sdwa v81, v23 dst_sel:DWORD dst_unused:UNUSED_PAD src0_sel:WORD_1
	s_nop 7
	s_nop 1
	v_accvgpr_read_b32 v21, a0
	v_accvgpr_read_b32 v22, a1
	v_accvgpr_read_b32 v77, a2
	v_accvgpr_read_b32 v78, a3
	v_cvt_f16_f32_e32 v21, v21
	v_cvt_f16_f32_e32 v22, v22
	v_cvt_f16_f32_e32 v77, v77
	v_cvt_f16_f32_e32 v78, v78
	v_pack_b32_f16 v22, v21, v22
	v_pack_b32_f16 v21, v77, v78
	ds_read_u16 v77, v122 offset:288
	ds_read_u16 v82, v253 offset:528
	ds_read_u16 v83, v253 offset:1056
	ds_read_u16 v84, v124 offset:288
	v_cvt_f32_f16_e32 v78, v24
	s_waitcnt lgkmcnt(2)
	v_perm_b32 v82, v82, v77, s95
	s_waitcnt lgkmcnt(0)
	v_perm_b32 v83, v84, v83, s95
	v_accvgpr_write_b32 a0, v78
	v_accvgpr_write_b32 a1, v79
	v_accvgpr_write_b32 a2, v80
	v_accvgpr_write_b32 a3, v81
	v_cvt_f32_f16_sdwa v79, v26 dst_sel:DWORD dst_unused:UNUSED_PAD src0_sel:WORD_1
	v_cvt_f32_f16_e32 v80, v25
	v_mfma_f32_16x16x16f16 a[0:3], v[82:83], v[4:5], a[0:3]
	v_cvt_f32_f16_sdwa v81, v25 dst_sel:DWORD dst_unused:UNUSED_PAD src0_sel:WORD_1
	s_nop 7
	s_nop 1
	v_accvgpr_read_b32 v23, a0
	v_accvgpr_read_b32 v24, a1
	v_accvgpr_read_b32 v77, a2
	v_accvgpr_read_b32 v78, a3
	v_cvt_f16_f32_e32 v23, v23
	v_cvt_f16_f32_e32 v24, v24
	v_cvt_f16_f32_e32 v77, v77
	v_cvt_f16_f32_e32 v78, v78
	v_pack_b32_f16 v24, v23, v24
	v_pack_b32_f16 v23, v77, v78
	ds_read_u16 v77, v122 offset:320
	ds_read_u16 v82, v254 offset:528
	ds_read_u16 v83, v254 offset:1056
	ds_read_u16 v84, v124 offset:320
	v_cvt_f32_f16_e32 v78, v26
	s_waitcnt lgkmcnt(2)
	v_perm_b32 v82, v82, v77, s95
	s_waitcnt lgkmcnt(0)
	v_perm_b32 v83, v84, v83, s95
	v_accvgpr_write_b32 a0, v78
	v_accvgpr_write_b32 a1, v79
	v_accvgpr_write_b32 a2, v80
	v_accvgpr_write_b32 a3, v81
	v_cvt_f32_f16_sdwa v79, v28 dst_sel:DWORD dst_unused:UNUSED_PAD src0_sel:WORD_1
	v_cvt_f32_f16_e32 v80, v27
	v_mfma_f32_16x16x16f16 a[0:3], v[82:83], v[4:5], a[0:3]
	v_cvt_f32_f16_sdwa v81, v27 dst_sel:DWORD dst_unused:UNUSED_PAD src0_sel:WORD_1
	s_nop 7
	s_nop 1
	v_accvgpr_read_b32 v25, a0
	v_accvgpr_read_b32 v26, a1
	v_accvgpr_read_b32 v77, a2
	v_accvgpr_read_b32 v78, a3
	v_cvt_f16_f32_e32 v25, v25
	v_cvt_f16_f32_e32 v26, v26
	v_cvt_f16_f32_e32 v77, v77
	v_cvt_f16_f32_e32 v78, v78
	v_pack_b32_f16 v26, v25, v26
	v_pack_b32_f16 v25, v77, v78
	ds_read_u16 v77, v122 offset:352
	ds_read_u16 v82, v200 offset:528
	ds_read_u16 v83, v200 offset:1056
	ds_read_u16 v84, v124 offset:352
	v_cvt_f32_f16_e32 v78, v28
	s_waitcnt lgkmcnt(2)
	v_perm_b32 v82, v82, v77, s95
	s_waitcnt lgkmcnt(0)
	v_perm_b32 v83, v84, v83, s95
	v_accvgpr_write_b32 a0, v78
	v_accvgpr_write_b32 a1, v79
	v_accvgpr_write_b32 a2, v80
	v_accvgpr_write_b32 a3, v81
	v_cvt_f32_f16_sdwa v79, v30 dst_sel:DWORD dst_unused:UNUSED_PAD src0_sel:WORD_1
	v_cvt_f32_f16_e32 v80, v29
	v_mfma_f32_16x16x16f16 a[0:3], v[82:83], v[4:5], a[0:3]
	v_cvt_f32_f16_sdwa v81, v29 dst_sel:DWORD dst_unused:UNUSED_PAD src0_sel:WORD_1
	s_nop 7
	s_nop 1
	v_accvgpr_read_b32 v27, a0
	v_accvgpr_read_b32 v28, a1
	v_accvgpr_read_b32 v77, a2
	v_accvgpr_read_b32 v78, a3
	v_cvt_f16_f32_e32 v27, v27
	v_cvt_f16_f32_e32 v28, v28
	v_cvt_f16_f32_e32 v77, v77
	v_cvt_f16_f32_e32 v78, v78
	v_pack_b32_f16 v28, v27, v28
	v_pack_b32_f16 v27, v77, v78
	ds_read_u16 v77, v122 offset:384
	ds_read_u16 v82, v196 offset:528
	ds_read_u16 v83, v196 offset:1056
	ds_read_u16 v84, v124 offset:384
	v_cvt_f32_f16_e32 v78, v30
	s_waitcnt lgkmcnt(2)
	v_perm_b32 v82, v82, v77, s95
	s_waitcnt lgkmcnt(0)
	v_perm_b32 v83, v84, v83, s95
	v_accvgpr_write_b32 a0, v78
	v_accvgpr_write_b32 a1, v79
	v_accvgpr_write_b32 a2, v80
	v_accvgpr_write_b32 a3, v81
	v_cvt_f32_f16_sdwa v79, v32 dst_sel:DWORD dst_unused:UNUSED_PAD src0_sel:WORD_1
	v_cvt_f32_f16_e32 v80, v31
	v_mfma_f32_16x16x16f16 a[0:3], v[82:83], v[4:5], a[0:3]
	v_cvt_f32_f16_sdwa v81, v31 dst_sel:DWORD dst_unused:UNUSED_PAD src0_sel:WORD_1
	s_nop 7
	s_nop 1
	v_accvgpr_read_b32 v29, a0
	v_accvgpr_read_b32 v30, a1
	v_accvgpr_read_b32 v77, a2
	v_accvgpr_read_b32 v78, a3
	v_cvt_f16_f32_e32 v29, v29
	v_cvt_f16_f32_e32 v30, v30
	v_cvt_f16_f32_e32 v77, v77
	v_cvt_f16_f32_e32 v78, v78
	v_pack_b32_f16 v30, v29, v30
	v_pack_b32_f16 v29, v77, v78
	ds_read_u16 v77, v122 offset:416
	ds_read_u16 v82, v198 offset:528
	ds_read_u16 v83, v198 offset:1056
	ds_read_u16 v84, v124 offset:416
	v_cvt_f32_f16_e32 v78, v32
	s_waitcnt lgkmcnt(2)
	v_perm_b32 v82, v82, v77, s95
	s_waitcnt lgkmcnt(0)
	v_perm_b32 v83, v84, v83, s95
	v_accvgpr_write_b32 a0, v78
	v_accvgpr_write_b32 a1, v79
	v_accvgpr_write_b32 a2, v80
	v_accvgpr_write_b32 a3, v81
	v_cvt_f32_f16_sdwa v79, v76 dst_sel:DWORD dst_unused:UNUSED_PAD src0_sel:WORD_1
	v_cvt_f32_f16_e32 v80, v33
	v_mfma_f32_16x16x16f16 a[0:3], v[82:83], v[4:5], a[0:3]
	v_cvt_f32_f16_sdwa v81, v33 dst_sel:DWORD dst_unused:UNUSED_PAD src0_sel:WORD_1
	s_nop 7
	s_nop 1
	v_accvgpr_read_b32 v31, a0
	v_accvgpr_read_b32 v32, a1
	;; [unrolled: 1-line block ×4, first 2 shown]
	v_cvt_f16_f32_e32 v31, v31
	v_cvt_f16_f32_e32 v32, v32
	;; [unrolled: 1-line block ×4, first 2 shown]
	v_pack_b32_f16 v32, v31, v32
	v_pack_b32_f16 v31, v77, v78
	ds_read_u16 v82, v122 offset:448
	ds_read_u16 v83, v192 offset:528
	;; [unrolled: 1-line block ×4, first 2 shown]
	v_cvt_f32_f16_e32 v78, v76
	s_waitcnt lgkmcnt(2)
	v_perm_b32 v76, v83, v82, s95
	v_cvt_f32_f16_e32 v82, v75
	s_waitcnt lgkmcnt(0)
	v_perm_b32 v77, v84, v77, s95
	v_accvgpr_write_b32 a0, v78
	v_accvgpr_write_b32 a1, v79
	;; [unrolled: 1-line block ×4, first 2 shown]
	v_cvt_f32_f16_sdwa v83, v75 dst_sel:DWORD dst_unused:UNUSED_PAD src0_sel:WORD_1
	v_cvt_f32_f16_e32 v84, v73
	v_mfma_f32_16x16x16f16 a[0:3], v[76:77], v[4:5], a[0:3]
	s_nop 7
	s_nop 2
	v_accvgpr_read_b32 v33, a0
	v_accvgpr_read_b32 v76, a1
	;; [unrolled: 1-line block ×4, first 2 shown]
	v_cvt_f16_f32_e32 v33, v33
	v_cvt_f16_f32_e32 v76, v76
	;; [unrolled: 1-line block ×4, first 2 shown]
	v_accvgpr_write_b32 a0, v82
	v_pack_b32_f16 v76, v33, v76
	v_accvgpr_write_b32 a1, v83
	v_pack_b32_f16 v33, v77, v78
	ds_read_u16 v77, v122 offset:480
	ds_read_u16 v78, v202 offset:528
	;; [unrolled: 1-line block ×4, first 2 shown]
	v_accvgpr_write_b32 a2, v84
	v_accvgpr_write_b32 a3, v85
	s_waitcnt lgkmcnt(2)
	v_perm_b32 v78, v78, v77, s95
	s_waitcnt lgkmcnt(0)
	v_perm_b32 v79, v80, v79, s95
	s_barrier
	s_nop 0
	v_mfma_f32_16x16x16f16 a[0:3], v[78:79], v[4:5], a[0:3]
	s_nop 7
	s_nop 2
	v_accvgpr_read_b32 v4, a0
	v_accvgpr_read_b32 v5, a1
	;; [unrolled: 1-line block ×4, first 2 shown]
	v_cvt_f16_f32_e32 v4, v4
	v_cvt_f16_f32_e32 v5, v5
	;; [unrolled: 1-line block ×4, first 2 shown]
	v_pack_b32_f16 v4, v4, v5
	v_pack_b32_f16 v5, v73, v75
	ds_bpermute_b32 v73, v35, v3
	s_waitcnt lgkmcnt(0)
	v_add_f32_e32 v3, v3, v73
	ds_bpermute_b32 v73, v39, v3
	s_waitcnt lgkmcnt(0)
	v_add_f32_e32 v3, v3, v73
	s_and_saveexec_b64 s[10:11], s[8:9]
	s_xor_b64 s[8:9], exec, s[10:11]
	s_andn2_saveexec_b64 s[8:9], s[8:9]
	s_cbranch_execz .LBB29_151
; %bb.150:                              ;   in Loop: Header=BB29_12 Depth=1
	v_lshlrev_b32_e32 v73, 2, v74
	global_load_dword v73, v73, s[70:71]
	v_max_f32_e32 v75, v2, v2
	s_waitcnt vmcnt(0)
	v_max_f32_e32 v77, v73, v73
	v_max_f32_e32 v78, v75, v77
	v_sub_f32_e32 v2, v2, v78
	v_sub_f32_e32 v73, v73, v78
	v_mul_f32_e32 v75, 0x3fb8aa3b, v2
	v_mul_f32_e32 v77, 0x3fb8aa3b, v73
	v_fma_f32 v79, v2, s41, -v75
	v_rndne_f32_e32 v80, v75
	v_fma_f32 v81, v73, s41, -v77
	v_rndne_f32_e32 v82, v77
	v_fmac_f32_e32 v79, 0x32a5705f, v2
	v_sub_f32_e32 v75, v75, v80
	v_fmac_f32_e32 v81, 0x32a5705f, v73
	v_sub_f32_e32 v77, v77, v82
	v_add_f32_e32 v75, v75, v79
	v_cvt_i32_f32_e32 v80, v80
	v_add_f32_e32 v77, v77, v81
	v_exp_f32_e32 v75, v75
	v_cvt_i32_f32_e32 v82, v82
	v_exp_f32_e32 v77, v77
	v_cmp_ngt_f32_e32 vcc, s65, v2
	v_ldexp_f32 v75, v75, v80
	v_cndmask_b32_e32 v75, 0, v75, vcc
	v_ldexp_f32 v77, v77, v82
	v_cmp_ngt_f32_e32 vcc, s65, v73
	v_cndmask_b32_e32 v77, 0, v77, vcc
	v_cmp_nlt_f32_e32 vcc, s93, v2
	v_cndmask_b32_e32 v75, v190, v75, vcc
	v_cmp_le_f32_e32 vcc, s94, v2
	v_cndmask_b32_e32 v2, 0, v75, vcc
	v_cvt_f16_f32_e32 v75, v2
	v_cmp_nlt_f32_e32 vcc, s93, v73
	v_cndmask_b32_e32 v79, v190, v77, vcc
	v_fmac_f32_e32 v79, v3, v2
	v_pk_mul_f16 v6, v75, v6 op_sel_hi:[0,1]
	v_pk_mul_f16 v1, v75, v1 op_sel_hi:[0,1]
	v_pk_mul_f16 v8, v75, v8 op_sel_hi:[0,1]
	v_pk_mul_f16 v7, v75, v7 op_sel_hi:[0,1]
	v_pk_mul_f16 v10, v75, v10 op_sel_hi:[0,1]
	v_pk_mul_f16 v9, v75, v9 op_sel_hi:[0,1]
	v_pk_mul_f16 v12, v75, v12 op_sel_hi:[0,1]
	v_pk_mul_f16 v11, v75, v11 op_sel_hi:[0,1]
	v_pk_mul_f16 v14, v75, v14 op_sel_hi:[0,1]
	v_pk_mul_f16 v13, v75, v13 op_sel_hi:[0,1]
	v_pk_mul_f16 v16, v75, v16 op_sel_hi:[0,1]
	v_pk_mul_f16 v15, v75, v15 op_sel_hi:[0,1]
	v_pk_mul_f16 v18, v75, v18 op_sel_hi:[0,1]
	v_pk_mul_f16 v17, v75, v17 op_sel_hi:[0,1]
	v_pk_mul_f16 v20, v75, v20 op_sel_hi:[0,1]
	v_pk_mul_f16 v19, v75, v19 op_sel_hi:[0,1]
	v_pk_mul_f16 v22, v75, v22 op_sel_hi:[0,1]
	v_pk_mul_f16 v21, v75, v21 op_sel_hi:[0,1]
	v_pk_mul_f16 v24, v75, v24 op_sel_hi:[0,1]
	v_pk_mul_f16 v23, v75, v23 op_sel_hi:[0,1]
	v_pk_mul_f16 v26, v75, v26 op_sel_hi:[0,1]
	v_pk_mul_f16 v25, v75, v25 op_sel_hi:[0,1]
	v_pk_mul_f16 v28, v75, v28 op_sel_hi:[0,1]
	v_pk_mul_f16 v27, v75, v27 op_sel_hi:[0,1]
	v_pk_mul_f16 v30, v75, v30 op_sel_hi:[0,1]
	v_pk_mul_f16 v29, v75, v29 op_sel_hi:[0,1]
	v_pk_mul_f16 v32, v75, v32 op_sel_hi:[0,1]
	v_pk_mul_f16 v31, v75, v31 op_sel_hi:[0,1]
	v_pk_mul_f16 v76, v75, v76 op_sel_hi:[0,1]
	v_pk_mul_f16 v33, v75, v33 op_sel_hi:[0,1]
	v_pk_mul_f16 v4, v75, v4 op_sel_hi:[0,1]
	v_pk_mul_f16 v5, v75, v5 op_sel_hi:[0,1]
	v_pk_mov_b32 v[2:3], v[78:79], v[78:79] op_sel:[0,1]
.LBB29_151:                             ;   in Loop: Header=BB29_12 Depth=1
	s_or_b64 exec, exec, s[8:9]
	s_and_saveexec_b64 s[8:9], s[4:5]
	s_cbranch_execz .LBB29_153
; %bb.152:                              ;   in Loop: Header=BB29_12 Depth=1
	v_add_u32_e32 v73, 0, v129
	ds_write2_b32 v73, v2, v3 offset0:128 offset1:129
.LBB29_153:                             ;   in Loop: Header=BB29_12 Depth=1
	s_or_b64 exec, exec, s[8:9]
	s_waitcnt lgkmcnt(0)
	s_barrier
	s_and_saveexec_b64 s[8:9], s[2:3]
	s_xor_b64 s[8:9], exec, s[8:9]
	s_cbranch_execz .LBB29_155
; %bb.154:                              ;   in Loop: Header=BB29_12 Depth=1
	s_barrier
	s_waitcnt lgkmcnt(0)
                                        ; implicit-def: $vgpr35
                                        ; implicit-def: $vgpr39
.LBB29_155:                             ;   in Loop: Header=BB29_12 Depth=1
	s_andn2_saveexec_b64 s[8:9], s[8:9]
	s_cbranch_execz .LBB29_157
; %bb.156:                              ;   in Loop: Header=BB29_12 Depth=1
	v_add_u32_e32 v73, 0, v130
	ds_read_b64 v[2:3], v73 offset:512
	s_waitcnt lgkmcnt(0)
	s_barrier
	ds_bpermute_b32 v75, v35, v2
	v_max_f32_e32 v77, v2, v2
	s_waitcnt lgkmcnt(0)
	v_max_f32_e32 v75, v75, v75
	v_max_f32_e32 v75, v77, v75
	ds_bpermute_b32 v77, v39, v75
	s_waitcnt lgkmcnt(0)
	v_max_f32_e32 v77, v77, v77
	v_max_f32_e32 v75, v75, v77
	v_sub_f32_e32 v2, v2, v75
	v_mul_f32_e32 v75, 0x3fb8aa3b, v2
	v_fma_f32 v77, v2, s41, -v75
	v_rndne_f32_e32 v78, v75
	v_fmac_f32_e32 v77, 0x32a5705f, v2
	v_sub_f32_e32 v75, v75, v78
	v_add_f32_e32 v75, v75, v77
	v_cvt_i32_f32_e32 v78, v78
	v_exp_f32_e32 v75, v75
	v_cmp_ngt_f32_e32 vcc, s65, v2
	v_ldexp_f32 v75, v75, v78
	v_cndmask_b32_e32 v75, 0, v75, vcc
	v_cmp_nlt_f32_e32 vcc, s93, v2
	v_cndmask_b32_e32 v2, v190, v75, vcc
	v_mul_f32_e32 v75, v3, v2
	ds_bpermute_b32 v35, v35, v75
	s_waitcnt lgkmcnt(0)
	v_fmac_f32_e32 v35, v3, v2
	ds_bpermute_b32 v3, v39, v35
	s_waitcnt lgkmcnt(0)
	v_add_f32_e32 v3, v35, v3
	ds_write_b64 v73, v[2:3] offset:512
.LBB29_157:                             ;   in Loop: Header=BB29_12 Depth=1
	s_or_b64 exec, exec, s[8:9]
	ds_write2_b32 v131, v6, v1 offset1:1
	ds_write2_b32 v131, v8, v7 offset0:8 offset1:9
	ds_write2_b32 v131, v10, v9 offset0:16 offset1:17
	ds_write2_b32 v131, v12, v11 offset0:24 offset1:25
	ds_write2_b32 v131, v14, v13 offset0:32 offset1:33
	ds_write2_b32 v131, v16, v15 offset0:40 offset1:41
	ds_write2_b32 v131, v18, v17 offset0:48 offset1:49
	ds_write2_b32 v131, v20, v19 offset0:56 offset1:57
	ds_write2_b32 v131, v22, v21 offset0:64 offset1:65
	ds_write2_b32 v131, v24, v23 offset0:72 offset1:73
	ds_write2_b32 v131, v26, v25 offset0:80 offset1:81
	ds_write2_b32 v131, v28, v27 offset0:88 offset1:89
	ds_write2_b32 v131, v30, v29 offset0:96 offset1:97
	ds_write2_b32 v131, v32, v31 offset0:104 offset1:105
	ds_write2_b32 v131, v76, v33 offset0:112 offset1:113
	ds_write2_b32 v131, v4, v5 offset0:120 offset1:121
	s_waitcnt lgkmcnt(0)
	s_barrier
	s_and_saveexec_b64 s[70:71], s[0:1]
	s_cbranch_execz .LBB29_10
; %bb.158:                              ;   in Loop: Header=BB29_12 Depth=1
	v_add_u32_e32 v2, s74, v195
	v_or_b32_e32 v1, s7, v187
	v_cmp_gt_i32_e32 vcc, s28, v2
	v_cmp_gt_i32_e64 s[8:9], s33, v1
	s_and_b64 s[54:55], vcc, s[8:9]
	v_mov_b32_e32 v1, 0x47
	s_and_saveexec_b64 s[10:11], s[54:55]
	s_cbranch_execz .LBB29_160
; %bb.159:                              ;   in Loop: Header=BB29_12 Depth=1
	v_accvgpr_read_b32 v1, a9
	v_add_u32_e32 v1, 0, v1
	v_mul_lo_u32 v2, v2, s29
	v_add_lshl_u32 v5, v2, v187, 7
	ds_read2st64_b32 v[2:3], v1 offset0:35 offset1:68
	ds_read_b32 v4, v1 offset:25856
	ds_read2st64_b32 v[6:7], v132 offset0:33 offset1:66
	ds_read2st64_b32 v[8:9], v132 offset1:1
	ds_read_b32 v20, v132 offset:25344
	ds_read2_b32 v[12:13], v1 offset0:128 offset1:129
	ds_read_b32 v1, v134 offset:25344
	v_add_u32_e32 v10, v34, v5
	s_waitcnt lgkmcnt(4)
	v_cvt_f32_f16_sdwa v17, v6 dst_sel:DWORD dst_unused:UNUSED_PAD src0_sel:WORD_1
	s_waitcnt lgkmcnt(3)
	v_cvt_f32_f16_sdwa v15, v8 dst_sel:DWORD dst_unused:UNUSED_PAD src0_sel:WORD_1
	v_cvt_f32_f16_e32 v14, v8
	v_cvt_f32_f16_e32 v16, v6
	v_cvt_f32_f16_sdwa v19, v7 dst_sel:DWORD dst_unused:UNUSED_PAD src0_sel:WORD_1
	v_cvt_f32_f16_e32 v18, v7
	s_waitcnt lgkmcnt(2)
	v_cvt_f32_f16_sdwa v7, v20 dst_sel:DWORD dst_unused:UNUSED_PAD src0_sel:WORD_1
	v_cvt_f32_f16_e32 v6, v20
	s_waitcnt lgkmcnt(1)
	v_pk_fma_f32 v[14:15], v[12:13], v[14:15], 0 op_sel_hi:[0,1,0]
	v_pk_fma_f32 v[14:15], v[2:3], v[16:17], v[14:15] op_sel_hi:[0,1,1]
	v_mov_b32_e32 v8, v3
	v_pk_fma_f32 v[14:15], v[8:9], v[18:19], v[14:15] op_sel_hi:[0,1,1]
	v_pk_fma_f32 v[6:7], v[4:5], v[6:7], v[14:15] op_sel_hi:[0,1,1]
	v_div_scale_f32 v3, s[54:55], v13, v13, v7
	v_rcp_f32_e32 v14, v3
	v_ashrrev_i32_e32 v11, 31, v10
	v_lshlrev_b64 v[10:11], 3, v[10:11]
	v_mov_b32_e32 v21, s64
	v_add_co_u32_e32 v10, vcc, s57, v10
	v_addc_co_u32_e32 v11, vcc, v21, v11, vcc
	v_fma_f32 v15, -v3, v14, 1.0
	v_fmac_f32_e32 v14, v15, v14
	v_div_scale_f32 v15, vcc, v7, v13, v7
	v_mul_f32_e32 v16, v15, v14
	v_fma_f32 v17, -v3, v16, v15
	v_fmac_f32_e32 v16, v17, v14
	v_fma_f32 v3, -v3, v16, v15
	v_div_scale_f32 v15, s[54:55], v13, v13, v6
	v_rcp_f32_e32 v17, v15
	v_div_fmas_f32 v3, v3, v14, v16
	v_div_fixup_f32 v7, v3, v13, v7
	v_fma_f32 v3, -v15, v17, 1.0
	v_fmac_f32_e32 v17, v3, v17
	v_div_scale_f32 v3, vcc, v6, v13, v6
	v_mul_f32_e32 v14, v3, v17
	v_fma_f32 v16, -v15, v14, v3
	v_fmac_f32_e32 v14, v16, v17
	v_fma_f32 v3, -v15, v14, v3
	v_div_fmas_f32 v3, v3, v17, v14
	v_div_fixup_f32 v6, v3, v13, v6
	global_store_dwordx2 v[10:11], v[6:7], off
	ds_read2st64_b32 v[6:7], v134 offset0:33 offset1:66
	v_cvt_f32_f16_sdwa v15, v9 dst_sel:DWORD dst_unused:UNUSED_PAD src0_sel:WORD_1
	v_cvt_f32_f16_e32 v14, v9
	v_ashrrev_i32_e32 v3, 31, v5
	v_add_co_u32_e32 v10, vcc, v34, v5
	s_waitcnt lgkmcnt(0)
	v_cvt_f32_f16_sdwa v17, v6 dst_sel:DWORD dst_unused:UNUSED_PAD src0_sel:WORD_1
	v_cvt_f32_f16_e32 v16, v6
	v_cvt_f32_f16_sdwa v19, v7 dst_sel:DWORD dst_unused:UNUSED_PAD src0_sel:WORD_1
	v_cvt_f32_f16_e32 v18, v7
	;; [unrolled: 2-line block ×3, first 2 shown]
	v_pk_fma_f32 v[14:15], v[12:13], v[14:15], 0 op_sel_hi:[0,1,0]
	v_addc_co_u32_e32 v11, vcc, 0, v3, vcc
	v_pk_fma_f32 v[2:3], v[2:3], v[16:17], v[14:15] op_sel_hi:[0,1,1]
	v_mov_b32_e32 v5, s64
	v_pk_fma_f32 v[2:3], v[8:9], v[18:19], v[2:3] op_sel_hi:[0,1,1]
	v_pk_fma_f32 v[2:3], v[4:5], v[6:7], v[2:3] op_sel_hi:[0,1,1]
	v_div_scale_f32 v1, s[54:55], v13, v13, v3
	v_rcp_f32_e32 v6, v1
	v_lshlrev_b64 v[10:11], 3, v[10:11]
	v_add_co_u32_e32 v4, vcc, s57, v10
	v_addc_co_u32_e32 v5, vcc, v5, v11, vcc
	v_fma_f32 v7, -v1, v6, 1.0
	v_fmac_f32_e32 v6, v7, v6
	v_div_scale_f32 v7, vcc, v3, v13, v3
	v_mul_f32_e32 v8, v7, v6
	v_fma_f32 v9, -v1, v8, v7
	v_fmac_f32_e32 v8, v9, v6
	v_fma_f32 v1, -v1, v8, v7
	v_div_scale_f32 v7, s[54:55], v13, v13, v2
	v_rcp_f32_e32 v9, v7
	v_div_fmas_f32 v1, v1, v6, v8
	v_div_fixup_f32 v3, v1, v13, v3
	v_fma_f32 v1, -v7, v9, 1.0
	v_fmac_f32_e32 v9, v1, v9
	v_div_scale_f32 v1, vcc, v2, v13, v2
	v_mul_f32_e32 v6, v1, v9
	v_fma_f32 v8, -v7, v6, v1
	v_fmac_f32_e32 v6, v8, v9
	v_fma_f32 v1, -v7, v6, v1
	v_div_fmas_f32 v1, v1, v9, v6
	v_div_fixup_f32 v2, v1, v13, v2
	v_mov_b32_e32 v1, 0
	global_store_dwordx2 v[4:5], v[2:3], off offset:512
.LBB29_160:                             ;   in Loop: Header=BB29_12 Depth=1
	s_or_b64 exec, exec, s[10:11]
	s_movk_i32 s6, 0x47
	v_cmp_gt_i32_e32 vcc, s6, v1
	s_mov_b64 s[10:11], -1
	s_and_saveexec_b64 s[72:73], vcc
; %bb.161:                              ;   in Loop: Header=BB29_12 Depth=1
	v_cmp_eq_u32_e32 vcc, 0, v1
	s_orn2_b64 s[10:11], vcc, exec
; %bb.162:                              ;   in Loop: Header=BB29_12 Depth=1
	s_or_b64 exec, exec, s[72:73]
	s_and_b64 exec, exec, s[10:11]
	s_cbranch_execz .LBB29_10
; %bb.163:                              ;   in Loop: Header=BB29_12 Depth=1
	v_add_u32_e32 v2, s74, v135
	v_or_b32_e32 v1, s7, v115
	v_cmp_gt_i32_e32 vcc, s28, v2
	v_cmp_gt_i32_e64 s[10:11], s33, v1
	s_and_b64 s[54:55], vcc, s[10:11]
	v_mov_b32_e32 v1, 0x47
	s_and_saveexec_b64 s[10:11], s[54:55]
	s_cbranch_execz .LBB29_165
; %bb.164:                              ;   in Loop: Header=BB29_12 Depth=1
	v_accvgpr_read_b32 v1, a10
	v_add_u32_e32 v1, 0, v1
	v_mul_lo_u32 v2, v2, s29
	v_add_lshl_u32 v5, v2, v115, 7
	ds_read2st64_b32 v[2:3], v1 offset0:35 offset1:68
	ds_read_b32 v4, v1 offset:25856
	ds_read2st64_b32 v[6:7], v133 offset0:33 offset1:66
	ds_read2st64_b32 v[8:9], v133 offset1:1
	ds_read_b32 v20, v133 offset:25344
	ds_read2_b32 v[12:13], v1 offset0:128 offset1:129
	ds_read_b32 v1, v139 offset:25344
	v_add_u32_e32 v10, v34, v5
	s_waitcnt lgkmcnt(4)
	v_cvt_f32_f16_sdwa v17, v6 dst_sel:DWORD dst_unused:UNUSED_PAD src0_sel:WORD_1
	s_waitcnt lgkmcnt(3)
	v_cvt_f32_f16_sdwa v15, v8 dst_sel:DWORD dst_unused:UNUSED_PAD src0_sel:WORD_1
	v_cvt_f32_f16_e32 v14, v8
	v_cvt_f32_f16_e32 v16, v6
	v_cvt_f32_f16_sdwa v19, v7 dst_sel:DWORD dst_unused:UNUSED_PAD src0_sel:WORD_1
	v_cvt_f32_f16_e32 v18, v7
	s_waitcnt lgkmcnt(2)
	v_cvt_f32_f16_sdwa v7, v20 dst_sel:DWORD dst_unused:UNUSED_PAD src0_sel:WORD_1
	v_cvt_f32_f16_e32 v6, v20
	s_waitcnt lgkmcnt(1)
	v_pk_fma_f32 v[14:15], v[12:13], v[14:15], 0 op_sel_hi:[0,1,0]
	v_pk_fma_f32 v[14:15], v[2:3], v[16:17], v[14:15] op_sel_hi:[0,1,1]
	v_mov_b32_e32 v8, v3
	v_pk_fma_f32 v[14:15], v[8:9], v[18:19], v[14:15] op_sel_hi:[0,1,1]
	v_pk_fma_f32 v[6:7], v[4:5], v[6:7], v[14:15] op_sel_hi:[0,1,1]
	v_div_scale_f32 v3, s[54:55], v13, v13, v7
	v_rcp_f32_e32 v14, v3
	v_ashrrev_i32_e32 v11, 31, v10
	v_lshlrev_b64 v[10:11], 3, v[10:11]
	v_mov_b32_e32 v21, s64
	v_add_co_u32_e32 v10, vcc, s57, v10
	v_addc_co_u32_e32 v11, vcc, v21, v11, vcc
	v_fma_f32 v15, -v3, v14, 1.0
	v_fmac_f32_e32 v14, v15, v14
	v_div_scale_f32 v15, vcc, v7, v13, v7
	v_mul_f32_e32 v16, v15, v14
	v_fma_f32 v17, -v3, v16, v15
	v_fmac_f32_e32 v16, v17, v14
	v_fma_f32 v3, -v3, v16, v15
	v_div_scale_f32 v15, s[54:55], v13, v13, v6
	v_rcp_f32_e32 v17, v15
	v_div_fmas_f32 v3, v3, v14, v16
	v_div_fixup_f32 v7, v3, v13, v7
	v_fma_f32 v3, -v15, v17, 1.0
	v_fmac_f32_e32 v17, v3, v17
	v_div_scale_f32 v3, vcc, v6, v13, v6
	v_mul_f32_e32 v14, v3, v17
	v_fma_f32 v16, -v15, v14, v3
	v_fmac_f32_e32 v14, v16, v17
	v_fma_f32 v3, -v15, v14, v3
	v_div_fmas_f32 v3, v3, v17, v14
	v_div_fixup_f32 v6, v3, v13, v6
	global_store_dwordx2 v[10:11], v[6:7], off
	ds_read2st64_b32 v[6:7], v139 offset0:33 offset1:66
	v_cvt_f32_f16_sdwa v15, v9 dst_sel:DWORD dst_unused:UNUSED_PAD src0_sel:WORD_1
	v_cvt_f32_f16_e32 v14, v9
	v_ashrrev_i32_e32 v3, 31, v5
	v_add_co_u32_e32 v10, vcc, v34, v5
	s_waitcnt lgkmcnt(0)
	v_cvt_f32_f16_sdwa v17, v6 dst_sel:DWORD dst_unused:UNUSED_PAD src0_sel:WORD_1
	v_cvt_f32_f16_e32 v16, v6
	v_cvt_f32_f16_sdwa v19, v7 dst_sel:DWORD dst_unused:UNUSED_PAD src0_sel:WORD_1
	v_cvt_f32_f16_e32 v18, v7
	;; [unrolled: 2-line block ×3, first 2 shown]
	v_pk_fma_f32 v[14:15], v[12:13], v[14:15], 0 op_sel_hi:[0,1,0]
	v_addc_co_u32_e32 v11, vcc, 0, v3, vcc
	v_pk_fma_f32 v[2:3], v[2:3], v[16:17], v[14:15] op_sel_hi:[0,1,1]
	v_mov_b32_e32 v5, s64
	v_pk_fma_f32 v[2:3], v[8:9], v[18:19], v[2:3] op_sel_hi:[0,1,1]
	v_pk_fma_f32 v[2:3], v[4:5], v[6:7], v[2:3] op_sel_hi:[0,1,1]
	v_div_scale_f32 v1, s[54:55], v13, v13, v3
	v_rcp_f32_e32 v6, v1
	v_lshlrev_b64 v[10:11], 3, v[10:11]
	v_add_co_u32_e32 v4, vcc, s57, v10
	v_addc_co_u32_e32 v5, vcc, v5, v11, vcc
	v_fma_f32 v7, -v1, v6, 1.0
	v_fmac_f32_e32 v6, v7, v6
	v_div_scale_f32 v7, vcc, v3, v13, v3
	v_mul_f32_e32 v8, v7, v6
	v_fma_f32 v9, -v1, v8, v7
	v_fmac_f32_e32 v8, v9, v6
	v_fma_f32 v1, -v1, v8, v7
	v_div_scale_f32 v7, s[54:55], v13, v13, v2
	v_rcp_f32_e32 v9, v7
	v_div_fmas_f32 v1, v1, v6, v8
	v_div_fixup_f32 v3, v1, v13, v3
	v_fma_f32 v1, -v7, v9, 1.0
	v_fmac_f32_e32 v9, v1, v9
	v_div_scale_f32 v1, vcc, v2, v13, v2
	v_mul_f32_e32 v6, v1, v9
	v_fma_f32 v8, -v7, v6, v1
	v_fmac_f32_e32 v6, v8, v9
	v_fma_f32 v1, -v7, v6, v1
	v_div_fmas_f32 v1, v1, v9, v6
	v_div_fixup_f32 v2, v1, v13, v2
	v_mov_b32_e32 v1, 0
	global_store_dwordx2 v[4:5], v[2:3], off offset:512
.LBB29_165:                             ;   in Loop: Header=BB29_12 Depth=1
	s_or_b64 exec, exec, s[10:11]
	v_cmp_gt_i32_e32 vcc, s6, v1
	s_mov_b64 s[10:11], -1
	s_and_saveexec_b64 s[72:73], vcc
; %bb.166:                              ;   in Loop: Header=BB29_12 Depth=1
	v_cmp_eq_u32_e32 vcc, 0, v1
	s_orn2_b64 s[10:11], vcc, exec
; %bb.167:                              ;   in Loop: Header=BB29_12 Depth=1
	s_or_b64 exec, exec, s[72:73]
	s_and_b64 exec, exec, s[10:11]
	s_cbranch_execz .LBB29_10
; %bb.168:                              ;   in Loop: Header=BB29_12 Depth=1
	v_accvgpr_read_b32 v1, a11
	v_add_u32_e32 v2, s74, v1
	v_cmp_gt_i32_e32 vcc, s28, v2
	s_and_b64 s[54:55], vcc, s[8:9]
	v_mov_b32_e32 v1, 0x47
	s_and_saveexec_b64 s[10:11], s[54:55]
	s_cbranch_execz .LBB29_170
; %bb.169:                              ;   in Loop: Header=BB29_12 Depth=1
	v_accvgpr_read_b32 v1, a13
	v_add_u32_e32 v1, 0, v1
	v_mul_lo_u32 v2, v2, s29
	v_accvgpr_read_b32 v10, a12
	v_add_lshl_u32 v5, v2, v187, 7
	ds_read2st64_b32 v[2:3], v1 offset0:35 offset1:68
	ds_read_b32 v4, v1 offset:25856
	ds_read2st64_b32 v[6:7], v10 offset0:33 offset1:66
	ds_read2st64_b32 v[8:9], v10 offset1:1
	ds_read_b32 v20, v10 offset:25344
	ds_read2_b32 v[12:13], v1 offset0:128 offset1:129
	v_add_u32_e32 v10, v34, v5
	s_waitcnt lgkmcnt(3)
	v_cvt_f32_f16_sdwa v17, v6 dst_sel:DWORD dst_unused:UNUSED_PAD src0_sel:WORD_1
	s_waitcnt lgkmcnt(2)
	v_cvt_f32_f16_sdwa v15, v8 dst_sel:DWORD dst_unused:UNUSED_PAD src0_sel:WORD_1
	v_cvt_f32_f16_e32 v14, v8
	v_cvt_f32_f16_e32 v16, v6
	v_cvt_f32_f16_sdwa v19, v7 dst_sel:DWORD dst_unused:UNUSED_PAD src0_sel:WORD_1
	v_cvt_f32_f16_e32 v18, v7
	s_waitcnt lgkmcnt(1)
	v_cvt_f32_f16_sdwa v7, v20 dst_sel:DWORD dst_unused:UNUSED_PAD src0_sel:WORD_1
	v_cvt_f32_f16_e32 v6, v20
	s_waitcnt lgkmcnt(0)
	v_pk_fma_f32 v[14:15], v[12:13], v[14:15], 0 op_sel_hi:[0,1,0]
	v_pk_fma_f32 v[14:15], v[2:3], v[16:17], v[14:15] op_sel_hi:[0,1,1]
	v_mov_b32_e32 v8, v3
	v_pk_fma_f32 v[14:15], v[8:9], v[18:19], v[14:15] op_sel_hi:[0,1,1]
	v_pk_fma_f32 v[6:7], v[4:5], v[6:7], v[14:15] op_sel_hi:[0,1,1]
	v_div_scale_f32 v3, s[54:55], v13, v13, v7
	v_rcp_f32_e32 v14, v3
	v_ashrrev_i32_e32 v11, 31, v10
	v_lshlrev_b64 v[10:11], 3, v[10:11]
	v_mov_b32_e32 v21, s64
	v_add_co_u32_e32 v10, vcc, s57, v10
	v_addc_co_u32_e32 v11, vcc, v21, v11, vcc
	v_fma_f32 v15, -v3, v14, 1.0
	v_fmac_f32_e32 v14, v15, v14
	v_div_scale_f32 v15, vcc, v7, v13, v7
	v_mul_f32_e32 v16, v15, v14
	v_fma_f32 v17, -v3, v16, v15
	v_fmac_f32_e32 v16, v17, v14
	v_fma_f32 v3, -v3, v16, v15
	v_div_scale_f32 v15, s[54:55], v13, v13, v6
	v_rcp_f32_e32 v17, v15
	v_div_fmas_f32 v3, v3, v14, v16
	v_div_fixup_f32 v7, v3, v13, v7
	v_accvgpr_read_b32 v22, a14
	v_fma_f32 v3, -v15, v17, 1.0
	v_fmac_f32_e32 v17, v3, v17
	v_div_scale_f32 v3, vcc, v6, v13, v6
	v_mul_f32_e32 v14, v3, v17
	v_fma_f32 v16, -v15, v14, v3
	v_fmac_f32_e32 v14, v16, v17
	v_fma_f32 v3, -v15, v14, v3
	v_div_fmas_f32 v3, v3, v17, v14
	v_div_fixup_f32 v6, v3, v13, v6
	global_store_dwordx2 v[10:11], v[6:7], off
	ds_read2st64_b32 v[6:7], v22 offset0:33 offset1:66
	ds_read_b32 v1, v22 offset:25344
	v_cvt_f32_f16_sdwa v15, v9 dst_sel:DWORD dst_unused:UNUSED_PAD src0_sel:WORD_1
	v_cvt_f32_f16_e32 v14, v9
	v_ashrrev_i32_e32 v3, 31, v5
	s_waitcnt lgkmcnt(1)
	v_cvt_f32_f16_sdwa v17, v6 dst_sel:DWORD dst_unused:UNUSED_PAD src0_sel:WORD_1
	v_cvt_f32_f16_e32 v16, v6
	v_cvt_f32_f16_sdwa v19, v7 dst_sel:DWORD dst_unused:UNUSED_PAD src0_sel:WORD_1
	v_cvt_f32_f16_e32 v18, v7
	s_waitcnt lgkmcnt(0)
	v_cvt_f32_f16_sdwa v7, v1 dst_sel:DWORD dst_unused:UNUSED_PAD src0_sel:WORD_1
	v_cvt_f32_f16_e32 v6, v1
	v_add_co_u32_e32 v10, vcc, v34, v5
	v_pk_fma_f32 v[14:15], v[12:13], v[14:15], 0 op_sel_hi:[0,1,0]
	v_addc_co_u32_e32 v11, vcc, 0, v3, vcc
	v_pk_fma_f32 v[2:3], v[2:3], v[16:17], v[14:15] op_sel_hi:[0,1,1]
	v_mov_b32_e32 v5, s64
	v_pk_fma_f32 v[2:3], v[8:9], v[18:19], v[2:3] op_sel_hi:[0,1,1]
	v_pk_fma_f32 v[2:3], v[4:5], v[6:7], v[2:3] op_sel_hi:[0,1,1]
	v_div_scale_f32 v1, s[54:55], v13, v13, v3
	v_rcp_f32_e32 v6, v1
	v_lshlrev_b64 v[10:11], 3, v[10:11]
	v_add_co_u32_e32 v4, vcc, s57, v10
	v_addc_co_u32_e32 v5, vcc, v5, v11, vcc
	v_fma_f32 v7, -v1, v6, 1.0
	v_fmac_f32_e32 v6, v7, v6
	v_div_scale_f32 v7, vcc, v3, v13, v3
	v_mul_f32_e32 v8, v7, v6
	v_fma_f32 v9, -v1, v8, v7
	v_fmac_f32_e32 v8, v9, v6
	v_fma_f32 v1, -v1, v8, v7
	v_div_scale_f32 v7, s[54:55], v13, v13, v2
	v_rcp_f32_e32 v9, v7
	v_div_fmas_f32 v1, v1, v6, v8
	v_div_fixup_f32 v3, v1, v13, v3
	v_fma_f32 v1, -v7, v9, 1.0
	v_fmac_f32_e32 v9, v1, v9
	v_div_scale_f32 v1, vcc, v2, v13, v2
	v_mul_f32_e32 v6, v1, v9
	v_fma_f32 v8, -v7, v6, v1
	v_fmac_f32_e32 v6, v8, v9
	v_fma_f32 v1, -v7, v6, v1
	v_div_fmas_f32 v1, v1, v9, v6
	v_div_fixup_f32 v2, v1, v13, v2
	v_mov_b32_e32 v1, 0
	global_store_dwordx2 v[4:5], v[2:3], off offset:512
.LBB29_170:                             ;   in Loop: Header=BB29_12 Depth=1
	s_or_b64 exec, exec, s[10:11]
	v_cmp_gt_i32_e32 vcc, s6, v1
	s_mov_b64 s[10:11], -1
	s_and_saveexec_b64 s[72:73], vcc
; %bb.171:                              ;   in Loop: Header=BB29_12 Depth=1
	v_cmp_eq_u32_e32 vcc, 0, v1
	s_orn2_b64 s[10:11], vcc, exec
; %bb.172:                              ;   in Loop: Header=BB29_12 Depth=1
	s_or_b64 exec, exec, s[72:73]
	s_and_b64 exec, exec, s[10:11]
	s_cbranch_execz .LBB29_10
; %bb.173:                              ;   in Loop: Header=BB29_12 Depth=1
	v_accvgpr_read_b32 v1, a15
	v_add_u32_e32 v2, s74, v1
	v_accvgpr_read_b32 v1, a16
	v_or_b32_e32 v1, s7, v1
	v_cmp_gt_i32_e32 vcc, s28, v2
	v_cmp_gt_i32_e64 s[10:11], s33, v1
	s_and_b64 s[54:55], vcc, s[10:11]
	v_mov_b32_e32 v1, 0x47
	s_and_saveexec_b64 s[10:11], s[54:55]
	s_cbranch_execz .LBB29_175
; %bb.174:                              ;   in Loop: Header=BB29_12 Depth=1
	v_accvgpr_read_b32 v1, a18
	v_add_u32_e32 v1, 0, v1
	v_mul_lo_u32 v2, v2, s29
	v_accvgpr_read_b32 v3, a16
	v_accvgpr_read_b32 v10, a17
	v_add_lshl_u32 v5, v2, v3, 7
	ds_read2st64_b32 v[2:3], v1 offset0:35 offset1:68
	ds_read_b32 v4, v1 offset:25856
	ds_read2st64_b32 v[6:7], v10 offset0:33 offset1:66
	ds_read2st64_b32 v[8:9], v10 offset1:1
	ds_read_b32 v20, v10 offset:25344
	ds_read2_b32 v[12:13], v1 offset0:128 offset1:129
	v_add_u32_e32 v10, v34, v5
	s_waitcnt lgkmcnt(3)
	v_cvt_f32_f16_sdwa v17, v6 dst_sel:DWORD dst_unused:UNUSED_PAD src0_sel:WORD_1
	s_waitcnt lgkmcnt(2)
	v_cvt_f32_f16_sdwa v15, v8 dst_sel:DWORD dst_unused:UNUSED_PAD src0_sel:WORD_1
	v_cvt_f32_f16_e32 v14, v8
	v_cvt_f32_f16_e32 v16, v6
	v_cvt_f32_f16_sdwa v19, v7 dst_sel:DWORD dst_unused:UNUSED_PAD src0_sel:WORD_1
	v_cvt_f32_f16_e32 v18, v7
	s_waitcnt lgkmcnt(1)
	v_cvt_f32_f16_sdwa v7, v20 dst_sel:DWORD dst_unused:UNUSED_PAD src0_sel:WORD_1
	v_cvt_f32_f16_e32 v6, v20
	s_waitcnt lgkmcnt(0)
	v_pk_fma_f32 v[14:15], v[12:13], v[14:15], 0 op_sel_hi:[0,1,0]
	v_pk_fma_f32 v[14:15], v[2:3], v[16:17], v[14:15] op_sel_hi:[0,1,1]
	v_mov_b32_e32 v8, v3
	v_pk_fma_f32 v[14:15], v[8:9], v[18:19], v[14:15] op_sel_hi:[0,1,1]
	v_pk_fma_f32 v[6:7], v[4:5], v[6:7], v[14:15] op_sel_hi:[0,1,1]
	v_div_scale_f32 v3, s[54:55], v13, v13, v7
	v_rcp_f32_e32 v14, v3
	v_ashrrev_i32_e32 v11, 31, v10
	v_lshlrev_b64 v[10:11], 3, v[10:11]
	v_mov_b32_e32 v21, s64
	v_add_co_u32_e32 v10, vcc, s57, v10
	v_addc_co_u32_e32 v11, vcc, v21, v11, vcc
	v_fma_f32 v15, -v3, v14, 1.0
	v_fmac_f32_e32 v14, v15, v14
	v_div_scale_f32 v15, vcc, v7, v13, v7
	v_mul_f32_e32 v16, v15, v14
	v_fma_f32 v17, -v3, v16, v15
	v_fmac_f32_e32 v16, v17, v14
	v_fma_f32 v3, -v3, v16, v15
	v_div_scale_f32 v15, s[54:55], v13, v13, v6
	v_rcp_f32_e32 v17, v15
	v_div_fmas_f32 v3, v3, v14, v16
	v_div_fixup_f32 v7, v3, v13, v7
	v_accvgpr_read_b32 v22, a19
	v_fma_f32 v3, -v15, v17, 1.0
	v_fmac_f32_e32 v17, v3, v17
	v_div_scale_f32 v3, vcc, v6, v13, v6
	v_mul_f32_e32 v14, v3, v17
	v_fma_f32 v16, -v15, v14, v3
	v_fmac_f32_e32 v14, v16, v17
	v_fma_f32 v3, -v15, v14, v3
	v_div_fmas_f32 v3, v3, v17, v14
	v_div_fixup_f32 v6, v3, v13, v6
	global_store_dwordx2 v[10:11], v[6:7], off
	ds_read2st64_b32 v[6:7], v22 offset0:33 offset1:66
	ds_read_b32 v1, v22 offset:25344
	v_cvt_f32_f16_sdwa v15, v9 dst_sel:DWORD dst_unused:UNUSED_PAD src0_sel:WORD_1
	v_cvt_f32_f16_e32 v14, v9
	v_ashrrev_i32_e32 v3, 31, v5
	s_waitcnt lgkmcnt(1)
	v_cvt_f32_f16_sdwa v17, v6 dst_sel:DWORD dst_unused:UNUSED_PAD src0_sel:WORD_1
	v_cvt_f32_f16_e32 v16, v6
	v_cvt_f32_f16_sdwa v19, v7 dst_sel:DWORD dst_unused:UNUSED_PAD src0_sel:WORD_1
	v_cvt_f32_f16_e32 v18, v7
	s_waitcnt lgkmcnt(0)
	v_cvt_f32_f16_sdwa v7, v1 dst_sel:DWORD dst_unused:UNUSED_PAD src0_sel:WORD_1
	v_cvt_f32_f16_e32 v6, v1
	v_add_co_u32_e32 v10, vcc, v34, v5
	v_pk_fma_f32 v[14:15], v[12:13], v[14:15], 0 op_sel_hi:[0,1,0]
	v_addc_co_u32_e32 v11, vcc, 0, v3, vcc
	v_pk_fma_f32 v[2:3], v[2:3], v[16:17], v[14:15] op_sel_hi:[0,1,1]
	v_mov_b32_e32 v5, s64
	v_pk_fma_f32 v[2:3], v[8:9], v[18:19], v[2:3] op_sel_hi:[0,1,1]
	v_pk_fma_f32 v[2:3], v[4:5], v[6:7], v[2:3] op_sel_hi:[0,1,1]
	v_div_scale_f32 v1, s[54:55], v13, v13, v3
	v_rcp_f32_e32 v6, v1
	v_lshlrev_b64 v[10:11], 3, v[10:11]
	v_add_co_u32_e32 v4, vcc, s57, v10
	v_addc_co_u32_e32 v5, vcc, v5, v11, vcc
	v_fma_f32 v7, -v1, v6, 1.0
	v_fmac_f32_e32 v6, v7, v6
	v_div_scale_f32 v7, vcc, v3, v13, v3
	v_mul_f32_e32 v8, v7, v6
	v_fma_f32 v9, -v1, v8, v7
	v_fmac_f32_e32 v8, v9, v6
	v_fma_f32 v1, -v1, v8, v7
	v_div_scale_f32 v7, s[54:55], v13, v13, v2
	v_rcp_f32_e32 v9, v7
	v_div_fmas_f32 v1, v1, v6, v8
	v_div_fixup_f32 v3, v1, v13, v3
	v_fma_f32 v1, -v7, v9, 1.0
	v_fmac_f32_e32 v9, v1, v9
	v_div_scale_f32 v1, vcc, v2, v13, v2
	v_mul_f32_e32 v6, v1, v9
	v_fma_f32 v8, -v7, v6, v1
	v_fmac_f32_e32 v6, v8, v9
	v_fma_f32 v1, -v7, v6, v1
	v_div_fmas_f32 v1, v1, v9, v6
	v_div_fixup_f32 v2, v1, v13, v2
	v_mov_b32_e32 v1, 0
	global_store_dwordx2 v[4:5], v[2:3], off offset:512
.LBB29_175:                             ;   in Loop: Header=BB29_12 Depth=1
	s_or_b64 exec, exec, s[10:11]
	v_cmp_gt_i32_e32 vcc, s6, v1
	s_mov_b64 s[10:11], -1
	s_and_saveexec_b64 s[72:73], vcc
; %bb.176:                              ;   in Loop: Header=BB29_12 Depth=1
	v_cmp_eq_u32_e32 vcc, 0, v1
	s_orn2_b64 s[10:11], vcc, exec
; %bb.177:                              ;   in Loop: Header=BB29_12 Depth=1
	s_or_b64 exec, exec, s[72:73]
	s_and_b64 exec, exec, s[10:11]
	s_cbranch_execz .LBB29_10
; %bb.178:                              ;   in Loop: Header=BB29_12 Depth=1
	v_accvgpr_read_b32 v1, a20
	v_add_u32_e32 v2, s74, v1
	v_cmp_gt_i32_e32 vcc, s28, v2
	s_and_b64 s[54:55], vcc, s[8:9]
	v_mov_b32_e32 v1, 0x47
	s_and_saveexec_b64 s[10:11], s[54:55]
	s_cbranch_execz .LBB29_180
; %bb.179:                              ;   in Loop: Header=BB29_12 Depth=1
	v_accvgpr_read_b32 v1, a22
	v_add_u32_e32 v1, 0, v1
	v_mul_lo_u32 v2, v2, s29
	v_accvgpr_read_b32 v10, a21
	v_add_lshl_u32 v5, v2, v187, 7
	ds_read2st64_b32 v[2:3], v1 offset0:35 offset1:68
	ds_read_b32 v4, v1 offset:25856
	ds_read2st64_b32 v[6:7], v10 offset0:33 offset1:66
	ds_read2st64_b32 v[8:9], v10 offset1:1
	ds_read_b32 v20, v10 offset:25344
	ds_read2_b32 v[12:13], v1 offset0:128 offset1:129
	v_add_u32_e32 v10, v34, v5
	s_waitcnt lgkmcnt(3)
	v_cvt_f32_f16_sdwa v17, v6 dst_sel:DWORD dst_unused:UNUSED_PAD src0_sel:WORD_1
	s_waitcnt lgkmcnt(2)
	v_cvt_f32_f16_sdwa v15, v8 dst_sel:DWORD dst_unused:UNUSED_PAD src0_sel:WORD_1
	v_cvt_f32_f16_e32 v14, v8
	v_cvt_f32_f16_e32 v16, v6
	v_cvt_f32_f16_sdwa v19, v7 dst_sel:DWORD dst_unused:UNUSED_PAD src0_sel:WORD_1
	v_cvt_f32_f16_e32 v18, v7
	s_waitcnt lgkmcnt(1)
	v_cvt_f32_f16_sdwa v7, v20 dst_sel:DWORD dst_unused:UNUSED_PAD src0_sel:WORD_1
	v_cvt_f32_f16_e32 v6, v20
	s_waitcnt lgkmcnt(0)
	v_pk_fma_f32 v[14:15], v[12:13], v[14:15], 0 op_sel_hi:[0,1,0]
	v_pk_fma_f32 v[14:15], v[2:3], v[16:17], v[14:15] op_sel_hi:[0,1,1]
	v_mov_b32_e32 v8, v3
	v_pk_fma_f32 v[14:15], v[8:9], v[18:19], v[14:15] op_sel_hi:[0,1,1]
	v_pk_fma_f32 v[6:7], v[4:5], v[6:7], v[14:15] op_sel_hi:[0,1,1]
	v_div_scale_f32 v3, s[54:55], v13, v13, v7
	v_rcp_f32_e32 v14, v3
	v_ashrrev_i32_e32 v11, 31, v10
	v_lshlrev_b64 v[10:11], 3, v[10:11]
	v_mov_b32_e32 v21, s64
	v_add_co_u32_e32 v10, vcc, s57, v10
	v_addc_co_u32_e32 v11, vcc, v21, v11, vcc
	v_fma_f32 v15, -v3, v14, 1.0
	v_fmac_f32_e32 v14, v15, v14
	v_div_scale_f32 v15, vcc, v7, v13, v7
	v_mul_f32_e32 v16, v15, v14
	v_fma_f32 v17, -v3, v16, v15
	v_fmac_f32_e32 v16, v17, v14
	v_fma_f32 v3, -v3, v16, v15
	v_div_scale_f32 v15, s[54:55], v13, v13, v6
	v_rcp_f32_e32 v17, v15
	v_div_fmas_f32 v3, v3, v14, v16
	v_div_fixup_f32 v7, v3, v13, v7
	v_accvgpr_read_b32 v22, a23
	v_fma_f32 v3, -v15, v17, 1.0
	v_fmac_f32_e32 v17, v3, v17
	v_div_scale_f32 v3, vcc, v6, v13, v6
	v_mul_f32_e32 v14, v3, v17
	v_fma_f32 v16, -v15, v14, v3
	v_fmac_f32_e32 v14, v16, v17
	v_fma_f32 v3, -v15, v14, v3
	v_div_fmas_f32 v3, v3, v17, v14
	v_div_fixup_f32 v6, v3, v13, v6
	global_store_dwordx2 v[10:11], v[6:7], off
	ds_read2st64_b32 v[6:7], v22 offset0:33 offset1:66
	ds_read_b32 v1, v22 offset:25344
	v_cvt_f32_f16_sdwa v15, v9 dst_sel:DWORD dst_unused:UNUSED_PAD src0_sel:WORD_1
	v_cvt_f32_f16_e32 v14, v9
	v_ashrrev_i32_e32 v3, 31, v5
	s_waitcnt lgkmcnt(1)
	v_cvt_f32_f16_sdwa v17, v6 dst_sel:DWORD dst_unused:UNUSED_PAD src0_sel:WORD_1
	v_cvt_f32_f16_e32 v16, v6
	v_cvt_f32_f16_sdwa v19, v7 dst_sel:DWORD dst_unused:UNUSED_PAD src0_sel:WORD_1
	v_cvt_f32_f16_e32 v18, v7
	s_waitcnt lgkmcnt(0)
	v_cvt_f32_f16_sdwa v7, v1 dst_sel:DWORD dst_unused:UNUSED_PAD src0_sel:WORD_1
	v_cvt_f32_f16_e32 v6, v1
	v_add_co_u32_e32 v10, vcc, v34, v5
	v_pk_fma_f32 v[14:15], v[12:13], v[14:15], 0 op_sel_hi:[0,1,0]
	v_addc_co_u32_e32 v11, vcc, 0, v3, vcc
	v_pk_fma_f32 v[2:3], v[2:3], v[16:17], v[14:15] op_sel_hi:[0,1,1]
	v_mov_b32_e32 v5, s64
	v_pk_fma_f32 v[2:3], v[8:9], v[18:19], v[2:3] op_sel_hi:[0,1,1]
	v_pk_fma_f32 v[2:3], v[4:5], v[6:7], v[2:3] op_sel_hi:[0,1,1]
	v_div_scale_f32 v1, s[54:55], v13, v13, v3
	v_rcp_f32_e32 v6, v1
	v_lshlrev_b64 v[10:11], 3, v[10:11]
	v_add_co_u32_e32 v4, vcc, s57, v10
	v_addc_co_u32_e32 v5, vcc, v5, v11, vcc
	v_fma_f32 v7, -v1, v6, 1.0
	v_fmac_f32_e32 v6, v7, v6
	v_div_scale_f32 v7, vcc, v3, v13, v3
	v_mul_f32_e32 v8, v7, v6
	v_fma_f32 v9, -v1, v8, v7
	v_fmac_f32_e32 v8, v9, v6
	v_fma_f32 v1, -v1, v8, v7
	v_div_scale_f32 v7, s[54:55], v13, v13, v2
	v_rcp_f32_e32 v9, v7
	v_div_fmas_f32 v1, v1, v6, v8
	v_div_fixup_f32 v3, v1, v13, v3
	v_fma_f32 v1, -v7, v9, 1.0
	v_fmac_f32_e32 v9, v1, v9
	v_div_scale_f32 v1, vcc, v2, v13, v2
	v_mul_f32_e32 v6, v1, v9
	v_fma_f32 v8, -v7, v6, v1
	v_fmac_f32_e32 v6, v8, v9
	v_fma_f32 v1, -v7, v6, v1
	v_div_fmas_f32 v1, v1, v9, v6
	v_div_fixup_f32 v2, v1, v13, v2
	v_mov_b32_e32 v1, 0
	global_store_dwordx2 v[4:5], v[2:3], off offset:512
.LBB29_180:                             ;   in Loop: Header=BB29_12 Depth=1
	s_or_b64 exec, exec, s[10:11]
	v_cmp_gt_i32_e32 vcc, s6, v1
	s_mov_b64 s[10:11], -1
	s_and_saveexec_b64 s[72:73], vcc
; %bb.181:                              ;   in Loop: Header=BB29_12 Depth=1
	v_cmp_eq_u32_e32 vcc, 0, v1
	s_orn2_b64 s[10:11], vcc, exec
; %bb.182:                              ;   in Loop: Header=BB29_12 Depth=1
	s_or_b64 exec, exec, s[72:73]
	s_and_b64 exec, exec, s[10:11]
	s_cbranch_execz .LBB29_10
; %bb.183:                              ;   in Loop: Header=BB29_12 Depth=1
	v_accvgpr_read_b32 v1, a24
	v_add_u32_e32 v2, s74, v1
	v_accvgpr_read_b32 v1, a25
	v_or_b32_e32 v1, s7, v1
	v_cmp_gt_i32_e32 vcc, s28, v2
	v_cmp_gt_i32_e64 s[10:11], s33, v1
	s_and_b64 s[54:55], vcc, s[10:11]
	v_mov_b32_e32 v1, 0x47
	s_and_saveexec_b64 s[10:11], s[54:55]
	s_cbranch_execz .LBB29_185
; %bb.184:                              ;   in Loop: Header=BB29_12 Depth=1
	v_accvgpr_read_b32 v1, a27
	v_add_u32_e32 v1, 0, v1
	v_mul_lo_u32 v2, v2, s29
	v_accvgpr_read_b32 v3, a25
	v_accvgpr_read_b32 v10, a26
	v_add_lshl_u32 v5, v2, v3, 7
	ds_read2st64_b32 v[2:3], v1 offset0:35 offset1:68
	ds_read_b32 v4, v1 offset:25856
	ds_read2st64_b32 v[6:7], v10 offset0:33 offset1:66
	ds_read2st64_b32 v[8:9], v10 offset1:1
	ds_read_b32 v20, v10 offset:25344
	ds_read2_b32 v[12:13], v1 offset0:128 offset1:129
	v_add_u32_e32 v10, v34, v5
	s_waitcnt lgkmcnt(3)
	v_cvt_f32_f16_sdwa v17, v6 dst_sel:DWORD dst_unused:UNUSED_PAD src0_sel:WORD_1
	s_waitcnt lgkmcnt(2)
	v_cvt_f32_f16_sdwa v15, v8 dst_sel:DWORD dst_unused:UNUSED_PAD src0_sel:WORD_1
	v_cvt_f32_f16_e32 v14, v8
	v_cvt_f32_f16_e32 v16, v6
	v_cvt_f32_f16_sdwa v19, v7 dst_sel:DWORD dst_unused:UNUSED_PAD src0_sel:WORD_1
	v_cvt_f32_f16_e32 v18, v7
	s_waitcnt lgkmcnt(1)
	v_cvt_f32_f16_sdwa v7, v20 dst_sel:DWORD dst_unused:UNUSED_PAD src0_sel:WORD_1
	v_cvt_f32_f16_e32 v6, v20
	s_waitcnt lgkmcnt(0)
	v_pk_fma_f32 v[14:15], v[12:13], v[14:15], 0 op_sel_hi:[0,1,0]
	v_pk_fma_f32 v[14:15], v[2:3], v[16:17], v[14:15] op_sel_hi:[0,1,1]
	v_mov_b32_e32 v8, v3
	v_pk_fma_f32 v[14:15], v[8:9], v[18:19], v[14:15] op_sel_hi:[0,1,1]
	v_pk_fma_f32 v[6:7], v[4:5], v[6:7], v[14:15] op_sel_hi:[0,1,1]
	v_div_scale_f32 v3, s[54:55], v13, v13, v7
	v_rcp_f32_e32 v14, v3
	v_ashrrev_i32_e32 v11, 31, v10
	v_lshlrev_b64 v[10:11], 3, v[10:11]
	v_mov_b32_e32 v21, s64
	v_add_co_u32_e32 v10, vcc, s57, v10
	v_addc_co_u32_e32 v11, vcc, v21, v11, vcc
	v_fma_f32 v15, -v3, v14, 1.0
	v_fmac_f32_e32 v14, v15, v14
	v_div_scale_f32 v15, vcc, v7, v13, v7
	v_mul_f32_e32 v16, v15, v14
	v_fma_f32 v17, -v3, v16, v15
	v_fmac_f32_e32 v16, v17, v14
	v_fma_f32 v3, -v3, v16, v15
	v_div_scale_f32 v15, s[54:55], v13, v13, v6
	v_rcp_f32_e32 v17, v15
	v_div_fmas_f32 v3, v3, v14, v16
	v_div_fixup_f32 v7, v3, v13, v7
	v_accvgpr_read_b32 v22, a28
	v_fma_f32 v3, -v15, v17, 1.0
	v_fmac_f32_e32 v17, v3, v17
	v_div_scale_f32 v3, vcc, v6, v13, v6
	v_mul_f32_e32 v14, v3, v17
	v_fma_f32 v16, -v15, v14, v3
	v_fmac_f32_e32 v14, v16, v17
	v_fma_f32 v3, -v15, v14, v3
	v_div_fmas_f32 v3, v3, v17, v14
	v_div_fixup_f32 v6, v3, v13, v6
	global_store_dwordx2 v[10:11], v[6:7], off
	ds_read2st64_b32 v[6:7], v22 offset0:33 offset1:66
	ds_read_b32 v1, v22 offset:25344
	v_cvt_f32_f16_sdwa v15, v9 dst_sel:DWORD dst_unused:UNUSED_PAD src0_sel:WORD_1
	v_cvt_f32_f16_e32 v14, v9
	v_ashrrev_i32_e32 v3, 31, v5
	s_waitcnt lgkmcnt(1)
	v_cvt_f32_f16_sdwa v17, v6 dst_sel:DWORD dst_unused:UNUSED_PAD src0_sel:WORD_1
	v_cvt_f32_f16_e32 v16, v6
	v_cvt_f32_f16_sdwa v19, v7 dst_sel:DWORD dst_unused:UNUSED_PAD src0_sel:WORD_1
	v_cvt_f32_f16_e32 v18, v7
	s_waitcnt lgkmcnt(0)
	v_cvt_f32_f16_sdwa v7, v1 dst_sel:DWORD dst_unused:UNUSED_PAD src0_sel:WORD_1
	v_cvt_f32_f16_e32 v6, v1
	v_add_co_u32_e32 v10, vcc, v34, v5
	v_pk_fma_f32 v[14:15], v[12:13], v[14:15], 0 op_sel_hi:[0,1,0]
	v_addc_co_u32_e32 v11, vcc, 0, v3, vcc
	v_pk_fma_f32 v[2:3], v[2:3], v[16:17], v[14:15] op_sel_hi:[0,1,1]
	v_mov_b32_e32 v5, s64
	v_pk_fma_f32 v[2:3], v[8:9], v[18:19], v[2:3] op_sel_hi:[0,1,1]
	v_pk_fma_f32 v[2:3], v[4:5], v[6:7], v[2:3] op_sel_hi:[0,1,1]
	v_div_scale_f32 v1, s[54:55], v13, v13, v3
	v_rcp_f32_e32 v6, v1
	v_lshlrev_b64 v[10:11], 3, v[10:11]
	v_add_co_u32_e32 v4, vcc, s57, v10
	v_addc_co_u32_e32 v5, vcc, v5, v11, vcc
	v_fma_f32 v7, -v1, v6, 1.0
	v_fmac_f32_e32 v6, v7, v6
	v_div_scale_f32 v7, vcc, v3, v13, v3
	v_mul_f32_e32 v8, v7, v6
	v_fma_f32 v9, -v1, v8, v7
	v_fmac_f32_e32 v8, v9, v6
	v_fma_f32 v1, -v1, v8, v7
	v_div_scale_f32 v7, s[54:55], v13, v13, v2
	v_rcp_f32_e32 v9, v7
	v_div_fmas_f32 v1, v1, v6, v8
	v_div_fixup_f32 v3, v1, v13, v3
	v_fma_f32 v1, -v7, v9, 1.0
	v_fmac_f32_e32 v9, v1, v9
	v_div_scale_f32 v1, vcc, v2, v13, v2
	v_mul_f32_e32 v6, v1, v9
	v_fma_f32 v8, -v7, v6, v1
	v_fmac_f32_e32 v6, v8, v9
	v_fma_f32 v1, -v7, v6, v1
	v_div_fmas_f32 v1, v1, v9, v6
	v_div_fixup_f32 v2, v1, v13, v2
	v_mov_b32_e32 v1, 0
	global_store_dwordx2 v[4:5], v[2:3], off offset:512
.LBB29_185:                             ;   in Loop: Header=BB29_12 Depth=1
	s_or_b64 exec, exec, s[10:11]
	v_cmp_gt_i32_e32 vcc, s6, v1
	s_mov_b64 s[10:11], -1
	s_and_saveexec_b64 s[72:73], vcc
; %bb.186:                              ;   in Loop: Header=BB29_12 Depth=1
	v_cmp_eq_u32_e32 vcc, 0, v1
	s_orn2_b64 s[10:11], vcc, exec
; %bb.187:                              ;   in Loop: Header=BB29_12 Depth=1
	s_or_b64 exec, exec, s[72:73]
	s_and_b64 exec, exec, s[10:11]
	s_cbranch_execz .LBB29_10
; %bb.188:                              ;   in Loop: Header=BB29_12 Depth=1
	v_accvgpr_read_b32 v1, a29
	v_add_u32_e32 v2, s74, v1
	v_cmp_gt_i32_e32 vcc, s28, v2
	s_and_b64 s[54:55], vcc, s[8:9]
	v_mov_b32_e32 v1, 0x47
	s_and_saveexec_b64 s[10:11], s[54:55]
	s_cbranch_execz .LBB29_190
; %bb.189:                              ;   in Loop: Header=BB29_12 Depth=1
	v_accvgpr_read_b32 v1, a31
	v_add_u32_e32 v1, 0, v1
	v_mul_lo_u32 v2, v2, s29
	v_accvgpr_read_b32 v10, a30
	v_add_lshl_u32 v5, v2, v187, 7
	ds_read2st64_b32 v[2:3], v1 offset0:35 offset1:68
	ds_read_b32 v4, v1 offset:25856
	ds_read2st64_b32 v[6:7], v10 offset0:33 offset1:66
	ds_read2st64_b32 v[8:9], v10 offset1:1
	ds_read_b32 v20, v10 offset:25344
	ds_read2_b32 v[12:13], v1 offset0:128 offset1:129
	v_add_u32_e32 v10, v34, v5
	s_waitcnt lgkmcnt(3)
	v_cvt_f32_f16_sdwa v17, v6 dst_sel:DWORD dst_unused:UNUSED_PAD src0_sel:WORD_1
	s_waitcnt lgkmcnt(2)
	v_cvt_f32_f16_sdwa v15, v8 dst_sel:DWORD dst_unused:UNUSED_PAD src0_sel:WORD_1
	v_cvt_f32_f16_e32 v14, v8
	v_cvt_f32_f16_e32 v16, v6
	v_cvt_f32_f16_sdwa v19, v7 dst_sel:DWORD dst_unused:UNUSED_PAD src0_sel:WORD_1
	v_cvt_f32_f16_e32 v18, v7
	s_waitcnt lgkmcnt(1)
	v_cvt_f32_f16_sdwa v7, v20 dst_sel:DWORD dst_unused:UNUSED_PAD src0_sel:WORD_1
	v_cvt_f32_f16_e32 v6, v20
	s_waitcnt lgkmcnt(0)
	v_pk_fma_f32 v[14:15], v[12:13], v[14:15], 0 op_sel_hi:[0,1,0]
	v_pk_fma_f32 v[14:15], v[2:3], v[16:17], v[14:15] op_sel_hi:[0,1,1]
	v_mov_b32_e32 v8, v3
	v_pk_fma_f32 v[14:15], v[8:9], v[18:19], v[14:15] op_sel_hi:[0,1,1]
	v_pk_fma_f32 v[6:7], v[4:5], v[6:7], v[14:15] op_sel_hi:[0,1,1]
	v_div_scale_f32 v3, s[54:55], v13, v13, v7
	v_rcp_f32_e32 v14, v3
	v_ashrrev_i32_e32 v11, 31, v10
	v_lshlrev_b64 v[10:11], 3, v[10:11]
	v_mov_b32_e32 v21, s64
	v_add_co_u32_e32 v10, vcc, s57, v10
	v_addc_co_u32_e32 v11, vcc, v21, v11, vcc
	v_fma_f32 v15, -v3, v14, 1.0
	v_fmac_f32_e32 v14, v15, v14
	v_div_scale_f32 v15, vcc, v7, v13, v7
	v_mul_f32_e32 v16, v15, v14
	v_fma_f32 v17, -v3, v16, v15
	v_fmac_f32_e32 v16, v17, v14
	v_fma_f32 v3, -v3, v16, v15
	v_div_scale_f32 v15, s[54:55], v13, v13, v6
	v_rcp_f32_e32 v17, v15
	v_div_fmas_f32 v3, v3, v14, v16
	v_div_fixup_f32 v7, v3, v13, v7
	v_accvgpr_read_b32 v22, a32
	v_fma_f32 v3, -v15, v17, 1.0
	v_fmac_f32_e32 v17, v3, v17
	v_div_scale_f32 v3, vcc, v6, v13, v6
	v_mul_f32_e32 v14, v3, v17
	v_fma_f32 v16, -v15, v14, v3
	v_fmac_f32_e32 v14, v16, v17
	v_fma_f32 v3, -v15, v14, v3
	v_div_fmas_f32 v3, v3, v17, v14
	v_div_fixup_f32 v6, v3, v13, v6
	global_store_dwordx2 v[10:11], v[6:7], off
	ds_read2st64_b32 v[6:7], v22 offset0:33 offset1:66
	ds_read_b32 v1, v22 offset:25344
	v_cvt_f32_f16_sdwa v15, v9 dst_sel:DWORD dst_unused:UNUSED_PAD src0_sel:WORD_1
	v_cvt_f32_f16_e32 v14, v9
	v_ashrrev_i32_e32 v3, 31, v5
	s_waitcnt lgkmcnt(1)
	v_cvt_f32_f16_sdwa v17, v6 dst_sel:DWORD dst_unused:UNUSED_PAD src0_sel:WORD_1
	v_cvt_f32_f16_e32 v16, v6
	v_cvt_f32_f16_sdwa v19, v7 dst_sel:DWORD dst_unused:UNUSED_PAD src0_sel:WORD_1
	v_cvt_f32_f16_e32 v18, v7
	s_waitcnt lgkmcnt(0)
	v_cvt_f32_f16_sdwa v7, v1 dst_sel:DWORD dst_unused:UNUSED_PAD src0_sel:WORD_1
	v_cvt_f32_f16_e32 v6, v1
	v_add_co_u32_e32 v10, vcc, v34, v5
	v_pk_fma_f32 v[14:15], v[12:13], v[14:15], 0 op_sel_hi:[0,1,0]
	v_addc_co_u32_e32 v11, vcc, 0, v3, vcc
	v_pk_fma_f32 v[2:3], v[2:3], v[16:17], v[14:15] op_sel_hi:[0,1,1]
	v_mov_b32_e32 v5, s64
	v_pk_fma_f32 v[2:3], v[8:9], v[18:19], v[2:3] op_sel_hi:[0,1,1]
	v_pk_fma_f32 v[2:3], v[4:5], v[6:7], v[2:3] op_sel_hi:[0,1,1]
	v_div_scale_f32 v1, s[54:55], v13, v13, v3
	v_rcp_f32_e32 v6, v1
	v_lshlrev_b64 v[10:11], 3, v[10:11]
	v_add_co_u32_e32 v4, vcc, s57, v10
	v_addc_co_u32_e32 v5, vcc, v5, v11, vcc
	v_fma_f32 v7, -v1, v6, 1.0
	v_fmac_f32_e32 v6, v7, v6
	v_div_scale_f32 v7, vcc, v3, v13, v3
	v_mul_f32_e32 v8, v7, v6
	v_fma_f32 v9, -v1, v8, v7
	v_fmac_f32_e32 v8, v9, v6
	v_fma_f32 v1, -v1, v8, v7
	v_div_scale_f32 v7, s[54:55], v13, v13, v2
	v_rcp_f32_e32 v9, v7
	v_div_fmas_f32 v1, v1, v6, v8
	v_div_fixup_f32 v3, v1, v13, v3
	v_fma_f32 v1, -v7, v9, 1.0
	v_fmac_f32_e32 v9, v1, v9
	v_div_scale_f32 v1, vcc, v2, v13, v2
	v_mul_f32_e32 v6, v1, v9
	v_fma_f32 v8, -v7, v6, v1
	v_fmac_f32_e32 v6, v8, v9
	v_fma_f32 v1, -v7, v6, v1
	v_div_fmas_f32 v1, v1, v9, v6
	v_div_fixup_f32 v2, v1, v13, v2
	v_mov_b32_e32 v1, 0
	global_store_dwordx2 v[4:5], v[2:3], off offset:512
.LBB29_190:                             ;   in Loop: Header=BB29_12 Depth=1
	s_or_b64 exec, exec, s[10:11]
	v_cmp_gt_i32_e32 vcc, s6, v1
	s_mov_b64 s[10:11], -1
	s_and_saveexec_b64 s[72:73], vcc
; %bb.191:                              ;   in Loop: Header=BB29_12 Depth=1
	v_cmp_eq_u32_e32 vcc, 0, v1
	s_orn2_b64 s[10:11], vcc, exec
; %bb.192:                              ;   in Loop: Header=BB29_12 Depth=1
	s_or_b64 exec, exec, s[72:73]
	s_and_b64 exec, exec, s[10:11]
	s_cbranch_execz .LBB29_10
; %bb.193:                              ;   in Loop: Header=BB29_12 Depth=1
	v_accvgpr_read_b32 v1, a33
	v_add_u32_e32 v2, s74, v1
	v_accvgpr_read_b32 v1, a34
	v_or_b32_e32 v1, s7, v1
	v_cmp_gt_i32_e32 vcc, s28, v2
	v_cmp_gt_i32_e64 s[10:11], s33, v1
	s_and_b64 s[54:55], vcc, s[10:11]
	v_mov_b32_e32 v1, 0x47
	s_and_saveexec_b64 s[10:11], s[54:55]
	s_cbranch_execz .LBB29_195
; %bb.194:                              ;   in Loop: Header=BB29_12 Depth=1
	v_accvgpr_read_b32 v1, a36
	v_add_u32_e32 v1, 0, v1
	v_mul_lo_u32 v2, v2, s29
	v_accvgpr_read_b32 v3, a34
	v_accvgpr_read_b32 v10, a35
	v_add_lshl_u32 v5, v2, v3, 7
	ds_read2st64_b32 v[2:3], v1 offset0:35 offset1:68
	ds_read_b32 v4, v1 offset:25856
	ds_read2st64_b32 v[6:7], v10 offset0:33 offset1:66
	ds_read2st64_b32 v[8:9], v10 offset1:1
	ds_read_b32 v20, v10 offset:25344
	ds_read2_b32 v[12:13], v1 offset0:128 offset1:129
	v_add_u32_e32 v10, v34, v5
	s_waitcnt lgkmcnt(3)
	v_cvt_f32_f16_sdwa v17, v6 dst_sel:DWORD dst_unused:UNUSED_PAD src0_sel:WORD_1
	s_waitcnt lgkmcnt(2)
	v_cvt_f32_f16_sdwa v15, v8 dst_sel:DWORD dst_unused:UNUSED_PAD src0_sel:WORD_1
	v_cvt_f32_f16_e32 v14, v8
	v_cvt_f32_f16_e32 v16, v6
	v_cvt_f32_f16_sdwa v19, v7 dst_sel:DWORD dst_unused:UNUSED_PAD src0_sel:WORD_1
	v_cvt_f32_f16_e32 v18, v7
	s_waitcnt lgkmcnt(1)
	v_cvt_f32_f16_sdwa v7, v20 dst_sel:DWORD dst_unused:UNUSED_PAD src0_sel:WORD_1
	v_cvt_f32_f16_e32 v6, v20
	s_waitcnt lgkmcnt(0)
	v_pk_fma_f32 v[14:15], v[12:13], v[14:15], 0 op_sel_hi:[0,1,0]
	v_pk_fma_f32 v[14:15], v[2:3], v[16:17], v[14:15] op_sel_hi:[0,1,1]
	v_mov_b32_e32 v8, v3
	v_pk_fma_f32 v[14:15], v[8:9], v[18:19], v[14:15] op_sel_hi:[0,1,1]
	v_pk_fma_f32 v[6:7], v[4:5], v[6:7], v[14:15] op_sel_hi:[0,1,1]
	v_div_scale_f32 v3, s[54:55], v13, v13, v7
	v_rcp_f32_e32 v14, v3
	v_ashrrev_i32_e32 v11, 31, v10
	v_lshlrev_b64 v[10:11], 3, v[10:11]
	v_mov_b32_e32 v21, s64
	v_add_co_u32_e32 v10, vcc, s57, v10
	v_addc_co_u32_e32 v11, vcc, v21, v11, vcc
	v_fma_f32 v15, -v3, v14, 1.0
	v_fmac_f32_e32 v14, v15, v14
	v_div_scale_f32 v15, vcc, v7, v13, v7
	v_mul_f32_e32 v16, v15, v14
	v_fma_f32 v17, -v3, v16, v15
	v_fmac_f32_e32 v16, v17, v14
	v_fma_f32 v3, -v3, v16, v15
	v_div_scale_f32 v15, s[54:55], v13, v13, v6
	v_rcp_f32_e32 v17, v15
	v_div_fmas_f32 v3, v3, v14, v16
	v_div_fixup_f32 v7, v3, v13, v7
	v_accvgpr_read_b32 v22, a37
	v_fma_f32 v3, -v15, v17, 1.0
	v_fmac_f32_e32 v17, v3, v17
	v_div_scale_f32 v3, vcc, v6, v13, v6
	v_mul_f32_e32 v14, v3, v17
	v_fma_f32 v16, -v15, v14, v3
	v_fmac_f32_e32 v14, v16, v17
	v_fma_f32 v3, -v15, v14, v3
	v_div_fmas_f32 v3, v3, v17, v14
	v_div_fixup_f32 v6, v3, v13, v6
	global_store_dwordx2 v[10:11], v[6:7], off
	ds_read2st64_b32 v[6:7], v22 offset0:33 offset1:66
	ds_read_b32 v1, v22 offset:25344
	v_cvt_f32_f16_sdwa v15, v9 dst_sel:DWORD dst_unused:UNUSED_PAD src0_sel:WORD_1
	v_cvt_f32_f16_e32 v14, v9
	v_ashrrev_i32_e32 v3, 31, v5
	s_waitcnt lgkmcnt(1)
	v_cvt_f32_f16_sdwa v17, v6 dst_sel:DWORD dst_unused:UNUSED_PAD src0_sel:WORD_1
	v_cvt_f32_f16_e32 v16, v6
	v_cvt_f32_f16_sdwa v19, v7 dst_sel:DWORD dst_unused:UNUSED_PAD src0_sel:WORD_1
	v_cvt_f32_f16_e32 v18, v7
	s_waitcnt lgkmcnt(0)
	v_cvt_f32_f16_sdwa v7, v1 dst_sel:DWORD dst_unused:UNUSED_PAD src0_sel:WORD_1
	v_cvt_f32_f16_e32 v6, v1
	v_add_co_u32_e32 v10, vcc, v34, v5
	v_pk_fma_f32 v[14:15], v[12:13], v[14:15], 0 op_sel_hi:[0,1,0]
	v_addc_co_u32_e32 v11, vcc, 0, v3, vcc
	v_pk_fma_f32 v[2:3], v[2:3], v[16:17], v[14:15] op_sel_hi:[0,1,1]
	v_mov_b32_e32 v5, s64
	v_pk_fma_f32 v[2:3], v[8:9], v[18:19], v[2:3] op_sel_hi:[0,1,1]
	v_pk_fma_f32 v[2:3], v[4:5], v[6:7], v[2:3] op_sel_hi:[0,1,1]
	v_div_scale_f32 v1, s[54:55], v13, v13, v3
	v_rcp_f32_e32 v6, v1
	v_lshlrev_b64 v[10:11], 3, v[10:11]
	v_add_co_u32_e32 v4, vcc, s57, v10
	v_addc_co_u32_e32 v5, vcc, v5, v11, vcc
	v_fma_f32 v7, -v1, v6, 1.0
	v_fmac_f32_e32 v6, v7, v6
	v_div_scale_f32 v7, vcc, v3, v13, v3
	v_mul_f32_e32 v8, v7, v6
	v_fma_f32 v9, -v1, v8, v7
	v_fmac_f32_e32 v8, v9, v6
	v_fma_f32 v1, -v1, v8, v7
	v_div_scale_f32 v7, s[54:55], v13, v13, v2
	v_rcp_f32_e32 v9, v7
	v_div_fmas_f32 v1, v1, v6, v8
	v_div_fixup_f32 v3, v1, v13, v3
	v_fma_f32 v1, -v7, v9, 1.0
	v_fmac_f32_e32 v9, v1, v9
	v_div_scale_f32 v1, vcc, v2, v13, v2
	v_mul_f32_e32 v6, v1, v9
	v_fma_f32 v8, -v7, v6, v1
	v_fmac_f32_e32 v6, v8, v9
	v_fma_f32 v1, -v7, v6, v1
	v_div_fmas_f32 v1, v1, v9, v6
	v_div_fixup_f32 v2, v1, v13, v2
	v_mov_b32_e32 v1, 0
	global_store_dwordx2 v[4:5], v[2:3], off offset:512
.LBB29_195:                             ;   in Loop: Header=BB29_12 Depth=1
	s_or_b64 exec, exec, s[10:11]
	v_cmp_gt_i32_e32 vcc, s6, v1
	s_mov_b64 s[10:11], -1
	s_and_saveexec_b64 s[72:73], vcc
; %bb.196:                              ;   in Loop: Header=BB29_12 Depth=1
	v_cmp_eq_u32_e32 vcc, 0, v1
	s_orn2_b64 s[10:11], vcc, exec
; %bb.197:                              ;   in Loop: Header=BB29_12 Depth=1
	s_or_b64 exec, exec, s[72:73]
	s_and_b64 exec, exec, s[10:11]
	s_cbranch_execz .LBB29_10
; %bb.198:                              ;   in Loop: Header=BB29_12 Depth=1
	v_accvgpr_read_b32 v1, a38
	v_add_u32_e32 v2, s74, v1
	v_cmp_gt_i32_e32 vcc, s28, v2
	s_and_b64 s[54:55], vcc, s[8:9]
	v_mov_b32_e32 v1, 0x47
	s_and_saveexec_b64 s[10:11], s[54:55]
	s_cbranch_execz .LBB29_200
; %bb.199:                              ;   in Loop: Header=BB29_12 Depth=1
	v_accvgpr_read_b32 v1, a40
	v_add_u32_e32 v1, 0, v1
	v_mul_lo_u32 v2, v2, s29
	v_accvgpr_read_b32 v10, a39
	v_add_lshl_u32 v5, v2, v187, 7
	ds_read2st64_b32 v[2:3], v1 offset0:35 offset1:68
	ds_read_b32 v4, v1 offset:25856
	ds_read2st64_b32 v[6:7], v10 offset0:33 offset1:66
	ds_read2st64_b32 v[8:9], v10 offset1:1
	ds_read_b32 v20, v10 offset:25344
	ds_read2_b32 v[12:13], v1 offset0:128 offset1:129
	v_add_u32_e32 v10, v34, v5
	s_waitcnt lgkmcnt(3)
	v_cvt_f32_f16_sdwa v17, v6 dst_sel:DWORD dst_unused:UNUSED_PAD src0_sel:WORD_1
	s_waitcnt lgkmcnt(2)
	v_cvt_f32_f16_sdwa v15, v8 dst_sel:DWORD dst_unused:UNUSED_PAD src0_sel:WORD_1
	v_cvt_f32_f16_e32 v14, v8
	v_cvt_f32_f16_e32 v16, v6
	v_cvt_f32_f16_sdwa v19, v7 dst_sel:DWORD dst_unused:UNUSED_PAD src0_sel:WORD_1
	v_cvt_f32_f16_e32 v18, v7
	s_waitcnt lgkmcnt(1)
	v_cvt_f32_f16_sdwa v7, v20 dst_sel:DWORD dst_unused:UNUSED_PAD src0_sel:WORD_1
	v_cvt_f32_f16_e32 v6, v20
	s_waitcnt lgkmcnt(0)
	v_pk_fma_f32 v[14:15], v[12:13], v[14:15], 0 op_sel_hi:[0,1,0]
	v_pk_fma_f32 v[14:15], v[2:3], v[16:17], v[14:15] op_sel_hi:[0,1,1]
	v_mov_b32_e32 v8, v3
	v_pk_fma_f32 v[14:15], v[8:9], v[18:19], v[14:15] op_sel_hi:[0,1,1]
	v_pk_fma_f32 v[6:7], v[4:5], v[6:7], v[14:15] op_sel_hi:[0,1,1]
	v_div_scale_f32 v3, s[54:55], v13, v13, v7
	v_rcp_f32_e32 v14, v3
	v_ashrrev_i32_e32 v11, 31, v10
	v_lshlrev_b64 v[10:11], 3, v[10:11]
	v_mov_b32_e32 v21, s64
	v_add_co_u32_e32 v10, vcc, s57, v10
	v_addc_co_u32_e32 v11, vcc, v21, v11, vcc
	v_fma_f32 v15, -v3, v14, 1.0
	v_fmac_f32_e32 v14, v15, v14
	v_div_scale_f32 v15, vcc, v7, v13, v7
	v_mul_f32_e32 v16, v15, v14
	v_fma_f32 v17, -v3, v16, v15
	v_fmac_f32_e32 v16, v17, v14
	v_fma_f32 v3, -v3, v16, v15
	v_div_scale_f32 v15, s[54:55], v13, v13, v6
	v_rcp_f32_e32 v17, v15
	v_div_fmas_f32 v3, v3, v14, v16
	v_div_fixup_f32 v7, v3, v13, v7
	v_accvgpr_read_b32 v22, a41
	v_fma_f32 v3, -v15, v17, 1.0
	v_fmac_f32_e32 v17, v3, v17
	v_div_scale_f32 v3, vcc, v6, v13, v6
	v_mul_f32_e32 v14, v3, v17
	v_fma_f32 v16, -v15, v14, v3
	v_fmac_f32_e32 v14, v16, v17
	v_fma_f32 v3, -v15, v14, v3
	v_div_fmas_f32 v3, v3, v17, v14
	v_div_fixup_f32 v6, v3, v13, v6
	global_store_dwordx2 v[10:11], v[6:7], off
	ds_read2st64_b32 v[6:7], v22 offset0:33 offset1:66
	ds_read_b32 v1, v22 offset:25344
	v_cvt_f32_f16_sdwa v15, v9 dst_sel:DWORD dst_unused:UNUSED_PAD src0_sel:WORD_1
	v_cvt_f32_f16_e32 v14, v9
	v_ashrrev_i32_e32 v3, 31, v5
	s_waitcnt lgkmcnt(1)
	v_cvt_f32_f16_sdwa v17, v6 dst_sel:DWORD dst_unused:UNUSED_PAD src0_sel:WORD_1
	v_cvt_f32_f16_e32 v16, v6
	v_cvt_f32_f16_sdwa v19, v7 dst_sel:DWORD dst_unused:UNUSED_PAD src0_sel:WORD_1
	v_cvt_f32_f16_e32 v18, v7
	s_waitcnt lgkmcnt(0)
	v_cvt_f32_f16_sdwa v7, v1 dst_sel:DWORD dst_unused:UNUSED_PAD src0_sel:WORD_1
	v_cvt_f32_f16_e32 v6, v1
	v_add_co_u32_e32 v10, vcc, v34, v5
	v_pk_fma_f32 v[14:15], v[12:13], v[14:15], 0 op_sel_hi:[0,1,0]
	v_addc_co_u32_e32 v11, vcc, 0, v3, vcc
	v_pk_fma_f32 v[2:3], v[2:3], v[16:17], v[14:15] op_sel_hi:[0,1,1]
	v_mov_b32_e32 v5, s64
	v_pk_fma_f32 v[2:3], v[8:9], v[18:19], v[2:3] op_sel_hi:[0,1,1]
	v_pk_fma_f32 v[2:3], v[4:5], v[6:7], v[2:3] op_sel_hi:[0,1,1]
	v_div_scale_f32 v1, s[54:55], v13, v13, v3
	v_rcp_f32_e32 v6, v1
	v_lshlrev_b64 v[10:11], 3, v[10:11]
	v_add_co_u32_e32 v4, vcc, s57, v10
	v_addc_co_u32_e32 v5, vcc, v5, v11, vcc
	v_fma_f32 v7, -v1, v6, 1.0
	v_fmac_f32_e32 v6, v7, v6
	v_div_scale_f32 v7, vcc, v3, v13, v3
	v_mul_f32_e32 v8, v7, v6
	v_fma_f32 v9, -v1, v8, v7
	v_fmac_f32_e32 v8, v9, v6
	v_fma_f32 v1, -v1, v8, v7
	v_div_scale_f32 v7, s[54:55], v13, v13, v2
	v_rcp_f32_e32 v9, v7
	v_div_fmas_f32 v1, v1, v6, v8
	v_div_fixup_f32 v3, v1, v13, v3
	v_fma_f32 v1, -v7, v9, 1.0
	v_fmac_f32_e32 v9, v1, v9
	v_div_scale_f32 v1, vcc, v2, v13, v2
	v_mul_f32_e32 v6, v1, v9
	v_fma_f32 v8, -v7, v6, v1
	v_fmac_f32_e32 v6, v8, v9
	v_fma_f32 v1, -v7, v6, v1
	v_div_fmas_f32 v1, v1, v9, v6
	v_div_fixup_f32 v2, v1, v13, v2
	v_mov_b32_e32 v1, 0
	global_store_dwordx2 v[4:5], v[2:3], off offset:512
.LBB29_200:                             ;   in Loop: Header=BB29_12 Depth=1
	s_or_b64 exec, exec, s[10:11]
	v_cmp_gt_i32_e32 vcc, s6, v1
	s_mov_b64 s[10:11], -1
	s_and_saveexec_b64 s[72:73], vcc
; %bb.201:                              ;   in Loop: Header=BB29_12 Depth=1
	v_cmp_eq_u32_e32 vcc, 0, v1
	s_orn2_b64 s[10:11], vcc, exec
; %bb.202:                              ;   in Loop: Header=BB29_12 Depth=1
	s_or_b64 exec, exec, s[72:73]
	s_and_b64 exec, exec, s[10:11]
	s_cbranch_execz .LBB29_10
; %bb.203:                              ;   in Loop: Header=BB29_12 Depth=1
	v_accvgpr_read_b32 v1, a42
	v_add_u32_e32 v2, s74, v1
	v_accvgpr_read_b32 v1, a43
	v_or_b32_e32 v1, s7, v1
	v_cmp_gt_i32_e32 vcc, s28, v2
	v_cmp_gt_i32_e64 s[10:11], s33, v1
	s_and_b64 s[54:55], vcc, s[10:11]
	v_mov_b32_e32 v1, 0x47
	s_and_saveexec_b64 s[10:11], s[54:55]
	s_cbranch_execz .LBB29_205
; %bb.204:                              ;   in Loop: Header=BB29_12 Depth=1
	v_accvgpr_read_b32 v1, a45
	v_add_u32_e32 v1, 0, v1
	v_mul_lo_u32 v2, v2, s29
	v_accvgpr_read_b32 v3, a43
	v_accvgpr_read_b32 v10, a44
	v_add_lshl_u32 v5, v2, v3, 7
	ds_read2st64_b32 v[2:3], v1 offset0:35 offset1:68
	ds_read_b32 v4, v1 offset:25856
	ds_read2st64_b32 v[6:7], v10 offset0:33 offset1:66
	ds_read2st64_b32 v[8:9], v10 offset1:1
	ds_read_b32 v20, v10 offset:25344
	ds_read2_b32 v[12:13], v1 offset0:128 offset1:129
	v_add_u32_e32 v10, v34, v5
	s_waitcnt lgkmcnt(3)
	v_cvt_f32_f16_sdwa v17, v6 dst_sel:DWORD dst_unused:UNUSED_PAD src0_sel:WORD_1
	s_waitcnt lgkmcnt(2)
	v_cvt_f32_f16_sdwa v15, v8 dst_sel:DWORD dst_unused:UNUSED_PAD src0_sel:WORD_1
	v_cvt_f32_f16_e32 v14, v8
	v_cvt_f32_f16_e32 v16, v6
	v_cvt_f32_f16_sdwa v19, v7 dst_sel:DWORD dst_unused:UNUSED_PAD src0_sel:WORD_1
	v_cvt_f32_f16_e32 v18, v7
	s_waitcnt lgkmcnt(1)
	v_cvt_f32_f16_sdwa v7, v20 dst_sel:DWORD dst_unused:UNUSED_PAD src0_sel:WORD_1
	v_cvt_f32_f16_e32 v6, v20
	s_waitcnt lgkmcnt(0)
	v_pk_fma_f32 v[14:15], v[12:13], v[14:15], 0 op_sel_hi:[0,1,0]
	v_pk_fma_f32 v[14:15], v[2:3], v[16:17], v[14:15] op_sel_hi:[0,1,1]
	v_mov_b32_e32 v8, v3
	v_pk_fma_f32 v[14:15], v[8:9], v[18:19], v[14:15] op_sel_hi:[0,1,1]
	v_pk_fma_f32 v[6:7], v[4:5], v[6:7], v[14:15] op_sel_hi:[0,1,1]
	v_div_scale_f32 v3, s[54:55], v13, v13, v7
	v_rcp_f32_e32 v14, v3
	v_ashrrev_i32_e32 v11, 31, v10
	v_lshlrev_b64 v[10:11], 3, v[10:11]
	v_mov_b32_e32 v21, s64
	v_add_co_u32_e32 v10, vcc, s57, v10
	v_addc_co_u32_e32 v11, vcc, v21, v11, vcc
	v_fma_f32 v15, -v3, v14, 1.0
	v_fmac_f32_e32 v14, v15, v14
	v_div_scale_f32 v15, vcc, v7, v13, v7
	v_mul_f32_e32 v16, v15, v14
	v_fma_f32 v17, -v3, v16, v15
	v_fmac_f32_e32 v16, v17, v14
	v_fma_f32 v3, -v3, v16, v15
	v_div_scale_f32 v15, s[54:55], v13, v13, v6
	v_rcp_f32_e32 v17, v15
	v_div_fmas_f32 v3, v3, v14, v16
	v_div_fixup_f32 v7, v3, v13, v7
	v_accvgpr_read_b32 v22, a46
	v_fma_f32 v3, -v15, v17, 1.0
	v_fmac_f32_e32 v17, v3, v17
	v_div_scale_f32 v3, vcc, v6, v13, v6
	v_mul_f32_e32 v14, v3, v17
	v_fma_f32 v16, -v15, v14, v3
	v_fmac_f32_e32 v14, v16, v17
	v_fma_f32 v3, -v15, v14, v3
	v_div_fmas_f32 v3, v3, v17, v14
	v_div_fixup_f32 v6, v3, v13, v6
	global_store_dwordx2 v[10:11], v[6:7], off
	ds_read2st64_b32 v[6:7], v22 offset0:33 offset1:66
	ds_read_b32 v1, v22 offset:25344
	v_cvt_f32_f16_sdwa v15, v9 dst_sel:DWORD dst_unused:UNUSED_PAD src0_sel:WORD_1
	v_cvt_f32_f16_e32 v14, v9
	v_ashrrev_i32_e32 v3, 31, v5
	s_waitcnt lgkmcnt(1)
	v_cvt_f32_f16_sdwa v17, v6 dst_sel:DWORD dst_unused:UNUSED_PAD src0_sel:WORD_1
	v_cvt_f32_f16_e32 v16, v6
	v_cvt_f32_f16_sdwa v19, v7 dst_sel:DWORD dst_unused:UNUSED_PAD src0_sel:WORD_1
	v_cvt_f32_f16_e32 v18, v7
	s_waitcnt lgkmcnt(0)
	v_cvt_f32_f16_sdwa v7, v1 dst_sel:DWORD dst_unused:UNUSED_PAD src0_sel:WORD_1
	v_cvt_f32_f16_e32 v6, v1
	v_add_co_u32_e32 v10, vcc, v34, v5
	v_pk_fma_f32 v[14:15], v[12:13], v[14:15], 0 op_sel_hi:[0,1,0]
	v_addc_co_u32_e32 v11, vcc, 0, v3, vcc
	v_pk_fma_f32 v[2:3], v[2:3], v[16:17], v[14:15] op_sel_hi:[0,1,1]
	v_mov_b32_e32 v5, s64
	v_pk_fma_f32 v[2:3], v[8:9], v[18:19], v[2:3] op_sel_hi:[0,1,1]
	v_pk_fma_f32 v[2:3], v[4:5], v[6:7], v[2:3] op_sel_hi:[0,1,1]
	v_div_scale_f32 v1, s[54:55], v13, v13, v3
	v_rcp_f32_e32 v6, v1
	v_lshlrev_b64 v[10:11], 3, v[10:11]
	v_add_co_u32_e32 v4, vcc, s57, v10
	v_addc_co_u32_e32 v5, vcc, v5, v11, vcc
	v_fma_f32 v7, -v1, v6, 1.0
	v_fmac_f32_e32 v6, v7, v6
	v_div_scale_f32 v7, vcc, v3, v13, v3
	v_mul_f32_e32 v8, v7, v6
	v_fma_f32 v9, -v1, v8, v7
	v_fmac_f32_e32 v8, v9, v6
	v_fma_f32 v1, -v1, v8, v7
	v_div_scale_f32 v7, s[54:55], v13, v13, v2
	v_rcp_f32_e32 v9, v7
	v_div_fmas_f32 v1, v1, v6, v8
	v_div_fixup_f32 v3, v1, v13, v3
	v_fma_f32 v1, -v7, v9, 1.0
	v_fmac_f32_e32 v9, v1, v9
	v_div_scale_f32 v1, vcc, v2, v13, v2
	v_mul_f32_e32 v6, v1, v9
	v_fma_f32 v8, -v7, v6, v1
	v_fmac_f32_e32 v6, v8, v9
	v_fma_f32 v1, -v7, v6, v1
	v_div_fmas_f32 v1, v1, v9, v6
	v_div_fixup_f32 v2, v1, v13, v2
	v_mov_b32_e32 v1, 0
	global_store_dwordx2 v[4:5], v[2:3], off offset:512
.LBB29_205:                             ;   in Loop: Header=BB29_12 Depth=1
	s_or_b64 exec, exec, s[10:11]
	v_cmp_gt_i32_e32 vcc, s6, v1
	s_mov_b64 s[10:11], -1
	s_and_saveexec_b64 s[72:73], vcc
; %bb.206:                              ;   in Loop: Header=BB29_12 Depth=1
	v_cmp_eq_u32_e32 vcc, 0, v1
	s_orn2_b64 s[10:11], vcc, exec
; %bb.207:                              ;   in Loop: Header=BB29_12 Depth=1
	s_or_b64 exec, exec, s[72:73]
	s_and_b64 exec, exec, s[10:11]
	s_cbranch_execz .LBB29_10
; %bb.208:                              ;   in Loop: Header=BB29_12 Depth=1
	v_accvgpr_read_b32 v1, a47
	v_add_u32_e32 v2, s74, v1
	v_cmp_gt_i32_e32 vcc, s28, v2
	s_and_b64 s[54:55], vcc, s[8:9]
	v_mov_b32_e32 v1, 0x47
	s_and_saveexec_b64 s[10:11], s[54:55]
	s_cbranch_execz .LBB29_210
; %bb.209:                              ;   in Loop: Header=BB29_12 Depth=1
	v_accvgpr_read_b32 v1, a49
	v_add_u32_e32 v1, 0, v1
	v_mul_lo_u32 v2, v2, s29
	v_accvgpr_read_b32 v10, a48
	v_add_lshl_u32 v5, v2, v187, 7
	ds_read2st64_b32 v[2:3], v1 offset0:35 offset1:68
	ds_read_b32 v4, v1 offset:25856
	ds_read2st64_b32 v[6:7], v10 offset0:33 offset1:66
	ds_read2st64_b32 v[8:9], v10 offset1:1
	ds_read_b32 v20, v10 offset:25344
	ds_read2_b32 v[12:13], v1 offset0:128 offset1:129
	v_add_u32_e32 v10, v34, v5
	s_waitcnt lgkmcnt(3)
	v_cvt_f32_f16_sdwa v17, v6 dst_sel:DWORD dst_unused:UNUSED_PAD src0_sel:WORD_1
	s_waitcnt lgkmcnt(2)
	v_cvt_f32_f16_sdwa v15, v8 dst_sel:DWORD dst_unused:UNUSED_PAD src0_sel:WORD_1
	v_cvt_f32_f16_e32 v14, v8
	v_cvt_f32_f16_e32 v16, v6
	v_cvt_f32_f16_sdwa v19, v7 dst_sel:DWORD dst_unused:UNUSED_PAD src0_sel:WORD_1
	v_cvt_f32_f16_e32 v18, v7
	s_waitcnt lgkmcnt(1)
	v_cvt_f32_f16_sdwa v7, v20 dst_sel:DWORD dst_unused:UNUSED_PAD src0_sel:WORD_1
	v_cvt_f32_f16_e32 v6, v20
	s_waitcnt lgkmcnt(0)
	v_pk_fma_f32 v[14:15], v[12:13], v[14:15], 0 op_sel_hi:[0,1,0]
	v_pk_fma_f32 v[14:15], v[2:3], v[16:17], v[14:15] op_sel_hi:[0,1,1]
	v_mov_b32_e32 v8, v3
	v_pk_fma_f32 v[14:15], v[8:9], v[18:19], v[14:15] op_sel_hi:[0,1,1]
	v_pk_fma_f32 v[6:7], v[4:5], v[6:7], v[14:15] op_sel_hi:[0,1,1]
	v_div_scale_f32 v3, s[54:55], v13, v13, v7
	v_rcp_f32_e32 v14, v3
	v_ashrrev_i32_e32 v11, 31, v10
	v_lshlrev_b64 v[10:11], 3, v[10:11]
	v_mov_b32_e32 v21, s64
	v_add_co_u32_e32 v10, vcc, s57, v10
	v_addc_co_u32_e32 v11, vcc, v21, v11, vcc
	v_fma_f32 v15, -v3, v14, 1.0
	v_fmac_f32_e32 v14, v15, v14
	v_div_scale_f32 v15, vcc, v7, v13, v7
	v_mul_f32_e32 v16, v15, v14
	v_fma_f32 v17, -v3, v16, v15
	v_fmac_f32_e32 v16, v17, v14
	v_fma_f32 v3, -v3, v16, v15
	v_div_scale_f32 v15, s[54:55], v13, v13, v6
	v_rcp_f32_e32 v17, v15
	v_div_fmas_f32 v3, v3, v14, v16
	v_div_fixup_f32 v7, v3, v13, v7
	v_accvgpr_read_b32 v22, a50
	v_fma_f32 v3, -v15, v17, 1.0
	v_fmac_f32_e32 v17, v3, v17
	v_div_scale_f32 v3, vcc, v6, v13, v6
	v_mul_f32_e32 v14, v3, v17
	v_fma_f32 v16, -v15, v14, v3
	v_fmac_f32_e32 v14, v16, v17
	v_fma_f32 v3, -v15, v14, v3
	v_div_fmas_f32 v3, v3, v17, v14
	v_div_fixup_f32 v6, v3, v13, v6
	global_store_dwordx2 v[10:11], v[6:7], off
	ds_read2st64_b32 v[6:7], v22 offset0:33 offset1:66
	ds_read_b32 v1, v22 offset:25344
	v_cvt_f32_f16_sdwa v15, v9 dst_sel:DWORD dst_unused:UNUSED_PAD src0_sel:WORD_1
	v_cvt_f32_f16_e32 v14, v9
	v_ashrrev_i32_e32 v3, 31, v5
	s_waitcnt lgkmcnt(1)
	v_cvt_f32_f16_sdwa v17, v6 dst_sel:DWORD dst_unused:UNUSED_PAD src0_sel:WORD_1
	v_cvt_f32_f16_e32 v16, v6
	v_cvt_f32_f16_sdwa v19, v7 dst_sel:DWORD dst_unused:UNUSED_PAD src0_sel:WORD_1
	v_cvt_f32_f16_e32 v18, v7
	s_waitcnt lgkmcnt(0)
	v_cvt_f32_f16_sdwa v7, v1 dst_sel:DWORD dst_unused:UNUSED_PAD src0_sel:WORD_1
	v_cvt_f32_f16_e32 v6, v1
	v_add_co_u32_e32 v10, vcc, v34, v5
	v_pk_fma_f32 v[14:15], v[12:13], v[14:15], 0 op_sel_hi:[0,1,0]
	v_addc_co_u32_e32 v11, vcc, 0, v3, vcc
	v_pk_fma_f32 v[2:3], v[2:3], v[16:17], v[14:15] op_sel_hi:[0,1,1]
	v_mov_b32_e32 v5, s64
	v_pk_fma_f32 v[2:3], v[8:9], v[18:19], v[2:3] op_sel_hi:[0,1,1]
	v_pk_fma_f32 v[2:3], v[4:5], v[6:7], v[2:3] op_sel_hi:[0,1,1]
	v_div_scale_f32 v1, s[54:55], v13, v13, v3
	v_rcp_f32_e32 v6, v1
	v_lshlrev_b64 v[10:11], 3, v[10:11]
	v_add_co_u32_e32 v4, vcc, s57, v10
	v_addc_co_u32_e32 v5, vcc, v5, v11, vcc
	v_fma_f32 v7, -v1, v6, 1.0
	v_fmac_f32_e32 v6, v7, v6
	v_div_scale_f32 v7, vcc, v3, v13, v3
	v_mul_f32_e32 v8, v7, v6
	v_fma_f32 v9, -v1, v8, v7
	v_fmac_f32_e32 v8, v9, v6
	v_fma_f32 v1, -v1, v8, v7
	v_div_scale_f32 v7, s[54:55], v13, v13, v2
	v_rcp_f32_e32 v9, v7
	v_div_fmas_f32 v1, v1, v6, v8
	v_div_fixup_f32 v3, v1, v13, v3
	v_fma_f32 v1, -v7, v9, 1.0
	v_fmac_f32_e32 v9, v1, v9
	v_div_scale_f32 v1, vcc, v2, v13, v2
	v_mul_f32_e32 v6, v1, v9
	v_fma_f32 v8, -v7, v6, v1
	v_fmac_f32_e32 v6, v8, v9
	v_fma_f32 v1, -v7, v6, v1
	v_div_fmas_f32 v1, v1, v9, v6
	v_div_fixup_f32 v2, v1, v13, v2
	v_mov_b32_e32 v1, 0
	global_store_dwordx2 v[4:5], v[2:3], off offset:512
.LBB29_210:                             ;   in Loop: Header=BB29_12 Depth=1
	s_or_b64 exec, exec, s[10:11]
	v_cmp_gt_i32_e32 vcc, s6, v1
	s_mov_b64 s[10:11], -1
	s_and_saveexec_b64 s[72:73], vcc
; %bb.211:                              ;   in Loop: Header=BB29_12 Depth=1
	v_cmp_eq_u32_e32 vcc, 0, v1
	s_orn2_b64 s[10:11], vcc, exec
; %bb.212:                              ;   in Loop: Header=BB29_12 Depth=1
	s_or_b64 exec, exec, s[72:73]
	s_and_b64 exec, exec, s[10:11]
	s_cbranch_execz .LBB29_10
; %bb.213:                              ;   in Loop: Header=BB29_12 Depth=1
	v_accvgpr_read_b32 v1, a51
	v_add_u32_e32 v2, s74, v1
	v_accvgpr_read_b32 v1, a52
	v_or_b32_e32 v1, s7, v1
	v_cmp_gt_i32_e32 vcc, s28, v2
	v_cmp_gt_i32_e64 s[10:11], s33, v1
	s_and_b64 s[54:55], vcc, s[10:11]
	v_mov_b32_e32 v1, 0x47
	s_and_saveexec_b64 s[10:11], s[54:55]
	s_cbranch_execz .LBB29_215
; %bb.214:                              ;   in Loop: Header=BB29_12 Depth=1
	v_accvgpr_read_b32 v1, a54
	v_add_u32_e32 v1, 0, v1
	v_mul_lo_u32 v2, v2, s29
	v_accvgpr_read_b32 v3, a52
	v_accvgpr_read_b32 v10, a53
	v_add_lshl_u32 v5, v2, v3, 7
	ds_read2st64_b32 v[2:3], v1 offset0:35 offset1:68
	ds_read_b32 v4, v1 offset:25856
	ds_read2st64_b32 v[6:7], v10 offset0:33 offset1:66
	ds_read2st64_b32 v[8:9], v10 offset1:1
	ds_read_b32 v20, v10 offset:25344
	ds_read2_b32 v[12:13], v1 offset0:128 offset1:129
	v_add_u32_e32 v10, v34, v5
	s_waitcnt lgkmcnt(3)
	v_cvt_f32_f16_sdwa v17, v6 dst_sel:DWORD dst_unused:UNUSED_PAD src0_sel:WORD_1
	s_waitcnt lgkmcnt(2)
	v_cvt_f32_f16_sdwa v15, v8 dst_sel:DWORD dst_unused:UNUSED_PAD src0_sel:WORD_1
	v_cvt_f32_f16_e32 v14, v8
	v_cvt_f32_f16_e32 v16, v6
	v_cvt_f32_f16_sdwa v19, v7 dst_sel:DWORD dst_unused:UNUSED_PAD src0_sel:WORD_1
	v_cvt_f32_f16_e32 v18, v7
	s_waitcnt lgkmcnt(1)
	v_cvt_f32_f16_sdwa v7, v20 dst_sel:DWORD dst_unused:UNUSED_PAD src0_sel:WORD_1
	v_cvt_f32_f16_e32 v6, v20
	s_waitcnt lgkmcnt(0)
	v_pk_fma_f32 v[14:15], v[12:13], v[14:15], 0 op_sel_hi:[0,1,0]
	v_pk_fma_f32 v[14:15], v[2:3], v[16:17], v[14:15] op_sel_hi:[0,1,1]
	v_mov_b32_e32 v8, v3
	v_pk_fma_f32 v[14:15], v[8:9], v[18:19], v[14:15] op_sel_hi:[0,1,1]
	v_pk_fma_f32 v[6:7], v[4:5], v[6:7], v[14:15] op_sel_hi:[0,1,1]
	v_div_scale_f32 v3, s[54:55], v13, v13, v7
	v_rcp_f32_e32 v14, v3
	v_ashrrev_i32_e32 v11, 31, v10
	v_lshlrev_b64 v[10:11], 3, v[10:11]
	v_mov_b32_e32 v21, s64
	v_add_co_u32_e32 v10, vcc, s57, v10
	v_addc_co_u32_e32 v11, vcc, v21, v11, vcc
	v_fma_f32 v15, -v3, v14, 1.0
	v_fmac_f32_e32 v14, v15, v14
	v_div_scale_f32 v15, vcc, v7, v13, v7
	v_mul_f32_e32 v16, v15, v14
	v_fma_f32 v17, -v3, v16, v15
	v_fmac_f32_e32 v16, v17, v14
	v_fma_f32 v3, -v3, v16, v15
	v_div_scale_f32 v15, s[54:55], v13, v13, v6
	v_rcp_f32_e32 v17, v15
	v_div_fmas_f32 v3, v3, v14, v16
	v_div_fixup_f32 v7, v3, v13, v7
	v_accvgpr_read_b32 v22, a55
	v_fma_f32 v3, -v15, v17, 1.0
	v_fmac_f32_e32 v17, v3, v17
	v_div_scale_f32 v3, vcc, v6, v13, v6
	v_mul_f32_e32 v14, v3, v17
	v_fma_f32 v16, -v15, v14, v3
	v_fmac_f32_e32 v14, v16, v17
	v_fma_f32 v3, -v15, v14, v3
	v_div_fmas_f32 v3, v3, v17, v14
	v_div_fixup_f32 v6, v3, v13, v6
	global_store_dwordx2 v[10:11], v[6:7], off
	ds_read2st64_b32 v[6:7], v22 offset0:33 offset1:66
	ds_read_b32 v1, v22 offset:25344
	v_cvt_f32_f16_sdwa v15, v9 dst_sel:DWORD dst_unused:UNUSED_PAD src0_sel:WORD_1
	v_cvt_f32_f16_e32 v14, v9
	v_ashrrev_i32_e32 v3, 31, v5
	s_waitcnt lgkmcnt(1)
	v_cvt_f32_f16_sdwa v17, v6 dst_sel:DWORD dst_unused:UNUSED_PAD src0_sel:WORD_1
	v_cvt_f32_f16_e32 v16, v6
	v_cvt_f32_f16_sdwa v19, v7 dst_sel:DWORD dst_unused:UNUSED_PAD src0_sel:WORD_1
	v_cvt_f32_f16_e32 v18, v7
	s_waitcnt lgkmcnt(0)
	v_cvt_f32_f16_sdwa v7, v1 dst_sel:DWORD dst_unused:UNUSED_PAD src0_sel:WORD_1
	v_cvt_f32_f16_e32 v6, v1
	v_add_co_u32_e32 v10, vcc, v34, v5
	v_pk_fma_f32 v[14:15], v[12:13], v[14:15], 0 op_sel_hi:[0,1,0]
	v_addc_co_u32_e32 v11, vcc, 0, v3, vcc
	v_pk_fma_f32 v[2:3], v[2:3], v[16:17], v[14:15] op_sel_hi:[0,1,1]
	v_mov_b32_e32 v5, s64
	v_pk_fma_f32 v[2:3], v[8:9], v[18:19], v[2:3] op_sel_hi:[0,1,1]
	v_pk_fma_f32 v[2:3], v[4:5], v[6:7], v[2:3] op_sel_hi:[0,1,1]
	v_div_scale_f32 v1, s[54:55], v13, v13, v3
	v_rcp_f32_e32 v6, v1
	v_lshlrev_b64 v[10:11], 3, v[10:11]
	v_add_co_u32_e32 v4, vcc, s57, v10
	v_addc_co_u32_e32 v5, vcc, v5, v11, vcc
	v_fma_f32 v7, -v1, v6, 1.0
	v_fmac_f32_e32 v6, v7, v6
	v_div_scale_f32 v7, vcc, v3, v13, v3
	v_mul_f32_e32 v8, v7, v6
	v_fma_f32 v9, -v1, v8, v7
	v_fmac_f32_e32 v8, v9, v6
	v_fma_f32 v1, -v1, v8, v7
	v_div_scale_f32 v7, s[54:55], v13, v13, v2
	v_rcp_f32_e32 v9, v7
	v_div_fmas_f32 v1, v1, v6, v8
	v_div_fixup_f32 v3, v1, v13, v3
	v_fma_f32 v1, -v7, v9, 1.0
	v_fmac_f32_e32 v9, v1, v9
	v_div_scale_f32 v1, vcc, v2, v13, v2
	v_mul_f32_e32 v6, v1, v9
	v_fma_f32 v8, -v7, v6, v1
	v_fmac_f32_e32 v6, v8, v9
	v_fma_f32 v1, -v7, v6, v1
	v_div_fmas_f32 v1, v1, v9, v6
	v_div_fixup_f32 v2, v1, v13, v2
	v_mov_b32_e32 v1, 0
	global_store_dwordx2 v[4:5], v[2:3], off offset:512
.LBB29_215:                             ;   in Loop: Header=BB29_12 Depth=1
	s_or_b64 exec, exec, s[10:11]
	v_cmp_gt_i32_e32 vcc, s6, v1
	s_mov_b64 s[10:11], -1
	s_and_saveexec_b64 s[72:73], vcc
; %bb.216:                              ;   in Loop: Header=BB29_12 Depth=1
	v_cmp_eq_u32_e32 vcc, 0, v1
	s_orn2_b64 s[10:11], vcc, exec
; %bb.217:                              ;   in Loop: Header=BB29_12 Depth=1
	s_or_b64 exec, exec, s[72:73]
	s_and_b64 exec, exec, s[10:11]
	s_cbranch_execz .LBB29_10
; %bb.218:                              ;   in Loop: Header=BB29_12 Depth=1
	v_accvgpr_read_b32 v1, a56
	v_add_u32_e32 v2, s74, v1
	v_cmp_gt_i32_e32 vcc, s28, v2
	s_and_b64 s[54:55], vcc, s[8:9]
	v_mov_b32_e32 v1, 0x47
	s_and_saveexec_b64 s[10:11], s[54:55]
	s_cbranch_execz .LBB29_220
; %bb.219:                              ;   in Loop: Header=BB29_12 Depth=1
	v_accvgpr_read_b32 v1, a58
	v_add_u32_e32 v1, 0, v1
	v_mul_lo_u32 v2, v2, s29
	v_accvgpr_read_b32 v10, a57
	v_add_lshl_u32 v5, v2, v187, 7
	ds_read2st64_b32 v[2:3], v1 offset0:35 offset1:68
	ds_read_b32 v4, v1 offset:25856
	ds_read2st64_b32 v[6:7], v10 offset0:33 offset1:66
	ds_read2st64_b32 v[8:9], v10 offset1:1
	ds_read_b32 v20, v10 offset:25344
	ds_read2_b32 v[12:13], v1 offset0:128 offset1:129
	v_add_u32_e32 v10, v34, v5
	s_waitcnt lgkmcnt(3)
	v_cvt_f32_f16_sdwa v17, v6 dst_sel:DWORD dst_unused:UNUSED_PAD src0_sel:WORD_1
	s_waitcnt lgkmcnt(2)
	v_cvt_f32_f16_sdwa v15, v8 dst_sel:DWORD dst_unused:UNUSED_PAD src0_sel:WORD_1
	v_cvt_f32_f16_e32 v14, v8
	v_cvt_f32_f16_e32 v16, v6
	v_cvt_f32_f16_sdwa v19, v7 dst_sel:DWORD dst_unused:UNUSED_PAD src0_sel:WORD_1
	v_cvt_f32_f16_e32 v18, v7
	s_waitcnt lgkmcnt(1)
	v_cvt_f32_f16_sdwa v7, v20 dst_sel:DWORD dst_unused:UNUSED_PAD src0_sel:WORD_1
	v_cvt_f32_f16_e32 v6, v20
	s_waitcnt lgkmcnt(0)
	v_pk_fma_f32 v[14:15], v[12:13], v[14:15], 0 op_sel_hi:[0,1,0]
	v_pk_fma_f32 v[14:15], v[2:3], v[16:17], v[14:15] op_sel_hi:[0,1,1]
	v_mov_b32_e32 v8, v3
	v_pk_fma_f32 v[14:15], v[8:9], v[18:19], v[14:15] op_sel_hi:[0,1,1]
	v_pk_fma_f32 v[6:7], v[4:5], v[6:7], v[14:15] op_sel_hi:[0,1,1]
	v_div_scale_f32 v3, s[54:55], v13, v13, v7
	v_rcp_f32_e32 v14, v3
	v_ashrrev_i32_e32 v11, 31, v10
	v_lshlrev_b64 v[10:11], 3, v[10:11]
	v_mov_b32_e32 v21, s64
	v_add_co_u32_e32 v10, vcc, s57, v10
	v_addc_co_u32_e32 v11, vcc, v21, v11, vcc
	v_fma_f32 v15, -v3, v14, 1.0
	v_fmac_f32_e32 v14, v15, v14
	v_div_scale_f32 v15, vcc, v7, v13, v7
	v_mul_f32_e32 v16, v15, v14
	v_fma_f32 v17, -v3, v16, v15
	v_fmac_f32_e32 v16, v17, v14
	v_fma_f32 v3, -v3, v16, v15
	v_div_scale_f32 v15, s[54:55], v13, v13, v6
	v_rcp_f32_e32 v17, v15
	v_div_fmas_f32 v3, v3, v14, v16
	v_div_fixup_f32 v7, v3, v13, v7
	v_accvgpr_read_b32 v22, a59
	v_fma_f32 v3, -v15, v17, 1.0
	v_fmac_f32_e32 v17, v3, v17
	v_div_scale_f32 v3, vcc, v6, v13, v6
	v_mul_f32_e32 v14, v3, v17
	v_fma_f32 v16, -v15, v14, v3
	v_fmac_f32_e32 v14, v16, v17
	v_fma_f32 v3, -v15, v14, v3
	v_div_fmas_f32 v3, v3, v17, v14
	v_div_fixup_f32 v6, v3, v13, v6
	global_store_dwordx2 v[10:11], v[6:7], off
	ds_read2st64_b32 v[6:7], v22 offset0:33 offset1:66
	ds_read_b32 v1, v22 offset:25344
	v_cvt_f32_f16_sdwa v15, v9 dst_sel:DWORD dst_unused:UNUSED_PAD src0_sel:WORD_1
	v_cvt_f32_f16_e32 v14, v9
	v_ashrrev_i32_e32 v3, 31, v5
	s_waitcnt lgkmcnt(1)
	v_cvt_f32_f16_sdwa v17, v6 dst_sel:DWORD dst_unused:UNUSED_PAD src0_sel:WORD_1
	v_cvt_f32_f16_e32 v16, v6
	v_cvt_f32_f16_sdwa v19, v7 dst_sel:DWORD dst_unused:UNUSED_PAD src0_sel:WORD_1
	v_cvt_f32_f16_e32 v18, v7
	s_waitcnt lgkmcnt(0)
	v_cvt_f32_f16_sdwa v7, v1 dst_sel:DWORD dst_unused:UNUSED_PAD src0_sel:WORD_1
	v_cvt_f32_f16_e32 v6, v1
	v_add_co_u32_e32 v10, vcc, v34, v5
	v_pk_fma_f32 v[14:15], v[12:13], v[14:15], 0 op_sel_hi:[0,1,0]
	v_addc_co_u32_e32 v11, vcc, 0, v3, vcc
	v_pk_fma_f32 v[2:3], v[2:3], v[16:17], v[14:15] op_sel_hi:[0,1,1]
	v_mov_b32_e32 v5, s64
	v_pk_fma_f32 v[2:3], v[8:9], v[18:19], v[2:3] op_sel_hi:[0,1,1]
	v_pk_fma_f32 v[2:3], v[4:5], v[6:7], v[2:3] op_sel_hi:[0,1,1]
	v_div_scale_f32 v1, s[54:55], v13, v13, v3
	v_rcp_f32_e32 v6, v1
	v_lshlrev_b64 v[10:11], 3, v[10:11]
	v_add_co_u32_e32 v4, vcc, s57, v10
	v_addc_co_u32_e32 v5, vcc, v5, v11, vcc
	v_fma_f32 v7, -v1, v6, 1.0
	v_fmac_f32_e32 v6, v7, v6
	v_div_scale_f32 v7, vcc, v3, v13, v3
	v_mul_f32_e32 v8, v7, v6
	v_fma_f32 v9, -v1, v8, v7
	v_fmac_f32_e32 v8, v9, v6
	v_fma_f32 v1, -v1, v8, v7
	v_div_scale_f32 v7, s[54:55], v13, v13, v2
	v_rcp_f32_e32 v9, v7
	v_div_fmas_f32 v1, v1, v6, v8
	v_div_fixup_f32 v3, v1, v13, v3
	v_fma_f32 v1, -v7, v9, 1.0
	v_fmac_f32_e32 v9, v1, v9
	v_div_scale_f32 v1, vcc, v2, v13, v2
	v_mul_f32_e32 v6, v1, v9
	v_fma_f32 v8, -v7, v6, v1
	v_fmac_f32_e32 v6, v8, v9
	v_fma_f32 v1, -v7, v6, v1
	v_div_fmas_f32 v1, v1, v9, v6
	v_div_fixup_f32 v2, v1, v13, v2
	v_mov_b32_e32 v1, 0
	global_store_dwordx2 v[4:5], v[2:3], off offset:512
.LBB29_220:                             ;   in Loop: Header=BB29_12 Depth=1
	s_or_b64 exec, exec, s[10:11]
	v_cmp_gt_i32_e32 vcc, s6, v1
	s_mov_b64 s[10:11], -1
	s_and_saveexec_b64 s[72:73], vcc
; %bb.221:                              ;   in Loop: Header=BB29_12 Depth=1
	v_cmp_eq_u32_e32 vcc, 0, v1
	s_orn2_b64 s[10:11], vcc, exec
; %bb.222:                              ;   in Loop: Header=BB29_12 Depth=1
	s_or_b64 exec, exec, s[72:73]
	s_and_b64 exec, exec, s[10:11]
	s_cbranch_execz .LBB29_10
; %bb.223:                              ;   in Loop: Header=BB29_12 Depth=1
	v_accvgpr_read_b32 v1, a60
	v_add_u32_e32 v2, s74, v1
	v_accvgpr_read_b32 v1, a61
	v_or_b32_e32 v1, s7, v1
	v_cmp_gt_i32_e32 vcc, s28, v2
	v_cmp_gt_i32_e64 s[10:11], s33, v1
	s_and_b64 s[54:55], vcc, s[10:11]
	v_mov_b32_e32 v1, 0x47
	s_and_saveexec_b64 s[10:11], s[54:55]
	s_cbranch_execz .LBB29_225
; %bb.224:                              ;   in Loop: Header=BB29_12 Depth=1
	v_accvgpr_read_b32 v1, a63
	v_add_u32_e32 v1, 0, v1
	v_mul_lo_u32 v2, v2, s29
	v_accvgpr_read_b32 v3, a61
	v_accvgpr_read_b32 v10, a62
	v_add_lshl_u32 v5, v2, v3, 7
	ds_read2st64_b32 v[2:3], v1 offset0:35 offset1:68
	ds_read_b32 v4, v1 offset:25856
	ds_read2st64_b32 v[6:7], v10 offset0:33 offset1:66
	ds_read2st64_b32 v[8:9], v10 offset1:1
	ds_read_b32 v20, v10 offset:25344
	ds_read2_b32 v[12:13], v1 offset0:128 offset1:129
	v_add_u32_e32 v10, v34, v5
	s_waitcnt lgkmcnt(3)
	v_cvt_f32_f16_sdwa v17, v6 dst_sel:DWORD dst_unused:UNUSED_PAD src0_sel:WORD_1
	s_waitcnt lgkmcnt(2)
	v_cvt_f32_f16_sdwa v15, v8 dst_sel:DWORD dst_unused:UNUSED_PAD src0_sel:WORD_1
	v_cvt_f32_f16_e32 v14, v8
	v_cvt_f32_f16_e32 v16, v6
	v_cvt_f32_f16_sdwa v19, v7 dst_sel:DWORD dst_unused:UNUSED_PAD src0_sel:WORD_1
	v_cvt_f32_f16_e32 v18, v7
	s_waitcnt lgkmcnt(1)
	v_cvt_f32_f16_sdwa v7, v20 dst_sel:DWORD dst_unused:UNUSED_PAD src0_sel:WORD_1
	v_cvt_f32_f16_e32 v6, v20
	s_waitcnt lgkmcnt(0)
	v_pk_fma_f32 v[14:15], v[12:13], v[14:15], 0 op_sel_hi:[0,1,0]
	v_pk_fma_f32 v[14:15], v[2:3], v[16:17], v[14:15] op_sel_hi:[0,1,1]
	v_mov_b32_e32 v8, v3
	v_pk_fma_f32 v[14:15], v[8:9], v[18:19], v[14:15] op_sel_hi:[0,1,1]
	v_pk_fma_f32 v[6:7], v[4:5], v[6:7], v[14:15] op_sel_hi:[0,1,1]
	v_div_scale_f32 v3, s[54:55], v13, v13, v7
	v_rcp_f32_e32 v14, v3
	v_ashrrev_i32_e32 v11, 31, v10
	v_lshlrev_b64 v[10:11], 3, v[10:11]
	v_mov_b32_e32 v21, s64
	v_add_co_u32_e32 v10, vcc, s57, v10
	v_addc_co_u32_e32 v11, vcc, v21, v11, vcc
	v_fma_f32 v15, -v3, v14, 1.0
	v_fmac_f32_e32 v14, v15, v14
	v_div_scale_f32 v15, vcc, v7, v13, v7
	v_mul_f32_e32 v16, v15, v14
	v_fma_f32 v17, -v3, v16, v15
	v_fmac_f32_e32 v16, v17, v14
	v_fma_f32 v3, -v3, v16, v15
	v_div_scale_f32 v15, s[54:55], v13, v13, v6
	v_rcp_f32_e32 v17, v15
	v_div_fmas_f32 v3, v3, v14, v16
	v_div_fixup_f32 v7, v3, v13, v7
	v_accvgpr_read_b32 v22, a64
	v_fma_f32 v3, -v15, v17, 1.0
	v_fmac_f32_e32 v17, v3, v17
	v_div_scale_f32 v3, vcc, v6, v13, v6
	v_mul_f32_e32 v14, v3, v17
	v_fma_f32 v16, -v15, v14, v3
	v_fmac_f32_e32 v14, v16, v17
	v_fma_f32 v3, -v15, v14, v3
	v_div_fmas_f32 v3, v3, v17, v14
	v_div_fixup_f32 v6, v3, v13, v6
	global_store_dwordx2 v[10:11], v[6:7], off
	ds_read2st64_b32 v[6:7], v22 offset0:33 offset1:66
	ds_read_b32 v1, v22 offset:25344
	v_cvt_f32_f16_sdwa v15, v9 dst_sel:DWORD dst_unused:UNUSED_PAD src0_sel:WORD_1
	v_cvt_f32_f16_e32 v14, v9
	v_ashrrev_i32_e32 v3, 31, v5
	s_waitcnt lgkmcnt(1)
	v_cvt_f32_f16_sdwa v17, v6 dst_sel:DWORD dst_unused:UNUSED_PAD src0_sel:WORD_1
	v_cvt_f32_f16_e32 v16, v6
	v_cvt_f32_f16_sdwa v19, v7 dst_sel:DWORD dst_unused:UNUSED_PAD src0_sel:WORD_1
	v_cvt_f32_f16_e32 v18, v7
	s_waitcnt lgkmcnt(0)
	v_cvt_f32_f16_sdwa v7, v1 dst_sel:DWORD dst_unused:UNUSED_PAD src0_sel:WORD_1
	v_cvt_f32_f16_e32 v6, v1
	v_add_co_u32_e32 v10, vcc, v34, v5
	v_pk_fma_f32 v[14:15], v[12:13], v[14:15], 0 op_sel_hi:[0,1,0]
	v_addc_co_u32_e32 v11, vcc, 0, v3, vcc
	v_pk_fma_f32 v[2:3], v[2:3], v[16:17], v[14:15] op_sel_hi:[0,1,1]
	v_mov_b32_e32 v5, s64
	v_pk_fma_f32 v[2:3], v[8:9], v[18:19], v[2:3] op_sel_hi:[0,1,1]
	v_pk_fma_f32 v[2:3], v[4:5], v[6:7], v[2:3] op_sel_hi:[0,1,1]
	v_div_scale_f32 v1, s[54:55], v13, v13, v3
	v_rcp_f32_e32 v6, v1
	v_lshlrev_b64 v[10:11], 3, v[10:11]
	v_add_co_u32_e32 v4, vcc, s57, v10
	v_addc_co_u32_e32 v5, vcc, v5, v11, vcc
	v_fma_f32 v7, -v1, v6, 1.0
	v_fmac_f32_e32 v6, v7, v6
	v_div_scale_f32 v7, vcc, v3, v13, v3
	v_mul_f32_e32 v8, v7, v6
	v_fma_f32 v9, -v1, v8, v7
	v_fmac_f32_e32 v8, v9, v6
	v_fma_f32 v1, -v1, v8, v7
	v_div_scale_f32 v7, s[54:55], v13, v13, v2
	v_rcp_f32_e32 v9, v7
	v_div_fmas_f32 v1, v1, v6, v8
	v_div_fixup_f32 v3, v1, v13, v3
	v_fma_f32 v1, -v7, v9, 1.0
	v_fmac_f32_e32 v9, v1, v9
	v_div_scale_f32 v1, vcc, v2, v13, v2
	v_mul_f32_e32 v6, v1, v9
	v_fma_f32 v8, -v7, v6, v1
	v_fmac_f32_e32 v6, v8, v9
	v_fma_f32 v1, -v7, v6, v1
	v_div_fmas_f32 v1, v1, v9, v6
	v_div_fixup_f32 v2, v1, v13, v2
	v_mov_b32_e32 v1, 0
	global_store_dwordx2 v[4:5], v[2:3], off offset:512
.LBB29_225:                             ;   in Loop: Header=BB29_12 Depth=1
	s_or_b64 exec, exec, s[10:11]
	v_cmp_gt_i32_e32 vcc, s6, v1
	s_mov_b64 s[10:11], -1
	s_and_saveexec_b64 s[72:73], vcc
; %bb.226:                              ;   in Loop: Header=BB29_12 Depth=1
	v_cmp_eq_u32_e32 vcc, 0, v1
	s_orn2_b64 s[10:11], vcc, exec
; %bb.227:                              ;   in Loop: Header=BB29_12 Depth=1
	s_or_b64 exec, exec, s[72:73]
	s_and_b64 exec, exec, s[10:11]
	s_cbranch_execz .LBB29_10
; %bb.228:                              ;   in Loop: Header=BB29_12 Depth=1
	v_accvgpr_read_b32 v1, a65
	v_add_u32_e32 v2, s74, v1
	v_cmp_gt_i32_e32 vcc, s28, v2
	s_and_b64 s[10:11], vcc, s[8:9]
	v_mov_b32_e32 v1, 0x47
	s_and_saveexec_b64 s[8:9], s[10:11]
	s_cbranch_execz .LBB29_230
; %bb.229:                              ;   in Loop: Header=BB29_12 Depth=1
	v_accvgpr_read_b32 v1, a67
	v_add_u32_e32 v1, 0, v1
	v_mul_lo_u32 v2, v2, s29
	v_accvgpr_read_b32 v10, a66
	v_add_lshl_u32 v5, v2, v187, 7
	ds_read2st64_b32 v[2:3], v1 offset0:35 offset1:68
	ds_read_b32 v4, v1 offset:25856
	ds_read2st64_b32 v[6:7], v10 offset0:33 offset1:66
	ds_read2st64_b32 v[8:9], v10 offset1:1
	ds_read_b32 v20, v10 offset:25344
	ds_read2_b32 v[12:13], v1 offset0:128 offset1:129
	v_add_u32_e32 v10, v34, v5
	s_waitcnt lgkmcnt(3)
	v_cvt_f32_f16_sdwa v17, v6 dst_sel:DWORD dst_unused:UNUSED_PAD src0_sel:WORD_1
	s_waitcnt lgkmcnt(2)
	v_cvt_f32_f16_sdwa v15, v8 dst_sel:DWORD dst_unused:UNUSED_PAD src0_sel:WORD_1
	v_cvt_f32_f16_e32 v14, v8
	v_cvt_f32_f16_e32 v16, v6
	v_cvt_f32_f16_sdwa v19, v7 dst_sel:DWORD dst_unused:UNUSED_PAD src0_sel:WORD_1
	v_cvt_f32_f16_e32 v18, v7
	s_waitcnt lgkmcnt(1)
	v_cvt_f32_f16_sdwa v7, v20 dst_sel:DWORD dst_unused:UNUSED_PAD src0_sel:WORD_1
	v_cvt_f32_f16_e32 v6, v20
	s_waitcnt lgkmcnt(0)
	v_pk_fma_f32 v[14:15], v[12:13], v[14:15], 0 op_sel_hi:[0,1,0]
	v_pk_fma_f32 v[14:15], v[2:3], v[16:17], v[14:15] op_sel_hi:[0,1,1]
	v_mov_b32_e32 v8, v3
	v_pk_fma_f32 v[14:15], v[8:9], v[18:19], v[14:15] op_sel_hi:[0,1,1]
	v_pk_fma_f32 v[6:7], v[4:5], v[6:7], v[14:15] op_sel_hi:[0,1,1]
	v_div_scale_f32 v3, s[10:11], v13, v13, v7
	v_rcp_f32_e32 v14, v3
	v_ashrrev_i32_e32 v11, 31, v10
	v_lshlrev_b64 v[10:11], 3, v[10:11]
	v_mov_b32_e32 v21, s64
	v_add_co_u32_e32 v10, vcc, s57, v10
	v_addc_co_u32_e32 v11, vcc, v21, v11, vcc
	v_fma_f32 v15, -v3, v14, 1.0
	v_fmac_f32_e32 v14, v15, v14
	v_div_scale_f32 v15, vcc, v7, v13, v7
	v_mul_f32_e32 v16, v15, v14
	v_fma_f32 v17, -v3, v16, v15
	v_fmac_f32_e32 v16, v17, v14
	v_fma_f32 v3, -v3, v16, v15
	v_div_scale_f32 v15, s[10:11], v13, v13, v6
	v_rcp_f32_e32 v17, v15
	v_div_fmas_f32 v3, v3, v14, v16
	v_div_fixup_f32 v7, v3, v13, v7
	v_accvgpr_read_b32 v22, a68
	v_fma_f32 v3, -v15, v17, 1.0
	v_fmac_f32_e32 v17, v3, v17
	v_div_scale_f32 v3, vcc, v6, v13, v6
	v_mul_f32_e32 v14, v3, v17
	v_fma_f32 v16, -v15, v14, v3
	v_fmac_f32_e32 v14, v16, v17
	v_fma_f32 v3, -v15, v14, v3
	v_div_fmas_f32 v3, v3, v17, v14
	v_div_fixup_f32 v6, v3, v13, v6
	global_store_dwordx2 v[10:11], v[6:7], off
	ds_read2st64_b32 v[6:7], v22 offset0:33 offset1:66
	ds_read_b32 v1, v22 offset:25344
	v_cvt_f32_f16_sdwa v15, v9 dst_sel:DWORD dst_unused:UNUSED_PAD src0_sel:WORD_1
	v_cvt_f32_f16_e32 v14, v9
	v_ashrrev_i32_e32 v3, 31, v5
	s_waitcnt lgkmcnt(1)
	v_cvt_f32_f16_sdwa v17, v6 dst_sel:DWORD dst_unused:UNUSED_PAD src0_sel:WORD_1
	v_cvt_f32_f16_e32 v16, v6
	v_cvt_f32_f16_sdwa v19, v7 dst_sel:DWORD dst_unused:UNUSED_PAD src0_sel:WORD_1
	v_cvt_f32_f16_e32 v18, v7
	s_waitcnt lgkmcnt(0)
	v_cvt_f32_f16_sdwa v7, v1 dst_sel:DWORD dst_unused:UNUSED_PAD src0_sel:WORD_1
	v_cvt_f32_f16_e32 v6, v1
	v_add_co_u32_e32 v10, vcc, v34, v5
	v_pk_fma_f32 v[14:15], v[12:13], v[14:15], 0 op_sel_hi:[0,1,0]
	v_addc_co_u32_e32 v11, vcc, 0, v3, vcc
	v_pk_fma_f32 v[2:3], v[2:3], v[16:17], v[14:15] op_sel_hi:[0,1,1]
	v_mov_b32_e32 v5, s64
	v_pk_fma_f32 v[2:3], v[8:9], v[18:19], v[2:3] op_sel_hi:[0,1,1]
	v_pk_fma_f32 v[2:3], v[4:5], v[6:7], v[2:3] op_sel_hi:[0,1,1]
	v_div_scale_f32 v1, s[10:11], v13, v13, v3
	v_rcp_f32_e32 v6, v1
	v_lshlrev_b64 v[10:11], 3, v[10:11]
	v_add_co_u32_e32 v4, vcc, s57, v10
	v_addc_co_u32_e32 v5, vcc, v5, v11, vcc
	v_fma_f32 v7, -v1, v6, 1.0
	v_fmac_f32_e32 v6, v7, v6
	v_div_scale_f32 v7, vcc, v3, v13, v3
	v_mul_f32_e32 v8, v7, v6
	v_fma_f32 v9, -v1, v8, v7
	v_fmac_f32_e32 v8, v9, v6
	v_fma_f32 v1, -v1, v8, v7
	v_div_scale_f32 v7, s[10:11], v13, v13, v2
	v_rcp_f32_e32 v9, v7
	v_div_fmas_f32 v1, v1, v6, v8
	v_div_fixup_f32 v3, v1, v13, v3
	v_fma_f32 v1, -v7, v9, 1.0
	v_fmac_f32_e32 v9, v1, v9
	v_div_scale_f32 v1, vcc, v2, v13, v2
	v_mul_f32_e32 v6, v1, v9
	v_fma_f32 v8, -v7, v6, v1
	v_fmac_f32_e32 v6, v8, v9
	v_fma_f32 v1, -v7, v6, v1
	v_div_fmas_f32 v1, v1, v9, v6
	v_div_fixup_f32 v2, v1, v13, v2
	v_mov_b32_e32 v1, 0
	global_store_dwordx2 v[4:5], v[2:3], off offset:512
.LBB29_230:                             ;   in Loop: Header=BB29_12 Depth=1
	s_or_b64 exec, exec, s[8:9]
	v_cmp_gt_i32_e32 vcc, s6, v1
	s_mov_b64 s[8:9], -1
	s_and_saveexec_b64 s[10:11], vcc
; %bb.231:                              ;   in Loop: Header=BB29_12 Depth=1
	v_cmp_eq_u32_e32 vcc, 0, v1
	s_orn2_b64 s[8:9], vcc, exec
; %bb.232:                              ;   in Loop: Header=BB29_12 Depth=1
	s_or_b64 exec, exec, s[10:11]
	s_and_b64 exec, exec, s[8:9]
	s_cbranch_execz .LBB29_10
; %bb.233:                              ;   in Loop: Header=BB29_12 Depth=1
	v_accvgpr_read_b32 v1, a69
	v_accvgpr_read_b32 v2, a70
	v_add_u32_e32 v1, s74, v1
	v_or_b32_e32 v2, s7, v2
	v_cmp_gt_i32_e32 vcc, s28, v1
	v_cmp_gt_i32_e64 s[8:9], s33, v2
	s_and_b64 s[6:7], vcc, s[8:9]
	s_and_b64 exec, exec, s[6:7]
	s_cbranch_execz .LBB29_10
; %bb.234:                              ;   in Loop: Header=BB29_12 Depth=1
	v_accvgpr_read_b32 v2, a71
	v_add_u32_e32 v5, 0, v2
	v_mul_lo_u32 v1, v1, s29
	v_accvgpr_read_b32 v2, a70
	v_accvgpr_read_b32 v10, a72
	v_add_lshl_u32 v1, v1, v2, 7
	ds_read2st64_b32 v[2:3], v5 offset0:35 offset1:68
	ds_read_b32 v4, v5 offset:25856
	ds_read2st64_b32 v[6:7], v10 offset0:33 offset1:66
	ds_read2st64_b32 v[8:9], v10 offset1:1
	ds_read_b32 v20, v10 offset:25344
	ds_read2_b32 v[12:13], v5 offset0:128 offset1:129
	v_accvgpr_read_b32 v22, a73
	s_waitcnt lgkmcnt(3)
	v_cvt_f32_f16_sdwa v17, v6 dst_sel:DWORD dst_unused:UNUSED_PAD src0_sel:WORD_1
	s_waitcnt lgkmcnt(2)
	v_cvt_f32_f16_sdwa v15, v8 dst_sel:DWORD dst_unused:UNUSED_PAD src0_sel:WORD_1
	v_cvt_f32_f16_e32 v14, v8
	v_cvt_f32_f16_e32 v16, v6
	ds_read_b32 v5, v22 offset:25344
	v_cvt_f32_f16_sdwa v19, v7 dst_sel:DWORD dst_unused:UNUSED_PAD src0_sel:WORD_1
	v_cvt_f32_f16_e32 v18, v7
	s_waitcnt lgkmcnt(2)
	v_cvt_f32_f16_sdwa v7, v20 dst_sel:DWORD dst_unused:UNUSED_PAD src0_sel:WORD_1
	v_cvt_f32_f16_e32 v6, v20
	s_waitcnt lgkmcnt(1)
	v_pk_fma_f32 v[14:15], v[12:13], v[14:15], 0 op_sel_hi:[0,1,0]
	v_pk_fma_f32 v[14:15], v[2:3], v[16:17], v[14:15] op_sel_hi:[0,1,1]
	v_mov_b32_e32 v8, v3
	v_pk_fma_f32 v[14:15], v[8:9], v[18:19], v[14:15] op_sel_hi:[0,1,1]
	s_waitcnt lgkmcnt(0)
	v_pk_fma_f32 v[6:7], v[4:5], v[6:7], v[14:15] op_sel_hi:[0,1,1]
	v_div_scale_f32 v3, s[6:7], v13, v13, v7
	v_add_u32_e32 v10, v34, v1
	v_rcp_f32_e32 v14, v3
	v_ashrrev_i32_e32 v11, 31, v10
	v_lshlrev_b64 v[10:11], 3, v[10:11]
	v_mov_b32_e32 v21, s64
	v_add_co_u32_e32 v10, vcc, s57, v10
	v_addc_co_u32_e32 v11, vcc, v21, v11, vcc
	v_fma_f32 v15, -v3, v14, 1.0
	v_fmac_f32_e32 v14, v15, v14
	v_div_scale_f32 v15, vcc, v7, v13, v7
	v_mul_f32_e32 v16, v15, v14
	v_fma_f32 v17, -v3, v16, v15
	v_fmac_f32_e32 v16, v17, v14
	v_fma_f32 v3, -v3, v16, v15
	v_div_scale_f32 v15, s[6:7], v13, v13, v6
	v_rcp_f32_e32 v17, v15
	v_div_fmas_f32 v3, v3, v14, v16
	v_div_fixup_f32 v7, v3, v13, v7
	v_fma_f32 v3, -v15, v17, 1.0
	v_fmac_f32_e32 v17, v3, v17
	v_div_scale_f32 v3, vcc, v6, v13, v6
	v_mul_f32_e32 v14, v3, v17
	v_fma_f32 v16, -v15, v14, v3
	v_fmac_f32_e32 v14, v16, v17
	v_fma_f32 v3, -v15, v14, v3
	v_div_fmas_f32 v3, v3, v17, v14
	v_div_fixup_f32 v6, v3, v13, v6
	global_store_dwordx2 v[10:11], v[6:7], off
	ds_read2st64_b32 v[6:7], v22 offset0:33 offset1:66
	v_cvt_f32_f16_sdwa v15, v9 dst_sel:DWORD dst_unused:UNUSED_PAD src0_sel:WORD_1
	v_cvt_f32_f16_e32 v14, v9
	v_ashrrev_i32_e32 v3, 31, v1
	v_add_co_u32_e32 v10, vcc, v34, v1
	s_waitcnt lgkmcnt(0)
	v_cvt_f32_f16_sdwa v17, v6 dst_sel:DWORD dst_unused:UNUSED_PAD src0_sel:WORD_1
	v_cvt_f32_f16_e32 v16, v6
	v_cvt_f32_f16_sdwa v19, v7 dst_sel:DWORD dst_unused:UNUSED_PAD src0_sel:WORD_1
	v_cvt_f32_f16_e32 v18, v7
	;; [unrolled: 2-line block ×3, first 2 shown]
	v_pk_fma_f32 v[14:15], v[12:13], v[14:15], 0 op_sel_hi:[0,1,0]
	v_addc_co_u32_e32 v11, vcc, 0, v3, vcc
	v_pk_fma_f32 v[2:3], v[2:3], v[16:17], v[14:15] op_sel_hi:[0,1,1]
	v_pk_fma_f32 v[2:3], v[8:9], v[18:19], v[2:3] op_sel_hi:[0,1,1]
	;; [unrolled: 1-line block ×3, first 2 shown]
	v_div_scale_f32 v6, s[6:7], v13, v13, v3
	v_rcp_f32_e32 v7, v6
	v_lshlrev_b64 v[10:11], 3, v[10:11]
	v_mov_b32_e32 v1, s64
	v_add_co_u32_e32 v4, vcc, s57, v10
	v_addc_co_u32_e32 v5, vcc, v1, v11, vcc
	v_fma_f32 v1, -v6, v7, 1.0
	v_fmac_f32_e32 v7, v1, v7
	v_div_scale_f32 v1, vcc, v3, v13, v3
	v_mul_f32_e32 v8, v1, v7
	v_fma_f32 v9, -v6, v8, v1
	v_fmac_f32_e32 v8, v9, v7
	v_fma_f32 v1, -v6, v8, v1
	v_div_scale_f32 v6, s[6:7], v13, v13, v2
	v_rcp_f32_e32 v9, v6
	v_div_fmas_f32 v1, v1, v7, v8
	v_div_fixup_f32 v3, v1, v13, v3
	v_fma_f32 v1, -v6, v9, 1.0
	v_fmac_f32_e32 v9, v1, v9
	v_div_scale_f32 v1, vcc, v2, v13, v2
	v_mul_f32_e32 v7, v1, v9
	v_fma_f32 v8, -v6, v7, v1
	v_fmac_f32_e32 v7, v8, v9
	v_fma_f32 v1, -v6, v7, v1
	v_div_fmas_f32 v1, v1, v9, v7
	v_div_fixup_f32 v2, v1, v13, v2
	global_store_dwordx2 v[4:5], v[2:3], off offset:512
	s_branch .LBB29_10
.LBB29_235:
	s_mov_b32 s50, s7
	s_andn2_b64 vcc, exec, s[8:9]
	s_cbranch_vccz .LBB29_238
.LBB29_236:
	s_endpgm
.LBB29_237:
	v_readlane_b32 s49, v255, 10
	v_readlane_b32 s41, v255, 5
	;; [unrolled: 1-line block ×4, first 2 shown]
	v_accvgpr_read_b32 v250, a4
	v_accvgpr_read_b32 v251, a5
	;; [unrolled: 1-line block ×5, first 2 shown]
	v_readlane_b32 s11, v255, 12
	s_andn2_b64 vcc, exec, s[8:9]
	s_cbranch_vccnz .LBB29_236
.LBB29_238:
	s_abs_i32 s0, s50
	v_cvt_f32_u32_e32 v1, s0
	s_sub_i32 s3, 0, s0
	s_abs_i32 s2, s52
	s_xor_b32 s1, s52, s50
	v_rcp_iflag_f32_e32 v1, v1
	s_ashr_i32 s1, s1, 31
	v_readlane_b32 s8, v255, 2
	v_readlane_b32 s9, v255, 1
	v_mul_f32_e32 v1, 0x4f7ffffe, v1
	v_cvt_u32_f32_e32 v1, v1
	v_mov_b32_e32 v32, s77
	v_readfirstlane_b32 s4, v1
	s_mul_i32 s3, s3, s4
	s_mul_hi_u32 s3, s4, s3
	s_add_i32 s4, s4, s3
	s_mul_hi_u32 s3, s2, s4
	s_mul_i32 s4, s3, s0
	s_sub_i32 s2, s2, s4
	s_add_i32 s5, s3, 1
	s_sub_i32 s4, s2, s0
	s_cmp_ge_u32 s2, s0
	s_cselect_b32 s3, s5, s3
	s_cselect_b32 s2, s4, s2
	s_add_i32 s4, s3, 1
	s_cmp_ge_u32 s2, s0
	s_cselect_b32 s0, s4, s3
	s_abs_i32 s2, s8
	v_cvt_f32_u32_e32 v1, s2
	s_xor_b32 s0, s0, s1
	s_sub_i32 s3, 0, s2
	s_sub_i32 s4, s0, s1
	v_rcp_iflag_f32_e32 v1, v1
	s_mul_i32 s0, s4, s50
	s_sub_i32 s0, s52, s0
	s_abs_i32 s5, s0
	v_mul_f32_e32 v1, 0x4f7ffffe, v1
	v_cvt_u32_f32_e32 v1, v1
	s_xor_b32 s1, s0, s8
	s_ashr_i32 s1, s1, 31
	v_readfirstlane_b32 s6, v1
	s_mul_i32 s3, s3, s6
	s_mul_hi_u32 s3, s6, s3
	s_add_i32 s6, s6, s3
	s_mul_hi_u32 s3, s5, s6
	s_mul_i32 s6, s3, s2
	s_sub_i32 s5, s5, s6
	s_add_i32 s7, s3, 1
	s_sub_i32 s6, s5, s2
	s_cmp_ge_u32 s5, s2
	s_cselect_b32 s3, s7, s3
	s_cselect_b32 s5, s6, s5
	s_add_i32 s6, s3, 1
	s_cmp_ge_u32 s5, s2
	s_cselect_b32 s2, s6, s3
	s_abs_i32 s3, s9
	v_cvt_f32_u32_e32 v1, s3
	s_xor_b32 s2, s2, s1
	s_sub_i32 s6, 0, s3
	s_sub_i32 s5, s2, s1
	v_rcp_iflag_f32_e32 v1, v1
	s_mul_i32 s1, s5, s8
	s_sub_i32 s1, s0, s1
	s_abs_i32 s2, s1
	v_mul_f32_e32 v1, 0x4f7ffffe, v1
	v_cvt_u32_f32_e32 v1, v1
	s_xor_b32 s0, s1, s9
	s_ashr_i32 s0, s0, 31
	v_readfirstlane_b32 s7, v1
	s_mul_i32 s6, s6, s7
	s_mul_hi_u32 s6, s7, s6
	s_add_i32 s7, s7, s6
	s_mul_hi_u32 s6, s2, s7
	s_mul_i32 s7, s6, s3
	s_sub_i32 s2, s2, s7
	s_add_i32 s8, s6, 1
	s_sub_i32 s7, s2, s3
	s_cmp_ge_u32 s2, s3
	s_cselect_b32 s6, s8, s6
	s_cselect_b32 s2, s7, s2
	s_add_i32 s7, s6, 1
	s_cmp_ge_u32 s2, s3
	s_cselect_b32 s2, s7, s6
	s_xor_b32 s2, s2, s0
	s_sub_i32 s0, s2, s0
	s_mul_i32 s2, s0, s9
	s_sub_i32 s1, s1, s2
	s_ashr_i32 s2, s1, 31
	s_abs_i32 s1, s1
	s_mul_hi_u32 s3, s1, s48
	s_mul_i32 s6, s3, s81
	s_sub_i32 s1, s1, s6
	s_xor_b32 s2, s2, s38
	s_add_i32 s6, s3, 1
	s_sub_i32 s7, s1, s81
	s_cmp_ge_u32 s1, s81
	s_cselect_b32 s3, s6, s3
	s_cselect_b32 s1, s7, s1
	s_add_i32 s6, s3, 1
	s_cmp_ge_u32 s1, s81
	s_cselect_b32 s1, s6, s3
	s_abs_i32 s6, s10
	v_cvt_f32_u32_e32 v1, s6
	s_xor_b32 s1, s1, s2
	s_sub_i32 s1, s1, s2
	s_cmp_eq_u64 s[22:23], 0
	v_rcp_iflag_f32_e32 v1, v1
	v_mul_f32_e32 v1, 0x4f7ffffe, v1
	v_cvt_u32_f32_e32 v1, v1
	v_readfirstlane_b32 s10, v1
	s_cbranch_scc1 .LBB29_240
; %bb.239:
	v_readlane_b32 s2, v255, 0
	s_mul_i32 s2, s4, s2
	s_add_i32 s2, s1, s2
	s_ashr_i32 s3, s2, 31
	s_lshl_b64 s[2:3], s[2:3], 2
	s_add_u32 s2, s22, s2
	s_addc_u32 s3, s23, s3
	v_mov_b32_e32 v1, 0
	global_load_dword v1, v1, s[2:3]
	s_waitcnt vmcnt(0)
	v_ashrrev_i32_e32 v2, 31, v1
	v_lshrrev_b32_e32 v2, 26, v2
	v_add_u32_e32 v1, v1, v2
	v_ashrrev_i32_e32 v1, 6, v1
	v_min_i32_e32 v32, s77, v1
.LBB29_240:
	v_readlane_b32 s20, v255, 3
	v_readlane_b32 s21, v255, 4
	s_mul_i32 s2, s5, s33
	s_lshl_b32 s0, s0, 1
	s_mul_i32 s3, s4, s21
	s_add_i32 s2, s0, s2
	s_ashr_i32 s7, s3, 31
	s_add_u32 s3, s12, s3
	s_mul_i32 s2, s2, s20
	s_addc_u32 s8, s13, s7
	s_ashr_i32 s9, s2, 31
	s_add_u32 s7, s3, s2
	s_addc_u32 s9, s8, s9
	s_lshl_b32 s8, s1, 3
	v_or_b32_e32 v1, s0, v111
	v_and_b32_e32 v102, 0x3ff, v0
	v_add_u32_e32 v0, s8, v116
	v_cmp_gt_i32_e64 s[0:1], s33, v1
	v_cmp_le_i32_e32 vcc, s28, v0
	s_xor_b64 s[0:1], s[0:1], -1
	s_or_b64 s[2:3], vcc, s[0:1]
	s_and_saveexec_b64 s[12:13], s[2:3]
	s_xor_b64 s[2:3], exec, s[12:13]
	s_cbranch_execz .LBB29_242
; %bb.241:
	s_movk_i32 s11, 0x84
	v_mad_u32_u24 v0, v103, s11, v102
	v_lshl_add_u32 v0, v0, 2, 0
	v_mov_b32_e32 v1, 0
	ds_write2st64_b32 v0, v1, v1 offset1:1
                                        ; implicit-def: $vgpr0
.LBB29_242:
	s_andn2_saveexec_b64 s[2:3], s[2:3]
	s_cbranch_execz .LBB29_244
; %bb.243:
	v_mul_lo_u32 v0, v0, s53
	v_mul_lo_u32 v1, v111, s54
	v_add3_u32 v0, v0, v1, v102
	v_ashrrev_i32_e32 v1, 31, v0
	v_lshlrev_b64 v[0:1], 3, v[0:1]
	v_mov_b32_e32 v2, s9
	v_add_co_u32_e32 v0, vcc, s7, v0
	v_addc_co_u32_e32 v1, vcc, v2, v1, vcc
	global_load_dwordx2 v[2:3], v[0:1], off
	global_load_dwordx2 v[4:5], v[0:1], off offset:512
	s_movk_i32 s11, 0x84
	s_waitcnt vmcnt(1)
	v_cvt_f16_f32_e32 v0, v2
	v_cvt_f16_f32_e32 v1, v3
	s_waitcnt vmcnt(0)
	v_cvt_f16_f32_e32 v2, v4
	v_cvt_f16_f32_e32 v3, v5
	v_mad_u32_u24 v4, v103, s11, v102
	v_pack_b32_f16 v0, v0, v1
	v_lshl_add_u32 v4, v4, 2, 0
	v_pack_b32_f16 v1, v2, v3
	v_pk_mul_f16 v0, v101, v0
	v_pk_mul_f16 v1, v101, v1
	ds_write2st64_b32 v4, v0, v1 offset1:1
.LBB29_244:
	s_or_b64 exec, exec, s[2:3]
	v_lshrrev_b32_e32 v0, 1, v74
	v_add_u32_e32 v0, s8, v0
	v_cmp_le_i32_e32 vcc, s28, v0
	s_sub_i32 s11, 0, s6
	s_or_b64 s[2:3], vcc, s[0:1]
	s_and_saveexec_b64 s[12:13], s[2:3]
	s_xor_b64 s[2:3], exec, s[12:13]
	s_cbranch_execz .LBB29_246
; %bb.245:
	s_movk_i32 s12, 0x84
	v_mad_u32_u24 v0, v74, s12, v102
	v_lshl_add_u32 v0, v0, 2, 0
	v_mov_b32_e32 v1, 0
	ds_write2st64_b32 v0, v1, v1 offset1:1
                                        ; implicit-def: $vgpr0
                                        ; implicit-def: $vgpr74
.LBB29_246:
	s_or_saveexec_b64 s[2:3], s[2:3]
	s_mul_i32 s11, s11, s10
	s_xor_b64 exec, exec, s[2:3]
	s_cbranch_execz .LBB29_248
; %bb.247:
	v_mul_lo_u32 v0, v0, s53
	v_mul_lo_u32 v1, v111, s54
	v_add3_u32 v0, v0, v1, v102
	v_ashrrev_i32_e32 v1, 31, v0
	v_lshlrev_b64 v[0:1], 3, v[0:1]
	v_mov_b32_e32 v2, s9
	v_add_co_u32_e32 v0, vcc, s7, v0
	v_addc_co_u32_e32 v1, vcc, v2, v1, vcc
	global_load_dwordx2 v[2:3], v[0:1], off
	global_load_dwordx2 v[4:5], v[0:1], off offset:512
	s_movk_i32 s12, 0x84
	s_waitcnt vmcnt(1)
	v_cvt_f16_f32_e32 v0, v2
	v_cvt_f16_f32_e32 v1, v3
	s_waitcnt vmcnt(0)
	v_cvt_f16_f32_e32 v2, v4
	v_cvt_f16_f32_e32 v3, v5
	v_mad_u32_u24 v4, v74, s12, v102
	v_pack_b32_f16 v0, v0, v1
	v_lshl_add_u32 v4, v4, 2, 0
	v_pack_b32_f16 v1, v2, v3
	v_pk_mul_f16 v0, v101, v0
	v_pk_mul_f16 v1, v101, v1
	ds_write2st64_b32 v4, v0, v1 offset1:1
.LBB29_248:
	s_or_b64 exec, exec, s[2:3]
	v_lshrrev_b32_e32 v0, 1, v73
	v_add_u32_e32 v0, s8, v0
	v_cmp_le_i32_e32 vcc, s28, v0
	s_mul_hi_u32 s12, s10, s11
	s_or_b64 s[2:3], vcc, s[0:1]
	s_and_saveexec_b64 s[20:21], s[2:3]
	s_xor_b64 s[2:3], exec, s[20:21]
	s_cbranch_execz .LBB29_250
; %bb.249:
	s_movk_i32 s11, 0x84
	v_mad_u32_u24 v0, v73, s11, v102
	v_lshl_add_u32 v0, v0, 2, 0
	v_mov_b32_e32 v1, 0
	ds_write2st64_b32 v0, v1, v1 offset1:1
                                        ; implicit-def: $vgpr0
                                        ; implicit-def: $vgpr73
.LBB29_250:
	s_or_saveexec_b64 s[2:3], s[2:3]
	s_abs_i32 s11, s4
	s_add_i32 s10, s10, s12
	s_xor_b64 exec, exec, s[2:3]
	s_cbranch_execz .LBB29_252
; %bb.251:
	v_mul_lo_u32 v0, v0, s53
	v_mul_lo_u32 v1, v111, s54
	v_add3_u32 v0, v0, v1, v102
	v_ashrrev_i32_e32 v1, 31, v0
	v_lshlrev_b64 v[0:1], 3, v[0:1]
	v_mov_b32_e32 v2, s9
	v_add_co_u32_e32 v0, vcc, s7, v0
	v_addc_co_u32_e32 v1, vcc, v2, v1, vcc
	global_load_dwordx2 v[2:3], v[0:1], off
	global_load_dwordx2 v[4:5], v[0:1], off offset:512
	s_movk_i32 s12, 0x84
	s_waitcnt vmcnt(1)
	v_cvt_f16_f32_e32 v0, v2
	v_cvt_f16_f32_e32 v1, v3
	s_waitcnt vmcnt(0)
	v_cvt_f16_f32_e32 v2, v4
	v_cvt_f16_f32_e32 v3, v5
	v_mad_u32_u24 v4, v73, s12, v102
	v_pack_b32_f16 v0, v0, v1
	v_lshl_add_u32 v4, v4, 2, 0
	v_pack_b32_f16 v1, v2, v3
	v_pk_mul_f16 v0, v101, v0
	v_pk_mul_f16 v1, v101, v1
	ds_write2st64_b32 v4, v0, v1 offset1:1
.LBB29_252:
	s_or_b64 exec, exec, s[2:3]
	v_lshrrev_b32_e32 v0, 1, v72
	v_add_u32_e32 v0, s8, v0
	v_cmp_le_i32_e32 vcc, s28, v0
	s_mul_hi_u32 s2, s11, s10
	s_or_b64 s[0:1], vcc, s[0:1]
	s_and_saveexec_b64 s[12:13], s[0:1]
	s_xor_b64 s[0:1], exec, s[12:13]
	s_cbranch_execz .LBB29_254
; %bb.253:
	s_movk_i32 s3, 0x84
	v_mad_u32_u24 v0, v72, s3, v102
	v_lshl_add_u32 v0, v0, 2, 0
	v_mov_b32_e32 v1, 0
	ds_write2st64_b32 v0, v1, v1 offset1:1
                                        ; implicit-def: $vgpr0
                                        ; implicit-def: $vgpr111
                                        ; implicit-def: $vgpr101
                                        ; implicit-def: $vgpr72
.LBB29_254:
	s_or_saveexec_b64 s[0:1], s[0:1]
	s_ashr_i32 s3, s4, 31
	s_xor_b64 exec, exec, s[0:1]
	s_cbranch_execz .LBB29_256
; %bb.255:
	v_mul_lo_u32 v0, v0, s53
	v_mul_lo_u32 v1, v111, s54
	v_add3_u32 v0, v0, v1, v102
	v_ashrrev_i32_e32 v1, 31, v0
	v_lshlrev_b64 v[0:1], 3, v[0:1]
	v_mov_b32_e32 v2, s9
	v_add_co_u32_e32 v0, vcc, s7, v0
	v_addc_co_u32_e32 v1, vcc, v2, v1, vcc
	global_load_dwordx2 v[2:3], v[0:1], off
	global_load_dwordx2 v[4:5], v[0:1], off offset:512
	s_movk_i32 s7, 0x84
	s_waitcnt vmcnt(1)
	v_cvt_f16_f32_e32 v0, v2
	v_cvt_f16_f32_e32 v1, v3
	s_waitcnt vmcnt(0)
	v_cvt_f16_f32_e32 v2, v4
	v_cvt_f16_f32_e32 v3, v5
	v_mad_u32_u24 v4, v72, s7, v102
	v_pack_b32_f16 v0, v0, v1
	v_lshl_add_u32 v4, v4, 2, 0
	v_pack_b32_f16 v1, v2, v3
	v_pk_mul_f16 v0, v101, v0
	v_pk_mul_f16 v1, v101, v1
	ds_write2st64_b32 v4, v0, v1 offset1:1
.LBB29_256:
	s_or_b64 exec, exec, s[0:1]
	s_mul_i32 s0, s4, s37
	s_mul_hi_u32 s1, s4, s36
	s_add_i32 s0, s1, s0
	s_mul_i32 s1, s3, s36
	s_add_i32 s0, s0, s1
	s_mul_i32 s1, s4, s36
	s_add_u32 s1, s14, s1
	s_mul_i32 s7, s5, s51
	s_addc_u32 s0, s15, s0
	s_ashr_i32 s9, s7, 31
	s_add_u32 s24, s1, s7
	s_mul_i32 s2, s2, s6
	s_addc_u32 s25, s0, s9
	s_sub_i32 s0, s11, s2
	s_sub_i32 s1, s0, s6
	s_cmp_ge_u32 s0, s6
	s_cselect_b32 s0, s1, s0
	s_sub_i32 s1, s0, s6
	s_cmp_ge_u32 s0, s6
	s_cselect_b32 s0, s1, s0
	s_xor_b32 s0, s0, s3
	s_sub_i32 s0, s0, s3
	s_ashr_i32 s1, s0, 31
	s_mul_i32 s2, s0, s47
	s_mul_hi_u32 s6, s0, s46
	s_add_i32 s2, s6, s2
	s_mul_i32 s1, s1, s46
	s_add_i32 s2, s2, s1
	s_mul_i32 s0, s0, s46
	s_add_u32 s29, s18, s0
	s_mul_i32 s0, s4, s45
	s_mul_hi_u32 s1, s4, s44
	s_addc_u32 s31, s19, s2
	s_add_i32 s0, s1, s0
	s_mul_i32 s3, s3, s44
	s_add_i32 s0, s0, s3
	s_mul_i32 s4, s4, s44
	s_add_u32 s1, s16, s4
	s_mul_i32 s5, s5, s39
	s_addc_u32 s0, s17, s0
	s_ashr_i32 s2, s5, 31
	s_add_u32 s6, s1, s5
	v_lshrrev_b32_e32 v1, 3, v102
	s_addc_u32 s7, s0, s2
	v_and_b32_e32 v73, 0xff0, v250
	s_movk_i32 s0, 0x210
	v_and_b32_e32 v104, 15, v102
	v_and_b32_e32 v106, 0x7e, v1
	v_mad_u32_u24 v0, v73, s0, 0
	v_mul_u32_u24_e32 v116, 0x210, v104
	v_lshlrev_b32_e32 v117, 2, v106
	v_add3_u32 v0, v0, v116, v117
	s_waitcnt lgkmcnt(0)
	s_barrier
	ds_read2_b64 v[28:31], v0 offset1:4
	ds_read2_b64 v[24:27], v0 offset0:8 offset1:12
	ds_read2_b64 v[20:23], v0 offset0:16 offset1:20
	;; [unrolled: 1-line block ×7, first 2 shown]
	v_add_u32_e32 v161, -1, v32
	v_lshrrev_b32_e32 v32, 5, v102
	v_lshl_add_u32 v72, v103, 1, v32
	v_add_u32_e32 v32, s8, v72
	v_mul_hi_u32 v33, s42, v32
	v_add_u32_e32 v33, v32, v33
	v_lshrrev_b32_e32 v33, s43, v33
	v_cmp_lt_i32_e32 vcc, s72, v161
	v_mul_lo_u32 v33, v33, s28
	v_sub_u32_e32 v74, v32, v33
	s_waitcnt lgkmcnt(0)
	s_barrier
	s_cbranch_vccnz .LBB29_259
; %bb.257:
	v_lshlrev_b32_e32 v32, 1, v102
	v_and_b32_e32 v40, 62, v32
	v_lshlrev_b32_e32 v32, 2, v102
	v_and_b32_e32 v42, 0x7c, v32
	v_mov_b32_e32 v32, 0x1080
	v_mad_u32_u24 v133, v72, s0, v32
	v_mov_b32_e32 v32, 0x2100
	v_mad_u32_u24 v134, v72, s0, v32
	;; [unrolled: 2-line block ×6, first 2 shown]
	v_mov_b32_e32 v32, 0x7380
	v_mul_lo_u32 v54, s34, v72
	s_lshl_b32 s1, s34, 3
	v_mad_u32_u24 v141, v72, s0, v32
	v_lshlrev_b32_e32 v108, 4, v103
	v_lshrrev_b32_e32 v70, 2, v102
	v_mul_lo_u32 v44, s30, v72
	s_lshl_b32 s0, s30, 3
	v_add_u32_e32 v56, s1, v54
	v_and_b32_e32 v32, 48, v108
	v_and_b32_e32 v71, 0xfc, v70
	v_add_u32_e32 v46, s0, v44
	v_add_u32_e32 v58, s1, v56
	v_mul_u32_u24_e32 v144, 0x210, v32
	v_add_u16_e32 v32, v32, v71
	v_add_u32_e32 v48, s0, v46
	v_add_u32_e32 v60, s1, v58
	v_lshrrev_b16_e32 v128, 1, v32
	v_mbcnt_lo_u32_b32 v32, -1, 0
	v_add_u32_e32 v50, s0, v48
	v_add_u32_e32 v62, s1, v60
	v_mbcnt_hi_u32_b32 v150, -1, v32
	v_add_u32_e32 v36, s0, v50
	v_add_u32_e32 v64, s1, v62
	v_and_b32_e32 v32, 64, v150
	v_add_u32_e32 v38, s0, v36
	v_add_u32_e32 v66, s1, v64
	v_and_or_b32 v33, v102, 14, v73
	v_add_u32_e32 v152, 64, v32
	v_add_u32_e32 v32, s0, v38
	v_mul_u32_u24_e32 v75, 0x108, v71
	v_mov_b32_e32 v41, 0
	v_add_u32_e32 v68, s1, v66
	v_lshrrev_b32_e32 v33, 1, v33
	v_add_u32_e32 v34, s0, v32
	v_or_b32_e32 v110, v75, v104
	v_or_b32_e32 v70, 3, v70
	s_mov_b32 s2, 0
	v_mad_i64_i32 v[52:53], s[4:5], v74, s40, 0
	s_ashr_i32 s21, s34, 31
	v_mul_u32_u24_e32 v132, 0x210, v72
	v_mov_b32_e32 v43, v41
	v_ashrrev_i32_e32 v55, 31, v54
	v_ashrrev_i32_e32 v57, 31, v56
	;; [unrolled: 1-line block ×8, first 2 shown]
	v_mul_u32_u24_e32 v147, 0x90, v33
	v_or_b32_e32 v129, 1, v128
	v_xor_b32_e32 v154, 32, v150
	v_xor_b32_e32 v155, 16, v150
	s_ashr_i32 s19, s30, 31
	v_ashrrev_i32_e32 v45, 31, v44
	v_ashrrev_i32_e32 v47, 31, v46
	v_ashrrev_i32_e32 v49, 31, v48
	v_ashrrev_i32_e32 v51, 31, v50
	v_ashrrev_i32_e32 v37, 31, v36
	v_ashrrev_i32_e32 v39, 31, v38
	v_ashrrev_i32_e32 v33, 31, v32
	v_ashrrev_i32_e32 v35, 31, v34
	v_mul_u32_u24_e32 v111, 0x210, v71
	v_add_u32_e32 v112, 0x210, v110
	v_mul_u32_u24_e32 v113, 0x210, v70
	s_mov_b64 s[0:1], 0
	s_mov_b32 s3, 0xfeffffff
	s_branch .LBB29_260
.LBB29_258:
                                        ; implicit-def: $sgpr56_sgpr57
	s_load_dwordx2 s[42:43], s[4:5], 0x5c
	s_mov_b32 s7, s19
	s_branch .LBB29_7
.LBB29_259:
	s_mov_b64 s[0:1], -1
                                        ; implicit-def: $sgpr2
                                        ; implicit-def: $sgpr3
                                        ; implicit-def: $vgpr40
                                        ; implicit-def: $vgpr52_vgpr53
                                        ; implicit-def: $vgpr132
                                        ; implicit-def: $vgpr42
                                        ; implicit-def: $vgpr54_vgpr55
                                        ; implicit-def: $vgpr133
                                        ; implicit-def: $vgpr56_vgpr57
                                        ; implicit-def: $vgpr134
                                        ; implicit-def: $vgpr58_vgpr59
                                        ; implicit-def: $vgpr135
                                        ; implicit-def: $vgpr60_vgpr61
                                        ; implicit-def: $vgpr136
                                        ; implicit-def: $vgpr62_vgpr63
                                        ; implicit-def: $vgpr137
                                        ; implicit-def: $vgpr64_vgpr65
                                        ; implicit-def: $vgpr138
                                        ; implicit-def: $vgpr66_vgpr67
                                        ; implicit-def: $vgpr141
                                        ; implicit-def: $vgpr68_vgpr69
                                        ; implicit-def: $vgpr108
                                        ; implicit-def: $vgpr144
                                        ; implicit-def: $vgpr147
                                        ; implicit-def: $vgpr128
                                        ; implicit-def: $vgpr129
                                        ; implicit-def: $vgpr150
                                        ; implicit-def: $vgpr152
                                        ; implicit-def: $vgpr154
                                        ; implicit-def: $vgpr155
                                        ; implicit-def: $vgpr44_vgpr45
                                        ; implicit-def: $vgpr46_vgpr47
                                        ; implicit-def: $vgpr48_vgpr49
                                        ; implicit-def: $vgpr50_vgpr51
                                        ; implicit-def: $vgpr36_vgpr37
                                        ; implicit-def: $vgpr38_vgpr39
                                        ; implicit-def: $vgpr32_vgpr33
                                        ; implicit-def: $vgpr34_vgpr35
                                        ; implicit-def: $vgpr110
                                        ; implicit-def: $vgpr111
                                        ; implicit-def: $vgpr112
                                        ; implicit-def: $vgpr113
                                        ; implicit-def: $sgpr20_sgpr21
                                        ; implicit-def: $sgpr18_sgpr19
.LBB29_260:
	v_mul_u32_u24_e32 v162, 0x90, v72
	s_andn2_b64 vcc, exec, s[0:1]
	v_mov_b32_e32 v163, s2
	v_mov_b32_e32 v71, s2
	;; [unrolled: 1-line block ×3, first 2 shown]
	v_lshlrev_b32_e32 v109, 1, v104
	v_mov_b32_e32 v165, s2
	v_mov_b32_e32 v160, s2
	;; [unrolled: 1-line block ×31, first 2 shown]
	s_cbranch_vccnz .LBB29_263
; %bb.261:
	v_lshlrev_b32_e32 v32, 1, v102
	v_mad_i64_i32 v[52:53], s[0:1], v74, s40, 0
	v_and_b32_e32 v40, 62, v32
	v_lshlrev_b64 v[32:33], 1, v[52:53]
	v_mov_b32_e32 v36, s31
	v_add_co_u32_e32 v32, vcc, s29, v32
	v_lshlrev_b32_e32 v35, 1, v40
	v_addc_co_u32_e32 v33, vcc, v36, v33, vcc
	v_add_co_u32_e32 v167, vcc, v32, v35
	v_addc_co_u32_e32 v168, vcc, 0, v33, vcc
	v_lshlrev_b32_e32 v33, 2, v102
	v_and_b32_e32 v42, 0x7c, v33
	v_add_u32_e32 v34, 0, v162
	v_mul_u32_u24_e32 v32, 0x180, v72
	v_lshlrev_b32_e32 v33, 2, v42
	s_movk_i32 s0, 0x210
	v_add3_u32 v169, v34, v32, v33
	v_mov_b32_e32 v32, 0x1080
	v_mad_u32_u24 v133, v72, s0, v32
	v_mov_b32_e32 v32, 0x2100
	v_mad_u32_u24 v134, v72, s0, v32
	;; [unrolled: 2-line block ×6, first 2 shown]
	v_mov_b32_e32 v32, 0x7380
	v_lshlrev_b32_e32 v108, 4, v103
	v_lshrrev_b32_e32 v71, 2, v102
	v_mad_u32_u24 v141, v72, s0, v32
	v_and_b32_e32 v32, 48, v108
	v_and_b32_e32 v74, 0xfc, v71
	v_mul_u32_u24_e32 v144, 0x210, v32
	v_mad_u32_u24 v70, v32, s0, 0
	v_and_or_b32 v33, v102, 14, v73
	v_add_u16_e32 v32, v32, v74
	v_lshrrev_b32_e32 v33, 1, v33
	v_lshrrev_b16_e32 v128, 1, v32
	v_mul_u32_u24_e32 v147, 0x90, v33
	v_lshlrev_b32_e32 v32, 2, v128
	v_add3_u32 v73, 0, v147, v32
	v_mbcnt_lo_u32_b32 v32, -1, 0
	v_mul_lo_u32 v54, s34, v72
	s_lshl_b32 s1, s34, 3
	v_mbcnt_hi_u32_b32 v150, -1, v32
	v_mul_lo_u32 v44, s30, v72
	s_lshl_b32 s0, s30, 3
	v_add_u32_e32 v56, s1, v54
	v_and_b32_e32 v32, 64, v150
	v_add_u32_e32 v46, s0, v44
	v_add_u32_e32 v58, s1, v56
	;; [unrolled: 1-line block ×3, first 2 shown]
	v_xor_b32_e32 v154, 32, v150
	v_add_u32_e32 v48, s0, v46
	v_add_u32_e32 v60, s1, v58
	v_cmp_lt_i32_e32 vcc, v154, v152
	v_xor_b32_e32 v155, 16, v150
	v_add_u32_e32 v50, s0, v48
	v_add_u32_e32 v62, s1, v60
	v_cndmask_b32_e32 v32, v150, v154, vcc
	v_cmp_lt_i32_e32 vcc, v155, v152
	v_add_u32_e32 v36, s0, v50
	v_add_u32_e32 v64, s1, v62
	v_lshlrev_b32_e32 v178, 2, v32
	v_cndmask_b32_e32 v32, v150, v155, vcc
	v_add_u32_e32 v38, s0, v36
	v_mul_u32_u24_e32 v132, 0x210, v72
	v_add_u32_e32 v66, s1, v64
	v_lshlrev_b32_e32 v179, 2, v32
	v_add_u32_e32 v32, s0, v38
	v_mul_u32_u24_e32 v72, 0x108, v74
	v_mul_u32_u24_e32 v111, 0x210, v74
	v_or_b32_e32 v71, 3, v71
	v_mov_b32_e32 v41, 0
	v_add_u32_e32 v166, v34, v35
	v_add_u32_e32 v68, s1, v66
	;; [unrolled: 1-line block ×3, first 2 shown]
	v_or_b32_e32 v110, v72, v104
	v_mul_u32_u24_e32 v113, 0x210, v71
	v_add3_u32 v181, v70, v111, v109
	s_ashr_i32 s21, s34, 31
	v_mov_b32_e32 v43, v41
	v_ashrrev_i32_e32 v55, 31, v54
	v_add_u32_e32 v170, 0x1080, v169
	v_ashrrev_i32_e32 v57, 31, v56
	v_add_u32_e32 v171, 0x2100, v169
	;; [unrolled: 2-line block ×7, first 2 shown]
	v_ashrrev_i32_e32 v69, 31, v68
	v_add3_u32 v177, v70, v116, v117
	v_or_b32_e32 v129, 1, v128
	s_ashr_i32 s19, s30, 31
	v_ashrrev_i32_e32 v45, 31, v44
	v_ashrrev_i32_e32 v47, 31, v46
	v_ashrrev_i32_e32 v49, 31, v48
	v_ashrrev_i32_e32 v51, 31, v50
	v_ashrrev_i32_e32 v37, 31, v36
	v_ashrrev_i32_e32 v39, 31, v38
	v_ashrrev_i32_e32 v33, 31, v32
	v_ashrrev_i32_e32 v35, 31, v34
	v_add_u32_e32 v112, 0x210, v110
	v_lshl_add_u32 v180, v110, 1, v70
	v_add3_u32 v182, v70, v113, v109
	v_add_u32_e32 v183, 32, v181
	v_add_u32_e32 v184, 64, v181
	;; [unrolled: 1-line block ×15, first 2 shown]
	s_lshl_b32 s22, s72, 6
	v_mov_b32_e32 v70, 0xfeffffff
	v_lshlrev_b32_e32 v198, 2, v42
	v_add_u32_e32 v199, 0x8400, v73
	s_mov_b32 s18, 0x3fb8aa3b
	s_mov_b32 s20, 0xc2ce8ed0
	;; [unrolled: 1-line block ×5, first 2 shown]
	v_mov_b32_e32 v200, 0x7f800000
	v_mov_b32_e32 v71, v41
	;; [unrolled: 1-line block ×34, first 2 shown]
.LBB29_262:                             ; =>This Inner Loop Header: Depth=1
	s_ashr_i32 s23, s22, 31
	s_mul_hi_i32 s1, s22, s34
	s_mul_i32 s0, s22, s34
	s_lshl_b64 s[4:5], s[22:23], 1
	s_lshl_b64 s[0:1], s[0:1], 2
	v_mov_b32_e32 v105, s5
	s_add_u32 s12, s24, s0
	v_add_co_u32_e32 v204, vcc, s4, v167
	v_lshlrev_b64 v[86:87], 2, v[54:55]
	v_lshlrev_b64 v[88:89], 2, v[56:57]
	;; [unrolled: 1-line block ×8, first 2 shown]
	s_mul_hi_i32 s3, s22, s30
	s_mul_i32 s2, s22, s30
	v_addc_co_u32_e32 v205, vcc, v168, v105, vcc
	s_addc_u32 s13, s25, s1
	s_lshl_b64 s[16:17], s[2:3], 2
	global_load_dword v107, v[204:205], off
	v_mov_b32_e32 v105, s13
	v_mov_b32_e32 v203, s13
	v_add_co_u32_e32 v88, vcc, s12, v88
	v_mov_b32_e32 v204, s13
	v_add_co_u32_e64 v90, s[0:1], s12, v90
	v_mov_b32_e32 v205, s13
	v_add_co_u32_e64 v92, s[2:3], s12, v92
	;; [unrolled: 2-line block ×6, first 2 shown]
	v_add_co_u32_e64 v210, s[12:13], s12, v86
	v_addc_co_u32_e64 v87, s[12:13], v105, v87, s[12:13]
	v_addc_co_u32_e32 v89, vcc, v203, v89, vcc
	v_addc_co_u32_e64 v91, s[0:1], v204, v91, s[0:1]
	v_addc_co_u32_e64 v93, s[2:3], v205, v93, s[2:3]
	;; [unrolled: 1-line block ×6, first 2 shown]
	v_add_co_u32_e32 v86, vcc, v88, v198
	v_add_co_u32_e64 v88, s[0:1], v90, v198
	v_add_co_u32_e64 v90, s[2:3], v92, v198
	;; [unrolled: 1-line block ×7, first 2 shown]
	v_addc_co_u32_e64 v101, s[14:15], 0, v87, s[14:15]
	v_addc_co_u32_e32 v87, vcc, 0, v89, vcc
	v_addc_co_u32_e64 v89, vcc, 0, v91, s[0:1]
	v_addc_co_u32_e64 v91, vcc, 0, v93, s[2:3]
	;; [unrolled: 1-line block ×6, first 2 shown]
	global_load_dwordx4 v[204:207], v[100:101], off
	global_load_dwordx4 v[208:211], v[86:87], off
	s_nop 0
	global_load_dwordx4 v[86:89], v[88:89], off
	s_nop 0
	;; [unrolled: 2-line block ×6, first 2 shown]
	global_load_dwordx4 v[98:101], v[98:99], off
	s_add_u32 s16, s6, s16
	v_mov_b32_e32 v202, v70
	v_mov_b32_e32 v201, v71
	v_lshlrev_b64 v[70:71], 2, v[44:45]
	v_lshlrev_b64 v[72:73], 2, v[46:47]
	;; [unrolled: 1-line block ×8, first 2 shown]
	s_addc_u32 s17, s7, s17
	s_add_i32 s72, s72, 1
	v_mov_b32_e32 v105, s17
	v_add_co_u32_e32 v70, vcc, s16, v70
	v_mov_b32_e32 v203, s17
	v_add_co_u32_e64 v72, s[0:1], s16, v72
	v_mov_b32_e32 v221, s17
	v_add_co_u32_e64 v74, s[2:3], s16, v74
	;; [unrolled: 2-line block ×7, first 2 shown]
	v_cmp_lt_i32_e64 s[16:17], s72, v161
	v_addc_co_u32_e32 v105, vcc, v105, v71, vcc
	v_addc_co_u32_e64 v203, vcc, v203, v73, s[0:1]
	v_addc_co_u32_e64 v75, vcc, v221, v75, s[2:3]
	v_add_co_u32_e64 v222, s[2:3], v74, v198
	v_addc_co_u32_e64 v74, vcc, v223, v77, s[4:5]
	v_add_co_u32_e64 v224, s[4:5], v76, v198
	;; [unrolled: 2-line block ×3, first 2 shown]
	v_addc_co_u32_e64 v77, vcc, v227, v81, s[10:11]
	v_addc_co_u32_e64 v78, vcc, v229, v83, s[12:13]
	;; [unrolled: 1-line block ×3, first 2 shown]
	v_add_co_u32_e64 v220, s[0:1], v72, v198
	s_and_b64 vcc, exec, s[16:17]
	v_add_co_u32_e64 v234, s[16:17], v70, v198
	s_waitcnt vmcnt(8)
	ds_write_b32 v166, v107 offset:33792
	s_waitcnt vmcnt(7)
	ds_write_b128 v169, v[204:207]
	s_waitcnt vmcnt(6)
	ds_write_b128 v170, v[208:211]
	;; [unrolled: 2-line block ×8, first 2 shown]
	s_waitcnt lgkmcnt(0)
	s_barrier
	ds_read2_b64 v[70:73], v177 offset1:4
	s_waitcnt lgkmcnt(0)
	v_mfma_f32_16x16x16f16 a[0:3], v[70:71], v[28:29], 0
	v_add_co_u32_e64 v228, s[10:11], v80, v198
	v_addc_co_u32_e64 v221, s[0:1], 0, v203, s[0:1]
	v_addc_co_u32_e64 v223, s[0:1], 0, v75, s[2:3]
	;; [unrolled: 1-line block ×3, first 2 shown]
	v_mfma_f32_16x16x16f16 a[0:3], v[72:73], v[30:31], a[0:3]
	ds_read2_b64 v[70:73], v177 offset0:8 offset1:12
	v_addc_co_u32_e64 v227, s[0:1], 0, v76, s[8:9]
	v_addc_co_u32_e64 v229, s[0:1], 0, v77, s[10:11]
	v_add_co_u32_e64 v230, s[12:13], v82, v198
	s_waitcnt lgkmcnt(0)
	v_mfma_f32_16x16x16f16 a[0:3], v[70:71], v[24:25], a[0:3]
	v_add_co_u32_e64 v232, s[14:15], v84, v198
	v_addc_co_u32_e64 v235, s[16:17], 0, v105, s[16:17]
	v_addc_co_u32_e64 v231, s[0:1], 0, v78, s[12:13]
	v_addc_co_u32_e64 v233, s[0:1], 0, v79, s[14:15]
	v_mfma_f32_16x16x16f16 a[0:3], v[72:73], v[26:27], a[0:3]
	ds_read2_b64 v[70:73], v177 offset0:16 offset1:20
	ds_read2_b64 v[74:77], v177 offset0:24 offset1:28
	;; [unrolled: 1-line block ×6, first 2 shown]
	s_waitcnt lgkmcnt(0)
	s_barrier
	s_add_i32 s22, s22, 64
	v_mfma_f32_16x16x16f16 a[0:3], v[70:71], v[20:21], a[0:3]
	v_mfma_f32_16x16x16f16 a[0:3], v[72:73], v[22:23], a[0:3]
	global_load_dwordx4 v[70:73], v[234:235], off
	global_load_dwordx4 v[94:97], v[220:221], off
	global_load_dwordx4 v[98:101], v[222:223], off
	global_load_dwordx4 v[204:207], v[224:225], off
	global_load_dwordx4 v[208:211], v[226:227], off
	global_load_dwordx4 v[212:215], v[228:229], off
	global_load_dwordx4 v[216:219], v[230:231], off
	s_nop 0
	global_load_dwordx4 v[220:223], v[232:233], off
	v_mfma_f32_16x16x16f16 a[0:3], v[74:75], v[16:17], a[0:3]
	ds_read2_b32 v[74:75], v199 offset1:1
	s_waitcnt vmcnt(7)
	ds_write_b128 v169, v[70:73]
	s_waitcnt vmcnt(6)
	ds_write_b128 v170, v[94:97]
	;; [unrolled: 2-line block ×8, first 2 shown]
	v_mfma_f32_16x16x16f16 a[0:3], v[76:77], v[18:19], a[0:3]
	s_waitcnt lgkmcnt(8)
	v_cvt_f32_f16_e32 v76, v74
	v_cvt_f32_f16_sdwa v77, v74 dst_sel:DWORD dst_unused:UNUSED_PAD src0_sel:WORD_1
	v_cvt_f32_f16_e32 v74, v75
	v_cvt_f32_f16_sdwa v75, v75 dst_sel:DWORD dst_unused:UNUSED_PAD src0_sel:WORD_1
	s_waitcnt lgkmcnt(0)
	s_barrier
	v_mfma_f32_16x16x16f16 a[0:3], v[78:79], v[12:13], a[0:3]
	ds_read_u16 v70, v183 offset:1056
	ds_read_u16 v71, v184 offset:528
	;; [unrolled: 1-line block ×7, first 2 shown]
	ds_read_u16 v95, v182
	ds_read_u16 v96, v182 offset:32
	ds_read_u16 v97, v182 offset:64
	;; [unrolled: 1-line block ×5, first 2 shown]
	ds_read_u16 v101, v180
	ds_read_u16 v105, v180 offset:32
	ds_read_u16 v107, v180 offset:64
	;; [unrolled: 1-line block ×43, first 2 shown]
	s_waitcnt lgkmcnt(14)
	v_perm_b32 v79, v95, v79, s35
	v_perm_b32 v78, v78, v101, s35
	;; [unrolled: 1-line block ×5, first 2 shown]
	s_waitcnt lgkmcnt(1)
	v_perm_b32 v209, v230, v242, s35
	v_mfma_f32_16x16x16f16 a[0:3], v[80:81], v[14:15], a[0:3]
	v_perm_b32 v81, v96, v70, s35
	ds_read_u16 v244, v195 offset:1056
	ds_read_u16 v245, v196 offset:528
	;; [unrolled: 1-line block ×7, first 2 shown]
	v_perm_b32 v96, v210, v205, s35
	v_perm_b32 v205, v228, v221, s35
	s_waitcnt lgkmcnt(5)
	v_perm_b32 v210, v245, v239, s35
	s_waitcnt lgkmcnt(1)
	;; [unrolled: 2-line block ×3, first 2 shown]
	v_mfma_f32_16x16x16f16 a[0:3], v[82:83], v[8:9], a[0:3]
	v_perm_b32 v83, v97, v72, s35
	v_perm_b32 v82, v71, v107, s35
	;; [unrolled: 1-line block ×5, first 2 shown]
	s_barrier
	v_mfma_f32_16x16x16f16 a[0:3], v[84:85], v[10:11], a[0:3]
	v_perm_b32 v84, v73, v203, s35
	v_perm_b32 v85, v98, v94, s35
	v_perm_b32 v94, v208, v204, s35
	v_perm_b32 v98, v214, v207, s35
	v_perm_b32 v204, v220, v235, s35
	v_perm_b32 v207, v229, v223, s35
	v_perm_b32 v208, v241, v237, s35
	v_mfma_f32_16x16x16f16 a[0:3], v[86:87], v[4:5], a[0:3]
	v_perm_b32 v87, v224, v213, s35
	v_perm_b32 v86, v212, v206, s35
	;; [unrolled: 1-line block ×5, first 2 shown]
	v_mfma_f32_16x16x16f16 a[0:3], v[88:89], v[6:7], a[0:3]
	v_perm_b32 v89, v227, v219, s35
	v_perm_b32 v88, v218, v234, s35
	v_mfma_f32_16x16x16f16 a[0:3], v[90:91], v[0:1], a[0:3]
	v_perm_b32 v91, v231, v244, s35
	v_perm_b32 v90, v243, v238, s35
	v_mfma_f32_16x16x16f16 a[0:3], v[92:93], v[2:3], a[0:3]
	s_nop 7
	s_nop 2
	v_accvgpr_read_b32 v73, a1
	v_accvgpr_read_b32 v72, a0
	;; [unrolled: 1-line block ×4, first 2 shown]
	v_pk_add_f32 v[72:73], v[72:73], v[76:77]
	v_pk_add_f32 v[74:75], v[70:71], v[74:75]
	v_add_f32_e32 v70, 0x40051340, v72
	v_add_f32_e32 v71, 0x40051340, v73
	;; [unrolled: 1-line block ×4, first 2 shown]
	v_max3_f32 v70, v202, v70, v71
	v_max3_f32 v70, v70, v76, v77
	ds_bpermute_b32 v71, v178, v70
	s_waitcnt lgkmcnt(0)
	v_max_f32_e32 v71, v71, v71
	v_max_f32_e32 v70, v70, v71
	ds_bpermute_b32 v71, v179, v70
	s_waitcnt lgkmcnt(0)
	v_max_f32_e32 v71, v71, v71
	v_max_f32_e32 v70, v70, v71
	v_pk_add_f32 v[72:73], v[72:73], v[70:71] op_sel_hi:[1,0] neg_lo:[0,1] neg_hi:[0,1]
	v_pk_add_f32 v[74:75], v[74:75], v[70:71] op_sel_hi:[1,0] neg_lo:[0,1] neg_hi:[0,1]
	v_sub_f32_e32 v71, v202, v70
	v_mul_f32_e32 v76, 0x3fb8aa3b, v73
	v_mul_f32_e32 v77, 0x3fb8aa3b, v72
	;; [unrolled: 1-line block ×5, first 2 shown]
	v_fma_f32 v107, v73, s18, -v76
	v_rndne_f32_e32 v202, v76
	v_fma_f32 v203, v72, s18, -v77
	v_rndne_f32_e32 v214, v77
	v_fma_f32 v215, v75, s18, -v92
	v_rndne_f32_e32 v216, v92
	v_fma_f32 v217, v74, s18, -v93
	v_rndne_f32_e32 v218, v93
	v_fma_f32 v219, v71, s18, -v105
	v_rndne_f32_e32 v220, v105
	v_fmac_f32_e32 v107, 0x32a5705f, v73
	v_sub_f32_e32 v76, v76, v202
	v_fmac_f32_e32 v203, 0x32a5705f, v72
	v_sub_f32_e32 v77, v77, v214
	;; [unrolled: 2-line block ×5, first 2 shown]
	v_add_f32_e32 v76, v76, v107
	v_add_f32_e32 v77, v77, v203
	;; [unrolled: 1-line block ×5, first 2 shown]
	v_cvt_i32_f32_e32 v202, v202
	v_cvt_i32_f32_e32 v214, v214
	;; [unrolled: 1-line block ×5, first 2 shown]
	v_exp_f32_e32 v76, v76
	v_exp_f32_e32 v77, v77
	;; [unrolled: 1-line block ×5, first 2 shown]
	v_ldexp_f32 v76, v76, v202
	v_ldexp_f32 v77, v77, v214
	v_cmp_ngt_f32_e64 s[0:1], s20, v72
	v_ldexp_f32 v92, v92, v216
	v_cmp_ngt_f32_e64 s[2:3], s20, v75
	;; [unrolled: 2-line block ×4, first 2 shown]
	v_cmp_ngt_f32_e64 s[10:11], s20, v73
	v_cndmask_b32_e64 v76, 0, v76, s[10:11]
	v_cndmask_b32_e64 v77, 0, v77, s[0:1]
	v_cmp_nlt_f32_e64 s[0:1], s28, v72
	v_cndmask_b32_e64 v72, 0, v92, s[2:3]
	v_cmp_nlt_f32_e64 s[2:3], s28, v75
	;; [unrolled: 2-line block ×4, first 2 shown]
	v_cmp_nlt_f32_e64 s[10:11], s28, v73
	v_cndmask_b32_e64 v73, v200, v76, s[10:11]
	v_cndmask_b32_e64 v76, v200, v77, s[0:1]
	;; [unrolled: 1-line block ×3, first 2 shown]
	v_cmp_le_f32_e64 s[0:1], s33, v71
	v_cndmask_b32_e64 v75, v200, v75, s[4:5]
	v_add_f32_e32 v71, v76, v73
	v_cndmask_b32_e64 v74, 0, v74, s[0:1]
	v_cvt_f16_f32_e32 v76, v76
	v_cvt_f16_f32_e32 v73, v73
	v_cvt_f16_f32_e32 v93, v75
	v_add_f32_e32 v71, v75, v71
	v_cvt_f16_f32_e32 v75, v74
	v_cndmask_b32_e64 v72, v200, v72, s[2:3]
	v_cvt_f16_f32_e32 v77, v72
	v_pack_b32_f16 v92, v76, v73
	v_pk_mul_f16 v73, v75, v165 op_sel_hi:[0,1]
	v_add_f32_e32 v71, v72, v71
	v_pk_mul_f16 v76, v75, v163 op_sel_hi:[0,1]
	v_cvt_f32_f16_e32 v72, v73
	v_fmac_f32_e32 v71, v201, v74
	v_pack_b32_f16 v93, v93, v77
	v_pk_mul_f16 v77, v75, v164 op_sel_hi:[0,1]
	v_pk_mul_f16 v105, v75, v160 op_sel_hi:[0,1]
	;; [unrolled: 1-line block ×30, first 2 shown]
	v_cvt_f32_f16_sdwa v73, v73 dst_sel:DWORD dst_unused:UNUSED_PAD src0_sel:WORD_1
	v_cvt_f32_f16_e32 v74, v76
	v_cvt_f32_f16_sdwa v75, v76 dst_sel:DWORD dst_unused:UNUSED_PAD src0_sel:WORD_1
	v_accvgpr_write_b32 a0, v72
	v_cvt_f32_f16_e32 v76, v77
	v_accvgpr_write_b32 a1, v73
	v_accvgpr_write_b32 a2, v74
	;; [unrolled: 1-line block ×3, first 2 shown]
	v_cvt_f32_f16_sdwa v77, v77 dst_sel:DWORD dst_unused:UNUSED_PAD src0_sel:WORD_1
	v_cvt_f32_f16_e32 v72, v107
	v_mfma_f32_16x16x16f16 a[0:3], v[78:79], v[92:93], a[0:3]
	v_cvt_f32_f16_e32 v78, v105
	v_cvt_f32_f16_sdwa v79, v105 dst_sel:DWORD dst_unused:UNUSED_PAD src0_sel:WORD_1
	v_accvgpr_write_b32 a4, v76
	v_accvgpr_write_b32 a5, v77
	;; [unrolled: 1-line block ×4, first 2 shown]
	v_cvt_f32_f16_e32 v76, v157
	v_cvt_f32_f16_sdwa v73, v107 dst_sel:DWORD dst_unused:UNUSED_PAD src0_sel:WORD_1
	v_cvt_f32_f16_e32 v74, v158
	v_cvt_f32_f16_sdwa v75, v158 dst_sel:DWORD dst_unused:UNUSED_PAD src0_sel:WORD_1
	v_cvt_f32_f16_sdwa v77, v157 dst_sel:DWORD dst_unused:UNUSED_PAD src0_sel:WORD_1
	v_cvt_f32_f16_e32 v78, v156
	v_cvt_f32_f16_sdwa v79, v156 dst_sel:DWORD dst_unused:UNUSED_PAD src0_sel:WORD_1
	v_accvgpr_write_b32 a8, v72
	v_accvgpr_write_b32 a12, v76
	v_accvgpr_write_b32 a9, v73
	v_accvgpr_write_b32 a10, v74
	v_accvgpr_write_b32 a11, v75
	v_cvt_f32_f16_e32 v72, v153
	v_accvgpr_write_b32 a13, v77
	v_accvgpr_write_b32 a14, v78
	v_accvgpr_write_b32 a15, v79
	v_cvt_f32_f16_e32 v76, v149
	v_cvt_f32_f16_sdwa v73, v153 dst_sel:DWORD dst_unused:UNUSED_PAD src0_sel:WORD_1
	v_cvt_f32_f16_e32 v74, v151
	v_cvt_f32_f16_sdwa v75, v151 dst_sel:DWORD dst_unused:UNUSED_PAD src0_sel:WORD_1
	v_cvt_f32_f16_sdwa v77, v149 dst_sel:DWORD dst_unused:UNUSED_PAD src0_sel:WORD_1
	v_cvt_f32_f16_e32 v78, v148
	v_cvt_f32_f16_sdwa v79, v148 dst_sel:DWORD dst_unused:UNUSED_PAD src0_sel:WORD_1
	v_accvgpr_write_b32 a16, v72
	v_accvgpr_write_b32 a20, v76
	v_accvgpr_write_b32 a17, v73
	v_accvgpr_write_b32 a18, v74
	v_accvgpr_write_b32 a19, v75
	v_cvt_f32_f16_e32 v72, v146
	v_accvgpr_write_b32 a21, v77
	v_accvgpr_write_b32 a22, v78
	v_accvgpr_write_b32 a23, v79
	;; [unrolled: 16-line block ×6, first 2 shown]
	v_cvt_f32_f16_e32 v76, v115
	v_cvt_f32_f16_sdwa v73, v119 dst_sel:DWORD dst_unused:UNUSED_PAD src0_sel:WORD_1
	v_cvt_f32_f16_e32 v74, v118
	v_cvt_f32_f16_sdwa v75, v118 dst_sel:DWORD dst_unused:UNUSED_PAD src0_sel:WORD_1
	v_cvt_f32_f16_sdwa v77, v115 dst_sel:DWORD dst_unused:UNUSED_PAD src0_sel:WORD_1
	v_cvt_f32_f16_e32 v78, v114
	v_cvt_f32_f16_sdwa v79, v114 dst_sel:DWORD dst_unused:UNUSED_PAD src0_sel:WORD_1
	v_accvgpr_write_b32 a56, v72
	v_accvgpr_write_b32 a60, v76
	;; [unrolled: 1-line block ×8, first 2 shown]
	v_mfma_f32_16x16x16f16 a[4:7], v[80:81], v[92:93], a[4:7]
	v_accvgpr_read_b32 v72, a0
	v_accvgpr_read_b32 v73, a1
	v_accvgpr_read_b32 v74, a2
	v_accvgpr_read_b32 v75, a3
	v_cvt_f16_f32_e32 v72, v72
	v_cvt_f16_f32_e32 v73, v73
	;; [unrolled: 1-line block ×3, first 2 shown]
	v_mfma_f32_16x16x16f16 a[8:11], v[82:83], v[92:93], a[8:11]
	v_cvt_f16_f32_e32 v75, v75
	s_nop 1
	v_accvgpr_read_b32 v76, a4
	v_accvgpr_read_b32 v77, a5
	;; [unrolled: 1-line block ×4, first 2 shown]
	v_mfma_f32_16x16x16f16 a[12:15], v[84:85], v[92:93], a[12:15]
	v_cvt_f16_f32_e32 v76, v76
	v_cvt_f16_f32_e32 v77, v77
	;; [unrolled: 1-line block ×3, first 2 shown]
	v_accvgpr_read_b32 v80, a8
	v_accvgpr_read_b32 v81, a9
	;; [unrolled: 1-line block ×4, first 2 shown]
	v_mfma_f32_16x16x16f16 a[16:19], v[94:95], v[92:93], a[16:19]
	v_cvt_f16_f32_e32 v79, v79
	v_cvt_f16_f32_e32 v80, v80
	;; [unrolled: 1-line block ×3, first 2 shown]
	v_accvgpr_read_b32 v84, a12
	v_accvgpr_read_b32 v85, a13
	v_cvt_f16_f32_e32 v82, v82
	v_cvt_f16_f32_e32 v83, v83
	v_mfma_f32_16x16x16f16 a[20:23], v[96:97], v[92:93], a[20:23]
	v_cvt_f16_f32_e32 v84, v84
	v_cvt_f16_f32_e32 v85, v85
	v_mfma_f32_16x16x16f16 a[24:27], v[86:87], v[92:93], a[24:27]
	v_accvgpr_read_b32 v86, a14
	v_accvgpr_read_b32 v87, a15
	v_cvt_f16_f32_e32 v86, v86
	s_nop 4
	v_accvgpr_read_b32 v94, a22
	v_accvgpr_read_b32 v95, a23
	v_cvt_f16_f32_e32 v87, v87
	v_cvt_f16_f32_e32 v94, v94
	v_mfma_f32_16x16x16f16 a[28:31], v[98:99], v[92:93], a[28:31]
	v_cvt_f16_f32_e32 v95, v95
	v_accvgpr_read_b32 v96, a24
	v_accvgpr_read_b32 v97, a25
	;; [unrolled: 1-line block ×4, first 2 shown]
	v_mfma_f32_16x16x16f16 a[32:35], v[100:101], v[92:93], a[32:35]
	v_cvt_f16_f32_e32 v96, v96
	v_cvt_f16_f32_e32 v97, v97
	v_cvt_f16_f32_e32 v98, v98
	s_nop 1
	v_accvgpr_read_b32 v100, a28
	v_accvgpr_read_b32 v101, a29
	;; [unrolled: 1-line block ×4, first 2 shown]
	v_mfma_f32_16x16x16f16 a[36:39], v[88:89], v[92:93], a[36:39]
	v_accvgpr_read_b32 v88, a16
	v_accvgpr_read_b32 v89, a17
	v_cvt_f16_f32_e32 v88, v88
	v_accvgpr_read_b32 v114, a32
	v_accvgpr_read_b32 v115, a33
	v_accvgpr_read_b32 v118, a34
	v_accvgpr_read_b32 v119, a35
	v_mfma_f32_16x16x16f16 a[40:43], v[204:205], v[92:93], a[40:43]
	v_cvt_f16_f32_e32 v89, v89
	v_cvt_f16_f32_e32 v99, v99
	v_cvt_f16_f32_e32 v100, v100
	v_accvgpr_read_b32 v120, a36
	v_accvgpr_read_b32 v121, a37
	v_accvgpr_read_b32 v122, a38
	v_accvgpr_read_b32 v123, a39
	v_mfma_f32_16x16x16f16 a[44:47], v[206:207], v[92:93], a[44:47]
	v_cvt_f16_f32_e32 v101, v101
	v_cvt_f16_f32_e32 v105, v105
	;; [unrolled: 8-line block ×3, first 2 shown]
	v_cvt_f16_f32_e32 v118, v118
	v_accvgpr_read_b32 v130, a44
	v_accvgpr_read_b32 v131, a45
	;; [unrolled: 1-line block ×4, first 2 shown]
	v_mfma_f32_16x16x16f16 a[52:55], v[90:91], v[92:93], a[52:55]
	v_accvgpr_read_b32 v90, a18
	v_accvgpr_read_b32 v91, a19
	v_cvt_f16_f32_e32 v90, v90
	v_accvgpr_read_b32 v142, a48
	v_accvgpr_read_b32 v143, a49
	;; [unrolled: 1-line block ×4, first 2 shown]
	v_mfma_f32_16x16x16f16 a[56:59], v[210:211], v[92:93], a[56:59]
	v_cvt_f16_f32_e32 v91, v91
	v_cvt_f16_f32_e32 v119, v119
	;; [unrolled: 1-line block ×3, first 2 shown]
	v_accvgpr_read_b32 v148, a52
	v_accvgpr_read_b32 v149, a53
	;; [unrolled: 1-line block ×4, first 2 shown]
	v_mfma_f32_16x16x16f16 a[60:63], v[212:213], v[92:93], a[60:63]
	v_accvgpr_read_b32 v92, a20
	v_accvgpr_read_b32 v93, a21
	v_cvt_f16_f32_e32 v92, v92
	v_accvgpr_read_b32 v156, a56
	v_accvgpr_read_b32 v157, a57
	;; [unrolled: 1-line block ×4, first 2 shown]
	v_cvt_f16_f32_e32 v93, v93
	v_cvt_f16_f32_e32 v121, v121
	;; [unrolled: 1-line block ×4, first 2 shown]
	v_accvgpr_read_b32 v160, a60
	v_accvgpr_read_b32 v163, a61
	;; [unrolled: 1-line block ×4, first 2 shown]
	v_cvt_f16_f32_e32 v124, v124
	v_cvt_f16_f32_e32 v125, v125
	;; [unrolled: 1-line block ×24, first 2 shown]
	v_pack_b32_f16 v165, v72, v73
	v_pack_b32_f16 v163, v74, v75
	;; [unrolled: 1-line block ×32, first 2 shown]
	s_cbranch_vccnz .LBB29_262
.LBB29_263:
	s_lshl_b32 s0, s72, 6
	s_ashr_i32 s1, s0, 31
	s_lshl_b64 s[2:3], s[0:1], 1
	s_add_u32 s2, s29, s2
	s_addc_u32 s3, s31, s3
	v_lshlrev_b64 v[52:53], 1, v[52:53]
	v_mov_b32_e32 v72, s3
	v_add_co_u32_e32 v73, vcc, s2, v52
	s_mul_i32 s2, s34, s1
	s_mul_hi_u32 s3, s34, s0
	s_add_i32 s2, s3, s2
	s_mul_i32 s3, s21, s0
	v_addc_co_u32_e32 v72, vcc, v72, v53, vcc
	v_lshlrev_b64 v[52:53], 1, v[40:41]
	s_add_i32 s3, s2, s3
	s_mul_i32 s2, s34, s0
	v_add_co_u32_e32 v52, vcc, v73, v52
	s_lshl_b64 s[2:3], s[2:3], 2
	v_addc_co_u32_e32 v53, vcc, v72, v53, vcc
	s_add_u32 s2, s24, s2
	global_load_dword v41, v[52:53], off
	s_addc_u32 s3, s25, s3
	v_lshlrev_b64 v[52:53], 2, v[54:55]
	v_mov_b32_e32 v54, s3
	v_add_co_u32_e32 v55, vcc, s2, v52
	v_addc_co_u32_e32 v72, vcc, v54, v53, vcc
	v_lshlrev_b64 v[52:53], 2, v[42:43]
	v_add_co_u32_e32 v54, vcc, v55, v52
	v_addc_co_u32_e32 v55, vcc, v72, v53, vcc
	v_lshlrev_b64 v[56:57], 2, v[56:57]
	v_mov_b32_e32 v43, s3
	v_add_co_u32_e32 v56, vcc, s2, v56
	v_addc_co_u32_e32 v43, vcc, v43, v57, vcc
	v_add_co_u32_e32 v72, vcc, v56, v52
	v_addc_co_u32_e32 v73, vcc, v43, v53, vcc
	v_lshlrev_b64 v[58:59], 2, v[58:59]
	v_mov_b32_e32 v43, s3
	v_add_co_u32_e32 v58, vcc, s2, v58
	v_addc_co_u32_e32 v43, vcc, v43, v59, vcc
	;; [unrolled: 6-line block ×6, first 2 shown]
	v_add_co_u32_e32 v66, vcc, v66, v52
	v_addc_co_u32_e32 v67, vcc, v43, v53, vcc
	global_load_dwordx4 v[54:57], v[54:55], off
	s_nop 0
	global_load_dwordx4 v[72:75], v[72:73], off
	s_nop 0
	;; [unrolled: 2-line block ×5, first 2 shown]
	global_load_dwordx4 v[80:83], v[80:81], off
	v_mov_b32_e32 v43, s3
	global_load_dwordx4 v[84:87], v[66:67], off
	v_lshlrev_b64 v[66:67], 2, v[68:69]
	v_add_co_u32_e32 v66, vcc, s2, v66
	v_addc_co_u32_e32 v43, vcc, v43, v67, vcc
	v_add_co_u32_e32 v66, vcc, v66, v52
	v_addc_co_u32_e32 v67, vcc, v43, v53, vcc
	global_load_dwordx4 v[66:69], v[66:67], off
	v_lshlrev_b32_e32 v40, 1, v40
	v_add3_u32 v40, 0, v162, v40
	s_waitcnt vmcnt(8)
	ds_write_b32 v40, v41 offset:33792
	v_lshlrev_b32_e32 v40, 2, v42
	v_add3_u32 v88, 0, v132, v40
	v_cmp_lt_i32_e32 vcc, v154, v152
	s_mul_hi_u32 s3, s30, s0
	s_mul_i32 s1, s30, s1
	s_mul_i32 s4, s19, s0
	s_add_i32 s1, s3, s1
	s_mul_i32 s0, s30, s0
	s_add_i32 s1, s1, s4
	s_lshl_b64 s[0:1], s[0:1], 2
	s_add_u32 s0, s6, s0
	s_addc_u32 s1, s7, s1
	s_mov_b32 s2, 0x3fb8aa3b
	s_waitcnt vmcnt(7)
	ds_write_b128 v88, v[54:57]
	v_add3_u32 v54, 0, v133, v40
	v_add3_u32 v55, 0, v134, v40
	s_waitcnt vmcnt(6)
	ds_write_b128 v54, v[72:75]
	s_waitcnt vmcnt(5)
	ds_write_b128 v55, v[58:61]
	v_add3_u32 v56, 0, v135, v40
	v_add3_u32 v57, 0, v136, v40
	v_add_u32_e32 v61, 0, v144
	s_waitcnt vmcnt(4)
	ds_write_b128 v56, v[76:79]
	s_waitcnt vmcnt(3)
	ds_write_b128 v57, v[62:65]
	v_add3_u32 v58, 0, v137, v40
	v_add3_u32 v59, 0, v138, v40
	v_add3_u32 v60, 0, v141, v40
	v_add3_u32 v62, v61, v116, v117
	s_waitcnt vmcnt(2)
	ds_write_b128 v58, v[80:83]
	s_waitcnt vmcnt(1)
	ds_write_b128 v59, v[84:87]
	;; [unrolled: 2-line block ×3, first 2 shown]
	s_waitcnt lgkmcnt(0)
	s_barrier
	ds_read2_b64 v[40:43], v62 offset1:4
	s_waitcnt lgkmcnt(0)
	v_mfma_f32_16x16x16f16 a[0:3], v[40:41], v[28:29], 0
	v_mfma_f32_16x16x16f16 a[0:3], v[42:43], v[30:31], a[0:3]
	ds_read2_b64 v[28:31], v62 offset0:8 offset1:12
	s_waitcnt lgkmcnt(0)
	v_mfma_f32_16x16x16f16 a[0:3], v[28:29], v[24:25], a[0:3]
	v_add_u32_e32 v28, 0, v147
	v_lshl_add_u32 v29, v128, 2, v28
	v_lshl_add_u32 v28, v129, 2, v28
	v_mfma_f32_16x16x16f16 a[0:3], v[30:31], v[26:27], a[0:3]
	ds_read2_b64 v[24:27], v62 offset0:16 offset1:20
	s_waitcnt lgkmcnt(0)
	v_mfma_f32_16x16x16f16 a[0:3], v[24:25], v[20:21], a[0:3]
	v_lshlrev_b64 v[24:25], 2, v[48:49]
	v_mfma_f32_16x16x16f16 a[0:3], v[26:27], v[22:23], a[0:3]
	ds_read2_b64 v[20:23], v62 offset0:24 offset1:28
	v_lshlrev_b64 v[26:27], 2, v[50:51]
	s_waitcnt lgkmcnt(0)
	v_mfma_f32_16x16x16f16 a[0:3], v[20:21], v[16:17], a[0:3]
	v_mfma_f32_16x16x16f16 a[0:3], v[22:23], v[18:19], a[0:3]
	ds_read2_b64 v[16:19], v62 offset0:32 offset1:36
	ds_read2_b64 v[20:23], v62 offset0:40 offset1:44
	s_waitcnt lgkmcnt(1)
	v_mfma_f32_16x16x16f16 a[0:3], v[16:17], v[12:13], a[0:3]
	v_cndmask_b32_e32 v12, v150, v154, vcc
	v_cmp_lt_i32_e32 vcc, v155, v152
	v_cndmask_b32_e32 v13, v150, v155, vcc
	v_lshlrev_b32_e32 v67, 2, v12
	v_lshlrev_b32_e32 v65, 2, v13
	v_lshlrev_b64 v[16:17], 2, v[44:45]
	v_mfma_f32_16x16x16f16 a[0:3], v[18:19], v[14:15], a[0:3]
	ds_read2_b64 v[12:15], v62 offset0:48 offset1:52
	v_lshlrev_b64 v[18:19], 2, v[46:47]
	s_waitcnt lgkmcnt(1)
	v_mfma_f32_16x16x16f16 a[0:3], v[20:21], v[8:9], a[0:3]
	v_mov_b32_e32 v8, s1
	v_mov_b32_e32 v9, s1
	;; [unrolled: 1-line block ×4, first 2 shown]
	v_mfma_f32_16x16x16f16 a[0:3], v[22:23], v[10:11], a[0:3]
	s_waitcnt lgkmcnt(0)
	v_mfma_f32_16x16x16f16 a[0:3], v[12:13], v[4:5], a[0:3]
	v_add_co_u32_e32 v12, vcc, s0, v16
	v_addc_co_u32_e32 v13, vcc, v8, v17, vcc
	v_add_co_u32_e32 v16, vcc, s0, v18
	v_addc_co_u32_e32 v17, vcc, v9, v19, vcc
	ds_read2_b64 v[8:11], v62 offset0:56 offset1:60
	v_mfma_f32_16x16x16f16 a[0:3], v[14:15], v[6:7], a[0:3]
	s_waitcnt lgkmcnt(0)
	s_barrier
	ds_read_b32 v5, v29 offset:33792
	ds_read_b32 v4, v28 offset:33792
	v_add_co_u32_e32 v14, vcc, s0, v24
	v_addc_co_u32_e32 v15, vcc, v20, v25, vcc
	v_mfma_f32_16x16x16f16 a[0:3], v[8:9], v[0:1], a[0:3]
	s_waitcnt lgkmcnt(0)
	v_cvt_f32_f16_e32 v0, v4
	v_cvt_f32_f16_sdwa v1, v4 dst_sel:DWORD dst_unused:UNUSED_PAD src0_sel:WORD_1
	v_cvt_f32_f16_e32 v4, v5
	v_cvt_f32_f16_sdwa v5, v5 dst_sel:DWORD dst_unused:UNUSED_PAD src0_sel:WORD_1
	v_add_co_u32_e32 v20, vcc, s0, v26
	v_addc_co_u32_e32 v21, vcc, v21, v27, vcc
	v_mfma_f32_16x16x16f16 a[0:3], v[10:11], v[2:3], a[0:3]
	s_nop 7
	s_nop 2
	v_accvgpr_read_b32 v7, a1
	v_accvgpr_read_b32 v3, a3
	;; [unrolled: 1-line block ×4, first 2 shown]
	v_pk_add_f32 v[40:41], v[2:3], v[0:1]
	v_pk_add_f32 v[2:3], v[6:7], v[4:5]
	v_add_f32_e32 v4, 0x40051340, v2
	v_add_f32_e32 v5, 0x40051340, v3
	v_add_f32_e32 v0, 0x40051340, v40
	v_add_f32_e32 v1, 0x40051340, v41
	v_max3_f32 v4, v70, v4, v5
	v_max3_f32 v0, v4, v0, v1
	ds_bpermute_b32 v1, v67, v0
	v_add_co_u32_e32 v4, vcc, v12, v52
	v_addc_co_u32_e32 v5, vcc, v13, v53, vcc
	s_waitcnt lgkmcnt(0)
	v_max_f32_e32 v1, v1, v1
	v_max_f32_e32 v0, v0, v1
	ds_bpermute_b32 v1, v65, v0
	v_add_co_u32_e32 v6, vcc, v16, v52
	v_addc_co_u32_e32 v7, vcc, v17, v53, vcc
	s_waitcnt lgkmcnt(0)
	v_max_f32_e32 v1, v1, v1
	v_max_f32_e32 v0, v0, v1
	v_pk_add_f32 v[42:43], v[2:3], v[0:1] op_sel_hi:[1,0] neg_lo:[0,1] neg_hi:[0,1]
	v_mul_f32_e32 v1, 0x3fb8aa3b, v43
	v_fma_f32 v2, v43, s2, -v1
	v_rndne_f32_e32 v3, v1
	v_fmac_f32_e32 v2, 0x32a5705f, v43
	v_sub_f32_e32 v1, v1, v3
	v_add_f32_e32 v1, v1, v2
	v_cvt_i32_f32_e32 v10, v3
	v_exp_f32_e32 v1, v1
	v_add_co_u32_e32 v18, vcc, v14, v52
	v_addc_co_u32_e32 v19, vcc, v15, v53, vcc
	v_add_co_u32_e32 v20, vcc, v20, v52
	global_load_dwordx4 v[2:5], v[4:5], off
	s_nop 0
	global_load_dwordx4 v[6:9], v[6:7], off
	v_ldexp_f32 v1, v1, v10
	v_addc_co_u32_e32 v21, vcc, v21, v53, vcc
	global_load_dwordx4 v[10:13], v[18:19], off
	global_load_dwordx4 v[14:17], v[20:21], off
	v_lshlrev_b64 v[18:19], 2, v[36:37]
	v_mov_b32_e32 v20, s1
	v_add_co_u32_e32 v18, vcc, s0, v18
	v_addc_co_u32_e32 v19, vcc, v20, v19, vcc
	v_add_co_u32_e32 v26, vcc, v18, v52
	v_addc_co_u32_e32 v27, vcc, v19, v53, vcc
	v_lshlrev_b64 v[18:19], 2, v[38:39]
	v_add_co_u32_e32 v18, vcc, s0, v18
	v_addc_co_u32_e32 v19, vcc, v20, v19, vcc
	v_add_co_u32_e32 v28, vcc, v18, v52
	v_addc_co_u32_e32 v29, vcc, v19, v53, vcc
	global_load_dwordx4 v[18:21], v[26:27], off
	global_load_dwordx4 v[22:25], v[28:29], off
	v_lshlrev_b64 v[26:27], 2, v[32:33]
	v_mov_b32_e32 v28, s1
	v_add_co_u32_e32 v26, vcc, s0, v26
	v_addc_co_u32_e32 v27, vcc, v28, v27, vcc
	v_add_co_u32_e32 v36, vcc, v26, v52
	v_addc_co_u32_e32 v37, vcc, v27, v53, vcc
	v_lshlrev_b64 v[26:27], 2, v[34:35]
	v_add_co_u32_e32 v26, vcc, s0, v26
	v_addc_co_u32_e32 v27, vcc, v28, v27, vcc
	v_add_co_u32_e32 v34, vcc, v26, v52
	v_addc_co_u32_e32 v35, vcc, v27, v53, vcc
	global_load_dwordx4 v[26:29], v[36:37], off
	global_load_dwordx4 v[30:33], v[34:35], off
	v_mul_f32_e32 v34, 0x3fb8aa3b, v42
	v_fma_f32 v35, v42, s2, -v34
	v_rndne_f32_e32 v36, v34
	v_fmac_f32_e32 v35, 0x32a5705f, v42
	v_sub_f32_e32 v34, v34, v36
	v_add_f32_e32 v34, v34, v35
	s_mov_b32 s0, 0xc2ce8ed0
	v_exp_f32_e32 v34, v34
	v_cvt_i32_f32_e32 v35, v36
	v_cmp_ngt_f32_e32 vcc, s0, v43
	s_mov_b32 s1, 0x42b17218
	v_cndmask_b32_e32 v1, 0, v1, vcc
	v_mov_b32_e32 v36, 0x7f800000
	v_cmp_nlt_f32_e32 vcc, s1, v43
	v_cndmask_b32_e32 v1, v36, v1, vcc
	v_ldexp_f32 v37, v34, v35
	v_pk_add_f32 v[34:35], v[40:41], v[0:1] op_sel_hi:[1,0] neg_lo:[0,1] neg_hi:[0,1]
	v_mul_f32_e32 v38, 0x3fb8aa3b, v35
	v_fma_f32 v39, v35, s2, -v38
	v_rndne_f32_e32 v40, v38
	v_fmac_f32_e32 v39, 0x32a5705f, v35
	v_sub_f32_e32 v38, v38, v40
	v_add_f32_e32 v38, v38, v39
	v_exp_f32_e32 v38, v38
	v_cvt_i32_f32_e32 v39, v40
	v_cmp_ngt_f32_e32 vcc, s0, v42
	v_cndmask_b32_e32 v37, 0, v37, vcc
	v_cmp_nlt_f32_e32 vcc, s1, v42
	v_ldexp_f32 v38, v38, v39
	v_mul_f32_e32 v39, 0x3fb8aa3b, v34
	v_fma_f32 v40, v34, s2, -v39
	v_rndne_f32_e32 v41, v39
	v_fmac_f32_e32 v40, 0x32a5705f, v34
	v_sub_f32_e32 v39, v39, v41
	v_add_f32_e32 v39, v39, v40
	v_cvt_i32_f32_e32 v40, v41
	v_sub_f32_e32 v41, v70, v0
	v_mul_f32_e32 v42, 0x3fb8aa3b, v41
	v_fma_f32 v43, v41, s2, -v42
	v_rndne_f32_e32 v44, v42
	v_fmac_f32_e32 v43, 0x32a5705f, v41
	v_sub_f32_e32 v42, v42, v44
	v_add_f32_e32 v42, v42, v43
	v_exp_f32_e32 v39, v39
	v_exp_f32_e32 v42, v42
	v_cvt_i32_f32_e32 v43, v44
	v_cndmask_b32_e32 v37, v36, v37, vcc
	v_cmp_ngt_f32_e32 vcc, s0, v35
	v_cndmask_b32_e32 v38, 0, v38, vcc
	v_cmp_nlt_f32_e32 vcc, s1, v35
	v_cndmask_b32_e32 v35, v36, v38, vcc
	v_ldexp_f32 v38, v39, v40
	v_ldexp_f32 v39, v42, v43
	v_cmp_ngt_f32_e32 vcc, s0, v41
	v_cndmask_b32_e32 v39, 0, v39, vcc
	v_cmp_nlt_f32_e32 vcc, s1, v41
	s_mov_b32 s2, 0xc1a00000
	v_cndmask_b32_e32 v39, v36, v39, vcc
	v_cmp_le_f32_e32 vcc, s2, v41
	v_cndmask_b32_e32 v39, 0, v39, vcc
	v_cvt_f16_f32_e32 v40, v39
	v_cmp_ngt_f32_e32 vcc, s0, v34
	v_cndmask_b32_e32 v38, 0, v38, vcc
	v_cmp_nlt_f32_e32 vcc, s1, v34
	v_cndmask_b32_e32 v34, v36, v38, vcc
	v_pk_mul_f16 v36, v40, v165 op_sel_hi:[0,1]
	s_waitcnt vmcnt(7)
	ds_write_b128 v88, v[2:5]
	s_waitcnt vmcnt(6)
	ds_write_b128 v54, v[6:9]
	;; [unrolled: 2-line block ×8, first 2 shown]
	v_lshl_add_u32 v12, v112, 1, v61
	v_pk_mul_f16 v38, v40, v163 op_sel_hi:[0,1]
	s_waitcnt lgkmcnt(0)
	s_barrier
	v_lshl_add_u32 v10, v110, 1, v61
	v_add3_u32 v13, v61, v113, v109
	v_cvt_f32_f16_e32 v4, v36
	s_mov_b32 s0, 0x5040100
	ds_read_u16 v2, v12
	ds_read_u16 v14, v12 offset:32
	ds_read_u16 v15, v12 offset:64
	;; [unrolled: 1-line block ×7, first 2 shown]
	ds_read_u16 v3, v13
	ds_read_u16 v21, v13 offset:32
	ds_read_u16 v22, v13 offset:64
	;; [unrolled: 1-line block ×7, first 2 shown]
	v_cvt_f16_f32_e32 v42, v1
	v_cvt_f16_f32_e32 v43, v37
	;; [unrolled: 1-line block ×4, first 2 shown]
	v_add3_u32 v11, v61, v111, v109
	v_cvt_f32_f16_sdwa v5, v36 dst_sel:DWORD dst_unused:UNUSED_PAD src0_sel:WORD_1
	v_cvt_f32_f16_e32 v6, v38
	v_cvt_f32_f16_sdwa v7, v38 dst_sel:DWORD dst_unused:UNUSED_PAD src0_sel:WORD_1
	s_waitcnt lgkmcnt(7)
	v_perm_b32 v9, v3, v2, s0
	ds_read_u16 v2, v10
	ds_read_u16 v28, v10 offset:32
	ds_read_u16 v29, v10 offset:64
	;; [unrolled: 1-line block ×15, first 2 shown]
	s_waitcnt lgkmcnt(7)
	v_perm_b32 v8, v3, v2, s0
	v_pk_mul_f16 v41, v40, v164 op_sel_hi:[0,1]
	v_accvgpr_write_b32 a0, v4
	v_pk_mul_f16 v52, v40, v160 op_sel_hi:[0,1]
	v_pack_b32_f16 v2, v43, v42
	v_pack_b32_f16 v3, v45, v44
	v_accvgpr_write_b32 a1, v5
	v_accvgpr_write_b32 a2, v6
	;; [unrolled: 1-line block ×3, first 2 shown]
	v_cvt_f32_f16_e32 v4, v41
	v_cvt_f32_f16_sdwa v5, v41 dst_sel:DWORD dst_unused:UNUSED_PAD src0_sel:WORD_1
	v_mfma_f32_16x16x16f16 a[0:3], v[8:9], v[2:3], a[0:3]
	v_cvt_f32_f16_e32 v6, v52
	v_cvt_f32_f16_sdwa v7, v52 dst_sel:DWORD dst_unused:UNUSED_PAD src0_sel:WORD_1
	v_perm_b32 v9, v21, v14, s0
	s_waitcnt lgkmcnt(6)
	v_perm_b32 v8, v38, v28, s0
	v_pk_mul_f16 v21, v40, v158 op_sel_hi:[0,1]
	v_accvgpr_write_b32 a4, v4
	v_pk_mul_f16 v14, v40, v159 op_sel_hi:[0,1]
	v_accvgpr_write_b32 a5, v5
	v_accvgpr_write_b32 a6, v6
	v_accvgpr_write_b32 a7, v7
	v_cvt_f32_f16_sdwa v7, v21 dst_sel:DWORD dst_unused:UNUSED_PAD src0_sel:WORD_1
	v_cvt_f32_f16_e32 v4, v14
	v_mfma_f32_16x16x16f16 a[4:7], v[8:9], v[2:3], a[4:7]
	v_cvt_f32_f16_sdwa v5, v14 dst_sel:DWORD dst_unused:UNUSED_PAD src0_sel:WORD_1
	v_cvt_f32_f16_e32 v6, v21
	v_perm_b32 v9, v22, v15, s0
	s_waitcnt lgkmcnt(5)
	v_perm_b32 v8, v46, v29, s0
	v_pk_mul_f16 v15, v40, v156 op_sel_hi:[0,1]
	v_accvgpr_write_b32 a11, v7
	v_pk_mul_f16 v14, v40, v157 op_sel_hi:[0,1]
	v_accvgpr_write_b32 a10, v6
	v_accvgpr_write_b32 a9, v5
	v_accvgpr_write_b32 a8, v4
	v_cvt_f32_f16_sdwa v7, v15 dst_sel:DWORD dst_unused:UNUSED_PAD src0_sel:WORD_1
	v_cvt_f32_f16_e32 v4, v14
	v_mfma_f32_16x16x16f16 a[8:11], v[8:9], v[2:3], a[8:11]
	v_cvt_f32_f16_sdwa v5, v14 dst_sel:DWORD dst_unused:UNUSED_PAD src0_sel:WORD_1
	v_cvt_f32_f16_e32 v6, v15
	;; [unrolled: 14-line block ×6, first 2 shown]
	v_perm_b32 v9, v27, v20, s0
	s_waitcnt lgkmcnt(0)
	v_perm_b32 v8, v51, v36, s0
	v_accvgpr_write_b32 a31, v7
	v_pk_mul_f16 v14, v40, v140 op_sel_hi:[0,1]
	v_pk_mul_f16 v15, v40, v139 op_sel_hi:[0,1]
	v_accvgpr_write_b32 a30, v6
	v_accvgpr_write_b32 a29, v5
	;; [unrolled: 1-line block ×3, first 2 shown]
	v_cvt_f32_f16_e32 v4, v14
	v_cvt_f32_f16_sdwa v5, v14 dst_sel:DWORD dst_unused:UNUSED_PAD src0_sel:WORD_1
	v_mfma_f32_16x16x16f16 a[28:31], v[8:9], v[2:3], a[28:31]
	v_cvt_f32_f16_e32 v6, v15
	v_cvt_f32_f16_sdwa v7, v15 dst_sel:DWORD dst_unused:UNUSED_PAD src0_sel:WORD_1
	ds_read_u16 v8, v12 offset:256
	ds_read_u16 v14, v12 offset:288
	;; [unrolled: 1-line block ×16, first 2 shown]
	s_waitcnt lgkmcnt(7)
	v_perm_b32 v9, v9, v8, s0
	ds_read_u16 v8, v10 offset:256
	ds_read_u16 v26, v10 offset:288
	;; [unrolled: 1-line block ×16, first 2 shown]
	s_waitcnt lgkmcnt(7)
	v_perm_b32 v8, v32, v8, s0
	v_pk_mul_f16 v44, v40, v130 op_sel_hi:[0,1]
	v_accvgpr_write_b32 a35, v7
	v_pk_mul_f16 v32, v40, v131 op_sel_hi:[0,1]
	v_accvgpr_write_b32 a34, v6
	v_accvgpr_write_b32 a33, v5
	v_accvgpr_write_b32 a32, v4
	v_cvt_f32_f16_sdwa v7, v44 dst_sel:DWORD dst_unused:UNUSED_PAD src0_sel:WORD_1
	v_cvt_f32_f16_e32 v4, v32
	v_mfma_f32_16x16x16f16 a[32:35], v[8:9], v[2:3], a[32:35]
	v_cvt_f32_f16_sdwa v5, v32 dst_sel:DWORD dst_unused:UNUSED_PAD src0_sel:WORD_1
	v_cvt_f32_f16_e32 v6, v44
	v_perm_b32 v9, v20, v14, s0
	s_waitcnt lgkmcnt(6)
	v_perm_b32 v8, v33, v26, s0
	v_pk_mul_f16 v20, v40, v126 op_sel_hi:[0,1]
	v_accvgpr_write_b32 a39, v7
	v_pk_mul_f16 v14, v40, v127 op_sel_hi:[0,1]
	v_accvgpr_write_b32 a38, v6
	v_accvgpr_write_b32 a37, v5
	v_accvgpr_write_b32 a36, v4
	v_cvt_f32_f16_sdwa v7, v20 dst_sel:DWORD dst_unused:UNUSED_PAD src0_sel:WORD_1
	v_cvt_f32_f16_e32 v4, v14
	v_mfma_f32_16x16x16f16 a[36:39], v[8:9], v[2:3], a[36:39]
	v_cvt_f32_f16_sdwa v5, v14 dst_sel:DWORD dst_unused:UNUSED_PAD src0_sel:WORD_1
	v_cvt_f32_f16_e32 v6, v20
	v_perm_b32 v9, v21, v15, s0
	;; [unrolled: 14-line block ×6, first 2 shown]
	s_waitcnt lgkmcnt(1)
	v_perm_b32 v8, v43, v31, s0
	v_add_f32_e32 v1, v37, v1
	v_pk_mul_f16 v15, v40, v114 op_sel_hi:[0,1]
	v_accvgpr_write_b32 a59, v7
	v_add_f32_e32 v1, v34, v1
	v_pk_mul_f16 v14, v40, v115 op_sel_hi:[0,1]
	v_accvgpr_write_b32 a58, v6
	v_accvgpr_write_b32 a57, v5
	;; [unrolled: 1-line block ×3, first 2 shown]
	v_cvt_f32_f16_sdwa v7, v15 dst_sel:DWORD dst_unused:UNUSED_PAD src0_sel:WORD_1
	v_add_f32_e32 v1, v35, v1
	v_mfma_f32_16x16x16f16 a[56:59], v[8:9], v[2:3], a[56:59]
	v_cvt_f32_f16_e32 v4, v14
	v_cvt_f32_f16_sdwa v5, v14 dst_sel:DWORD dst_unused:UNUSED_PAD src0_sel:WORD_1
	v_cvt_f32_f16_e32 v6, v15
	v_perm_b32 v9, v13, v12, s0
	s_waitcnt lgkmcnt(0)
	v_perm_b32 v8, v11, v10, s0
	v_fmac_f32_e32 v1, v71, v39
	ds_bpermute_b32 v10, v67, v1
	v_accvgpr_write_b32 a63, v7
	v_accvgpr_write_b32 a62, v6
	;; [unrolled: 1-line block ×4, first 2 shown]
	s_waitcnt lgkmcnt(0)
	v_add_f32_e32 v1, v1, v10
	v_cmp_gt_u32_e64 s[0:1], 16, v102
	v_mfma_f32_16x16x16f16 a[60:63], v[8:9], v[2:3], a[60:63]
	ds_bpermute_b32 v2, v65, v1
	s_waitcnt lgkmcnt(0)
	s_barrier
	s_and_saveexec_b64 s[2:3], s[0:1]
	s_cbranch_execz .LBB29_265
; %bb.264:
	v_add_f32_e32 v1, v1, v2
	v_or_b32_e32 v2, v108, v102
	s_movk_i32 s4, 0x210
	v_mad_i32_i24 v2, v2, s4, 0
	ds_write2_b32 v2, v0, v1 offset0:128 offset1:129
.LBB29_265:
	s_or_b64 exec, exec, s[2:3]
	v_cmp_eq_u32_e32 vcc, 0, v251
	v_cmp_ne_u32_e64 s[2:3], 0, v251
	s_waitcnt lgkmcnt(0)
	s_barrier
	s_and_saveexec_b64 s[4:5], s[2:3]
	s_xor_b64 s[2:3], exec, s[4:5]
	s_cbranch_execz .LBB29_267
; %bb.266:
	s_barrier
	s_waitcnt lgkmcnt(0)
                                        ; implicit-def: $vgpr67
                                        ; implicit-def: $vgpr65
                                        ; implicit-def: $vgpr250
.LBB29_267:
	s_or_saveexec_b64 s[4:5], s[2:3]
	v_accvgpr_read_b32 v63, a3
	v_accvgpr_read_b32 v59, a7
	;; [unrolled: 1-line block ×64, first 2 shown]
	s_xor_b64 exec, exec, s[4:5]
	s_cbranch_execz .LBB29_271
; %bb.268:
	v_add_u32_e32 v64, v108, v102
	s_movk_i32 s2, 0x210
	v_mad_i32_i24 v70, v64, s2, 0
	ds_read_b64 v[68:69], v70 offset:512
	s_mov_b32 s2, 0x3fb8aa3b
	s_mov_b32 s6, 0x42b17218
	;; [unrolled: 1-line block ×3, first 2 shown]
	s_waitcnt lgkmcnt(0)
	ds_bpermute_b32 v64, v67, v68
	v_max_f32_e32 v66, v68, v68
	s_barrier
	s_waitcnt lgkmcnt(0)
	v_max_f32_e32 v64, v64, v64
	v_max_f32_e32 v64, v66, v64
	ds_bpermute_b32 v66, v65, v64
	s_waitcnt lgkmcnt(0)
	v_max_f32_e32 v66, v66, v66
	v_max_f32_e32 v64, v64, v66
	v_sub_f32_e32 v66, v68, v64
	v_mul_f32_e32 v68, 0x3fb8aa3b, v66
	v_fma_f32 v71, v66, s2, -v68
	v_rndne_f32_e32 v72, v68
	v_fmac_f32_e32 v71, 0x32a5705f, v66
	v_sub_f32_e32 v68, v68, v72
	v_add_f32_e32 v68, v68, v71
	v_cvt_i32_f32_e32 v72, v72
	v_exp_f32_e32 v68, v68
	s_mov_b32 s2, 0xc2ce8ed0
	v_cmp_ngt_f32_e64 s[2:3], s2, v66
	v_mov_b32_e32 v71, 0x7f800000
	v_ldexp_f32 v68, v68, v72
	v_cndmask_b32_e64 v68, 0, v68, s[2:3]
	v_cmp_nlt_f32_e64 s[2:3], s6, v66
	v_cndmask_b32_e64 v66, v71, v68, s[2:3]
	v_mul_f32_e32 v68, v69, v66
	ds_bpermute_b32 v67, v67, v68
	s_waitcnt lgkmcnt(0)
	v_fmac_f32_e32 v67, v69, v66
	ds_bpermute_b32 v65, v65, v67
	s_waitcnt lgkmcnt(0)
	v_add_f32_e32 v67, v67, v65
	ds_write_b64 v70, v[66:67] offset:512
	s_and_saveexec_b64 s[2:3], s[0:1]
	s_cbranch_execz .LBB29_270
; %bb.269:
	s_add_i32 s0, s41, s49
	s_lshl_b32 s8, s0, 4
	s_lshl_b64 s[0:1], s[8:9], 3
	s_add_u32 s0, s26, s0
	v_or_b32_e32 v65, v250, v102
	s_addc_u32 s1, s27, s1
	v_lshlrev_b32_e32 v66, 3, v65
	v_mov_b32_e32 v65, v67
	global_store_dwordx2 v66, v[64:65], s[0:1]
.LBB29_270:
	s_or_b64 exec, exec, s[2:3]
.LBB29_271:
	s_or_b64 exec, exec, s[4:5]
	v_cvt_f16_f32_e32 v0, v0
	v_cvt_f16_f32_e32 v1, v1
	v_cvt_f16_f32_e32 v60, v60
	v_cvt_f16_f32_e32 v61, v61
	v_cvt_f16_f32_e32 v62, v62
	v_cvt_f16_f32_e32 v63, v63
	v_cvt_f16_f32_e32 v56, v56
	v_cvt_f16_f32_e32 v58, v58
	v_cvt_f16_f32_e32 v59, v59
	v_cvt_f16_f32_e32 v57, v57
	v_cvt_f16_f32_e32 v52, v52
	v_cvt_f16_f32_e32 v53, v53
	v_cvt_f16_f32_e32 v54, v54
	v_cvt_f16_f32_e32 v55, v55
	v_cvt_f16_f32_e32 v48, v48
	v_cvt_f16_f32_e32 v50, v50
	v_cvt_f16_f32_e32 v51, v51
	v_cvt_f16_f32_e32 v49, v49
	v_cvt_f16_f32_e32 v44, v44
	v_cvt_f16_f32_e32 v45, v45
	v_cvt_f16_f32_e32 v46, v46
	v_cvt_f16_f32_e32 v47, v47
	v_cvt_f16_f32_e32 v40, v40
	v_cvt_f16_f32_e32 v42, v42
	v_cvt_f16_f32_e32 v43, v43
	v_cvt_f16_f32_e32 v41, v41
	v_cvt_f16_f32_e32 v36, v36
	v_cvt_f16_f32_e32 v37, v37
	v_cvt_f16_f32_e32 v38, v38
	v_cvt_f16_f32_e32 v39, v39
	v_cvt_f16_f32_e32 v32, v32
	v_cvt_f16_f32_e32 v34, v34
	v_cvt_f16_f32_e32 v35, v35
	v_cvt_f16_f32_e32 v33, v33
	v_cvt_f16_f32_e32 v28, v28
	v_cvt_f16_f32_e32 v29, v29
	v_cvt_f16_f32_e32 v30, v30
	v_cvt_f16_f32_e32 v31, v31
	v_cvt_f16_f32_e32 v24, v24
	v_cvt_f16_f32_e32 v26, v26
	v_cvt_f16_f32_e32 v27, v27
	v_cvt_f16_f32_e32 v25, v25
	v_cvt_f16_f32_e32 v20, v20
	v_cvt_f16_f32_e32 v21, v21
	v_cvt_f16_f32_e32 v22, v22
	v_cvt_f16_f32_e32 v23, v23
	v_cvt_f16_f32_e32 v16, v16
	v_cvt_f16_f32_e32 v18, v18
	v_cvt_f16_f32_e32 v19, v19
	v_cvt_f16_f32_e32 v17, v17
	v_cvt_f16_f32_e32 v12, v12
	v_cvt_f16_f32_e32 v13, v13
	v_cvt_f16_f32_e32 v14, v14
	v_cvt_f16_f32_e32 v15, v15
	v_cvt_f16_f32_e32 v8, v8
	v_cvt_f16_f32_e32 v10, v10
	v_cvt_f16_f32_e32 v11, v11
	v_cvt_f16_f32_e32 v9, v9
	v_cvt_f16_f32_e32 v4, v4
	v_cvt_f16_f32_e32 v5, v5
	v_cvt_f16_f32_e32 v6, v6
	v_cvt_f16_f32_e32 v7, v7
	v_cvt_f16_f32_e32 v2, v2
	v_cvt_f16_f32_e32 v3, v3
	v_pack_b32_f16 v0, v0, v1
	v_or_b32_e32 v1, v108, v104
	s_movk_i32 s0, 0x84
	v_mad_i32_i24 v1, v1, s0, v106
	v_pack_b32_f16 v62, v62, v63
	v_pack_b32_f16 v60, v60, v61
	s_mov_b32 s3, 0
	v_lshl_add_u32 v1, v1, 2, 0
	v_pack_b32_f16 v58, v58, v59
	v_pack_b32_f16 v56, v56, v57
	;; [unrolled: 1-line block ×29, first 2 shown]
	ds_write2_b32 v1, v60, v62 offset1:1
	ds_write2_b32 v1, v56, v58 offset0:8 offset1:9
	ds_write2_b32 v1, v52, v54 offset0:16 offset1:17
	;; [unrolled: 1-line block ×15, first 2 shown]
	s_waitcnt lgkmcnt(0)
	s_barrier
	s_and_saveexec_b64 s[0:1], vcc
	s_cbranch_execz .LBB29_273
; %bb.272:
	s_lshl_b32 s2, s41, 5
	s_lshl_b64 s[4:5], s[2:3], 3
	s_add_u32 s4, s26, s4
	s_addc_u32 s5, s27, s5
	s_lshl_b32 s2, s49, 11
	s_lshl_b64 s[2:3], s[2:3], 3
	s_add_u32 s2, s4, s2
	v_bfe_u32 v0, v103, 2, 4
	s_movk_i32 s4, 0x3c0
	v_and_or_b32 v0, v103, s4, v0
	s_movk_i32 s4, 0x210
	v_mad_u32_u24 v14, v0, s4, 0
	v_lshlrev_b32_e32 v0, 2, v102
	v_add_u32_e32 v1, v14, v0
	ds_read2st64_b32 v[2:3], v1 offset1:1
	ds_read2st64_b32 v[4:5], v14 offset0:2 offset1:35
	ds_read2st64_b32 v[6:7], v1 offset0:33 offset1:34
	;; [unrolled: 1-line block ×4, first 2 shown]
	s_waitcnt lgkmcnt(4)
	v_cvt_f32_f16_e32 v12, v2
	v_cvt_f32_f16_sdwa v13, v2 dst_sel:DWORD dst_unused:UNUSED_PAD src0_sel:WORD_1
	ds_read2st64_b32 v[14:15], v14 offset0:68 offset1:101
	s_waitcnt lgkmcnt(3)
	v_cvt_f32_f16_e32 v16, v6
	v_cvt_f32_f16_sdwa v17, v6 dst_sel:DWORD dst_unused:UNUSED_PAD src0_sel:WORD_1
	s_waitcnt lgkmcnt(2)
	v_cvt_f32_f16_e32 v18, v8
	v_cvt_f32_f16_sdwa v19, v8 dst_sel:DWORD dst_unused:UNUSED_PAD src0_sel:WORD_1
	;; [unrolled: 3-line block ×3, first 2 shown]
	v_pk_fma_f32 v[12:13], v[4:5], v[12:13], 0 op_sel_hi:[0,1,0]
	v_mov_b32_e32 v2, v5
	v_pk_fma_f32 v[12:13], v[2:3], v[16:17], v[12:13] op_sel_hi:[0,1,1]
	v_lshlrev_b32_e32 v22, 5, v103
	s_waitcnt lgkmcnt(0)
	v_pk_fma_f32 v[12:13], v[14:15], v[18:19], v[12:13] op_sel_hi:[0,1,1]
	v_mov_b32_e32 v6, v15
	s_addc_u32 s3, s5, s3
	v_pk_fma_f32 v[12:13], v[6:7], v[20:21], v[12:13] op_sel_hi:[0,1,1]
	v_add_lshl_u32 v15, v102, v22, 3
	global_store_dwordx2 v15, v[12:13], s[2:3]
	v_cvt_f32_f16_e32 v12, v3
	v_cvt_f32_f16_sdwa v13, v3 dst_sel:DWORD dst_unused:UNUSED_PAD src0_sel:WORD_1
	v_cvt_f32_f16_e32 v16, v7
	v_cvt_f32_f16_sdwa v17, v7 dst_sel:DWORD dst_unused:UNUSED_PAD src0_sel:WORD_1
	;; [unrolled: 2-line block ×4, first 2 shown]
	v_pk_fma_f32 v[4:5], v[4:5], v[12:13], 0 op_sel_hi:[0,1,0]
	v_pk_fma_f32 v[2:3], v[2:3], v[16:17], v[4:5] op_sel_hi:[0,1,1]
	v_lshrrev_b32_e32 v1, 2, v103
	v_pk_fma_f32 v[2:3], v[14:15], v[8:9], v[2:3] op_sel_hi:[0,1,1]
	v_pk_fma_f32 v[2:3], v[6:7], v[10:11], v[2:3] op_sel_hi:[0,1,1]
	v_add_u32_e32 v14, 1, v1
	global_store_dwordx2 v15, v[2:3], s[2:3] offset:512
	v_lshlrev_b32_e32 v2, 2, v14
	v_and_b32_e32 v3, 15, v14
	s_movk_i32 s5, 0x7c0
	v_and_or_b32 v2, v2, s5, v3
	v_mad_u32_u24 v15, v2, s4, 0
	v_add_u32_e32 v10, v15, v0
	ds_read2st64_b32 v[2:3], v10 offset1:1
	ds_read2st64_b32 v[4:5], v15 offset0:2 offset1:35
	ds_read2st64_b32 v[6:7], v10 offset0:33 offset1:34
	ds_read2st64_b32 v[8:9], v10 offset0:66 offset1:67
	ds_read2st64_b32 v[10:11], v10 offset0:99 offset1:100
	s_waitcnt lgkmcnt(4)
	v_cvt_f32_f16_e32 v12, v2
	v_cvt_f32_f16_sdwa v13, v2 dst_sel:DWORD dst_unused:UNUSED_PAD src0_sel:WORD_1
	v_lshlrev_b32_e32 v22, 7, v14
	ds_read2st64_b32 v[14:15], v15 offset0:68 offset1:101
	s_waitcnt lgkmcnt(3)
	v_cvt_f32_f16_e32 v16, v6
	v_cvt_f32_f16_sdwa v17, v6 dst_sel:DWORD dst_unused:UNUSED_PAD src0_sel:WORD_1
	s_waitcnt lgkmcnt(2)
	v_cvt_f32_f16_e32 v18, v8
	v_cvt_f32_f16_sdwa v19, v8 dst_sel:DWORD dst_unused:UNUSED_PAD src0_sel:WORD_1
	s_waitcnt lgkmcnt(1)
	v_cvt_f32_f16_e32 v20, v10
	v_cvt_f32_f16_sdwa v21, v10 dst_sel:DWORD dst_unused:UNUSED_PAD src0_sel:WORD_1
	v_pk_fma_f32 v[12:13], v[4:5], v[12:13], 0 op_sel_hi:[0,1,0]
	v_mov_b32_e32 v2, v5
	v_pk_fma_f32 v[12:13], v[2:3], v[16:17], v[12:13] op_sel_hi:[0,1,1]
	s_waitcnt lgkmcnt(0)
	v_pk_fma_f32 v[12:13], v[14:15], v[18:19], v[12:13] op_sel_hi:[0,1,1]
	v_mov_b32_e32 v6, v15
	v_add_lshl_u32 v23, v102, v22, 3
	v_pk_fma_f32 v[12:13], v[6:7], v[20:21], v[12:13] op_sel_hi:[0,1,1]
	global_store_dwordx2 v23, v[12:13], s[2:3]
	v_add_co_u32_e32 v12, vcc, v102, v22
	v_cvt_f32_f16_e32 v16, v3
	v_cvt_f32_f16_sdwa v17, v3 dst_sel:DWORD dst_unused:UNUSED_PAD src0_sel:WORD_1
	v_addc_co_u32_e64 v13, s[6:7], 0, 0, vcc
	v_cvt_f32_f16_e32 v18, v7
	v_cvt_f32_f16_sdwa v19, v7 dst_sel:DWORD dst_unused:UNUSED_PAD src0_sel:WORD_1
	v_lshlrev_b64 v[12:13], 3, v[12:13]
	v_cvt_f32_f16_e32 v8, v9
	v_cvt_f32_f16_sdwa v9, v9 dst_sel:DWORD dst_unused:UNUSED_PAD src0_sel:WORD_1
	v_mov_b32_e32 v5, s3
	v_add_co_u32_e32 v12, vcc, s2, v12
	v_cvt_f32_f16_e32 v10, v11
	v_cvt_f32_f16_sdwa v11, v11 dst_sel:DWORD dst_unused:UNUSED_PAD src0_sel:WORD_1
	v_addc_co_u32_e32 v13, vcc, v5, v13, vcc
	v_pk_fma_f32 v[4:5], v[4:5], v[16:17], 0 op_sel_hi:[0,1,0]
	v_pk_fma_f32 v[2:3], v[2:3], v[18:19], v[4:5] op_sel_hi:[0,1,1]
	v_pk_fma_f32 v[2:3], v[14:15], v[8:9], v[2:3] op_sel_hi:[0,1,1]
	v_pk_fma_f32 v[2:3], v[6:7], v[10:11], v[2:3] op_sel_hi:[0,1,1]
	v_add_u32_e32 v14, 2, v1
	global_store_dwordx2 v[12:13], v[2:3], off offset:512
	v_lshlrev_b32_e32 v2, 2, v14
	v_and_b32_e32 v3, 15, v14
	v_and_or_b32 v2, v2, s5, v3
	v_mad_u32_u24 v15, v2, s4, 0
	v_add_u32_e32 v10, v15, v0
	ds_read2st64_b32 v[2:3], v10 offset1:1
	ds_read2st64_b32 v[4:5], v15 offset0:2 offset1:35
	ds_read2st64_b32 v[6:7], v10 offset0:33 offset1:34
	ds_read2st64_b32 v[8:9], v10 offset0:66 offset1:67
	ds_read2st64_b32 v[10:11], v10 offset0:99 offset1:100
	s_waitcnt lgkmcnt(4)
	v_cvt_f32_f16_e32 v12, v2
	v_cvt_f32_f16_sdwa v13, v2 dst_sel:DWORD dst_unused:UNUSED_PAD src0_sel:WORD_1
	v_lshlrev_b32_e32 v22, 7, v14
	ds_read2st64_b32 v[14:15], v15 offset0:68 offset1:101
	s_waitcnt lgkmcnt(3)
	v_cvt_f32_f16_e32 v16, v6
	v_cvt_f32_f16_sdwa v17, v6 dst_sel:DWORD dst_unused:UNUSED_PAD src0_sel:WORD_1
	s_waitcnt lgkmcnt(2)
	v_cvt_f32_f16_e32 v18, v8
	v_cvt_f32_f16_sdwa v19, v8 dst_sel:DWORD dst_unused:UNUSED_PAD src0_sel:WORD_1
	s_waitcnt lgkmcnt(1)
	v_cvt_f32_f16_e32 v20, v10
	v_cvt_f32_f16_sdwa v21, v10 dst_sel:DWORD dst_unused:UNUSED_PAD src0_sel:WORD_1
	v_pk_fma_f32 v[12:13], v[4:5], v[12:13], 0 op_sel_hi:[0,1,0]
	v_mov_b32_e32 v2, v5
	v_pk_fma_f32 v[12:13], v[2:3], v[16:17], v[12:13] op_sel_hi:[0,1,1]
	s_waitcnt lgkmcnt(0)
	v_pk_fma_f32 v[12:13], v[14:15], v[18:19], v[12:13] op_sel_hi:[0,1,1]
	v_mov_b32_e32 v6, v15
	v_add_lshl_u32 v23, v102, v22, 3
	v_pk_fma_f32 v[12:13], v[6:7], v[20:21], v[12:13] op_sel_hi:[0,1,1]
	global_store_dwordx2 v23, v[12:13], s[2:3]
	v_add_co_u32_e32 v12, vcc, v102, v22
	v_cvt_f32_f16_e32 v16, v3
	v_cvt_f32_f16_sdwa v17, v3 dst_sel:DWORD dst_unused:UNUSED_PAD src0_sel:WORD_1
	v_addc_co_u32_e64 v13, s[6:7], 0, 0, vcc
	v_cvt_f32_f16_e32 v18, v7
	v_cvt_f32_f16_sdwa v19, v7 dst_sel:DWORD dst_unused:UNUSED_PAD src0_sel:WORD_1
	v_lshlrev_b64 v[12:13], 3, v[12:13]
	v_cvt_f32_f16_e32 v8, v9
	v_cvt_f32_f16_sdwa v9, v9 dst_sel:DWORD dst_unused:UNUSED_PAD src0_sel:WORD_1
	v_mov_b32_e32 v5, s3
	v_add_co_u32_e32 v12, vcc, s2, v12
	v_cvt_f32_f16_e32 v10, v11
	v_cvt_f32_f16_sdwa v11, v11 dst_sel:DWORD dst_unused:UNUSED_PAD src0_sel:WORD_1
	v_addc_co_u32_e32 v13, vcc, v5, v13, vcc
	v_pk_fma_f32 v[4:5], v[4:5], v[16:17], 0 op_sel_hi:[0,1,0]
	v_pk_fma_f32 v[2:3], v[2:3], v[18:19], v[4:5] op_sel_hi:[0,1,1]
	v_pk_fma_f32 v[2:3], v[14:15], v[8:9], v[2:3] op_sel_hi:[0,1,1]
	v_pk_fma_f32 v[2:3], v[6:7], v[10:11], v[2:3] op_sel_hi:[0,1,1]
	v_add_u32_e32 v14, 3, v1
	global_store_dwordx2 v[12:13], v[2:3], off offset:512
	v_lshlrev_b32_e32 v2, 2, v14
	v_and_b32_e32 v3, 15, v14
	;; [unrolled: 53-line block ×13, first 2 shown]
	v_and_or_b32 v2, v2, s5, v3
	v_mad_u32_u24 v15, v2, s4, 0
	v_add_u32_e32 v10, v15, v0
	ds_read2st64_b32 v[2:3], v10 offset1:1
	ds_read2st64_b32 v[4:5], v15 offset0:2 offset1:35
	ds_read2st64_b32 v[6:7], v10 offset0:33 offset1:34
	;; [unrolled: 1-line block ×4, first 2 shown]
	s_waitcnt lgkmcnt(4)
	v_cvt_f32_f16_e32 v12, v2
	v_cvt_f32_f16_sdwa v13, v2 dst_sel:DWORD dst_unused:UNUSED_PAD src0_sel:WORD_1
	v_lshlrev_b32_e32 v22, 7, v14
	ds_read2st64_b32 v[14:15], v15 offset0:68 offset1:101
	s_waitcnt lgkmcnt(3)
	v_cvt_f32_f16_e32 v16, v6
	v_cvt_f32_f16_sdwa v17, v6 dst_sel:DWORD dst_unused:UNUSED_PAD src0_sel:WORD_1
	s_waitcnt lgkmcnt(2)
	v_cvt_f32_f16_e32 v18, v8
	v_cvt_f32_f16_sdwa v19, v8 dst_sel:DWORD dst_unused:UNUSED_PAD src0_sel:WORD_1
	s_waitcnt lgkmcnt(1)
	v_cvt_f32_f16_e32 v20, v10
	v_cvt_f32_f16_sdwa v21, v10 dst_sel:DWORD dst_unused:UNUSED_PAD src0_sel:WORD_1
	v_pk_fma_f32 v[12:13], v[4:5], v[12:13], 0 op_sel_hi:[0,1,0]
	v_mov_b32_e32 v2, v5
	v_pk_fma_f32 v[12:13], v[2:3], v[16:17], v[12:13] op_sel_hi:[0,1,1]
	s_waitcnt lgkmcnt(0)
	v_pk_fma_f32 v[12:13], v[14:15], v[18:19], v[12:13] op_sel_hi:[0,1,1]
	v_mov_b32_e32 v6, v15
	v_add_lshl_u32 v23, v102, v22, 3
	v_pk_fma_f32 v[12:13], v[6:7], v[20:21], v[12:13] op_sel_hi:[0,1,1]
	global_store_dwordx2 v23, v[12:13], s[2:3]
	v_add_co_u32_e32 v12, vcc, v102, v22
	v_cvt_f32_f16_e32 v16, v3
	v_cvt_f32_f16_sdwa v17, v3 dst_sel:DWORD dst_unused:UNUSED_PAD src0_sel:WORD_1
	v_addc_co_u32_e64 v13, s[6:7], 0, 0, vcc
	v_cvt_f32_f16_e32 v18, v7
	v_cvt_f32_f16_sdwa v19, v7 dst_sel:DWORD dst_unused:UNUSED_PAD src0_sel:WORD_1
	v_lshlrev_b64 v[12:13], 3, v[12:13]
	v_cvt_f32_f16_e32 v8, v9
	v_cvt_f32_f16_sdwa v9, v9 dst_sel:DWORD dst_unused:UNUSED_PAD src0_sel:WORD_1
	v_mov_b32_e32 v5, s3
	v_add_co_u32_e32 v12, vcc, s2, v12
	v_cvt_f32_f16_e32 v10, v11
	v_cvt_f32_f16_sdwa v11, v11 dst_sel:DWORD dst_unused:UNUSED_PAD src0_sel:WORD_1
	v_addc_co_u32_e32 v13, vcc, v5, v13, vcc
	v_pk_fma_f32 v[4:5], v[4:5], v[16:17], 0 op_sel_hi:[0,1,0]
	v_pk_fma_f32 v[2:3], v[2:3], v[18:19], v[4:5] op_sel_hi:[0,1,1]
	;; [unrolled: 1-line block ×4, first 2 shown]
	global_store_dwordx2 v[12:13], v[2:3], off offset:512
	v_add_u32_e32 v12, 15, v1
	v_lshlrev_b32_e32 v1, 2, v12
	v_and_b32_e32 v2, 15, v12
	v_and_or_b32 v1, v1, s5, v2
	v_mad_u32_u24 v13, v1, s4, 0
	v_add_u32_e32 v8, v13, v0
	ds_read2st64_b32 v[0:1], v8 offset1:1
	ds_read2st64_b32 v[2:3], v13 offset0:2 offset1:35
	ds_read2st64_b32 v[4:5], v8 offset0:33 offset1:34
	;; [unrolled: 1-line block ×4, first 2 shown]
	s_waitcnt lgkmcnt(4)
	v_cvt_f32_f16_e32 v10, v0
	v_cvt_f32_f16_sdwa v11, v0 dst_sel:DWORD dst_unused:UNUSED_PAD src0_sel:WORD_1
	v_lshlrev_b32_e32 v20, 7, v12
	ds_read2st64_b32 v[12:13], v13 offset0:68 offset1:101
	s_waitcnt lgkmcnt(3)
	v_cvt_f32_f16_e32 v14, v4
	v_cvt_f32_f16_sdwa v15, v4 dst_sel:DWORD dst_unused:UNUSED_PAD src0_sel:WORD_1
	s_waitcnt lgkmcnt(2)
	v_cvt_f32_f16_e32 v16, v6
	v_cvt_f32_f16_sdwa v17, v6 dst_sel:DWORD dst_unused:UNUSED_PAD src0_sel:WORD_1
	s_waitcnt lgkmcnt(1)
	v_cvt_f32_f16_e32 v18, v8
	v_cvt_f32_f16_sdwa v19, v8 dst_sel:DWORD dst_unused:UNUSED_PAD src0_sel:WORD_1
	v_pk_fma_f32 v[10:11], v[2:3], v[10:11], 0 op_sel_hi:[0,1,0]
	v_mov_b32_e32 v0, v3
	v_pk_fma_f32 v[10:11], v[0:1], v[14:15], v[10:11] op_sel_hi:[0,1,1]
	s_waitcnt lgkmcnt(0)
	v_pk_fma_f32 v[10:11], v[12:13], v[16:17], v[10:11] op_sel_hi:[0,1,1]
	v_mov_b32_e32 v4, v13
	v_add_lshl_u32 v21, v102, v20, 3
	v_pk_fma_f32 v[10:11], v[4:5], v[18:19], v[10:11] op_sel_hi:[0,1,1]
	global_store_dwordx2 v21, v[10:11], s[2:3]
	v_add_co_u32_e32 v10, vcc, v102, v20
	v_cvt_f32_f16_e32 v14, v1
	v_cvt_f32_f16_sdwa v15, v1 dst_sel:DWORD dst_unused:UNUSED_PAD src0_sel:WORD_1
	v_addc_co_u32_e64 v11, s[4:5], 0, 0, vcc
	v_cvt_f32_f16_e32 v16, v5
	v_cvt_f32_f16_sdwa v17, v5 dst_sel:DWORD dst_unused:UNUSED_PAD src0_sel:WORD_1
	v_lshlrev_b64 v[10:11], 3, v[10:11]
	v_cvt_f32_f16_e32 v6, v7
	v_cvt_f32_f16_sdwa v7, v7 dst_sel:DWORD dst_unused:UNUSED_PAD src0_sel:WORD_1
	v_mov_b32_e32 v3, s3
	v_add_co_u32_e32 v10, vcc, s2, v10
	v_cvt_f32_f16_e32 v8, v9
	v_cvt_f32_f16_sdwa v9, v9 dst_sel:DWORD dst_unused:UNUSED_PAD src0_sel:WORD_1
	v_addc_co_u32_e32 v11, vcc, v3, v11, vcc
	v_pk_fma_f32 v[2:3], v[2:3], v[14:15], 0 op_sel_hi:[0,1,0]
	v_pk_fma_f32 v[0:1], v[0:1], v[16:17], v[2:3] op_sel_hi:[0,1,1]
	;; [unrolled: 1-line block ×4, first 2 shown]
	global_store_dwordx2 v[10:11], v[0:1], off offset:512
.LBB29_273:
	s_or_b64 exec, exec, s[0:1]
	s_barrier
	s_endpgm
	.section	.rodata,"a",@progbits
	.p2align	6, 0x0
	.amdhsa_kernel _ZL18flash_attn_ext_f16ILi256ELi256ELi8ELi2ELb0ELb0EEvPKcS1_S1_S1_S1_PKiPfP15HIP_vector_typeIfLj2EEffffjfiS5_IjLj3EEiiiiiiiiiiiliiliiiiil
		.amdhsa_group_segment_fixed_size 0
		.amdhsa_private_segment_fixed_size 0
		.amdhsa_kernarg_size 464
		.amdhsa_user_sgpr_count 6
		.amdhsa_user_sgpr_private_segment_buffer 1
		.amdhsa_user_sgpr_dispatch_ptr 0
		.amdhsa_user_sgpr_queue_ptr 0
		.amdhsa_user_sgpr_kernarg_segment_ptr 1
		.amdhsa_user_sgpr_dispatch_id 0
		.amdhsa_user_sgpr_flat_scratch_init 0
		.amdhsa_user_sgpr_kernarg_preload_length 0
		.amdhsa_user_sgpr_kernarg_preload_offset 0
		.amdhsa_user_sgpr_private_segment_size 0
		.amdhsa_uses_dynamic_stack 0
		.amdhsa_system_sgpr_private_segment_wavefront_offset 0
		.amdhsa_system_sgpr_workgroup_id_x 1
		.amdhsa_system_sgpr_workgroup_id_y 0
		.amdhsa_system_sgpr_workgroup_id_z 0
		.amdhsa_system_sgpr_workgroup_info 0
		.amdhsa_system_vgpr_workitem_id 1
		.amdhsa_next_free_vgpr 330
		.amdhsa_next_free_sgpr 96
		.amdhsa_accum_offset 256
		.amdhsa_reserve_vcc 1
		.amdhsa_reserve_flat_scratch 0
		.amdhsa_float_round_mode_32 0
		.amdhsa_float_round_mode_16_64 0
		.amdhsa_float_denorm_mode_32 3
		.amdhsa_float_denorm_mode_16_64 3
		.amdhsa_dx10_clamp 1
		.amdhsa_ieee_mode 1
		.amdhsa_fp16_overflow 0
		.amdhsa_tg_split 0
		.amdhsa_exception_fp_ieee_invalid_op 0
		.amdhsa_exception_fp_denorm_src 0
		.amdhsa_exception_fp_ieee_div_zero 0
		.amdhsa_exception_fp_ieee_overflow 0
		.amdhsa_exception_fp_ieee_underflow 0
		.amdhsa_exception_fp_ieee_inexact 0
		.amdhsa_exception_int_div_zero 0
	.end_amdhsa_kernel
	.section	.text._ZL18flash_attn_ext_f16ILi256ELi256ELi8ELi2ELb0ELb0EEvPKcS1_S1_S1_S1_PKiPfP15HIP_vector_typeIfLj2EEffffjfiS5_IjLj3EEiiiiiiiiiiiliiliiiiil,"axG",@progbits,_ZL18flash_attn_ext_f16ILi256ELi256ELi8ELi2ELb0ELb0EEvPKcS1_S1_S1_S1_PKiPfP15HIP_vector_typeIfLj2EEffffjfiS5_IjLj3EEiiiiiiiiiiiliiliiiiil,comdat
.Lfunc_end29:
	.size	_ZL18flash_attn_ext_f16ILi256ELi256ELi8ELi2ELb0ELb0EEvPKcS1_S1_S1_S1_PKiPfP15HIP_vector_typeIfLj2EEffffjfiS5_IjLj3EEiiiiiiiiiiiliiliiiiil, .Lfunc_end29-_ZL18flash_attn_ext_f16ILi256ELi256ELi8ELi2ELb0ELb0EEvPKcS1_S1_S1_S1_PKiPfP15HIP_vector_typeIfLj2EEffffjfiS5_IjLj3EEiiiiiiiiiiiliiliiiiil
                                        ; -- End function
	.section	.AMDGPU.csdata,"",@progbits
; Kernel info:
; codeLenInByte = 69336
; NumSgprs: 100
; NumVgprs: 256
; NumAgprs: 74
; TotalNumVgprs: 330
; ScratchSize: 0
; MemoryBound: 0
; FloatMode: 240
; IeeeMode: 1
; LDSByteSize: 0 bytes/workgroup (compile time only)
; SGPRBlocks: 12
; VGPRBlocks: 41
; NumSGPRsForWavesPerEU: 100
; NumVGPRsForWavesPerEU: 330
; AccumOffset: 256
; Occupancy: 1
; WaveLimiterHint : 1
; COMPUTE_PGM_RSRC2:SCRATCH_EN: 0
; COMPUTE_PGM_RSRC2:USER_SGPR: 6
; COMPUTE_PGM_RSRC2:TRAP_HANDLER: 0
; COMPUTE_PGM_RSRC2:TGID_X_EN: 1
; COMPUTE_PGM_RSRC2:TGID_Y_EN: 0
; COMPUTE_PGM_RSRC2:TGID_Z_EN: 0
; COMPUTE_PGM_RSRC2:TIDIG_COMP_CNT: 1
; COMPUTE_PGM_RSRC3_GFX90A:ACCUM_OFFSET: 63
; COMPUTE_PGM_RSRC3_GFX90A:TG_SPLIT: 0
	.section	.text._ZL18flash_attn_ext_f16ILi256ELi256ELi8ELi2ELb1ELb0EEvPKcS1_S1_S1_S1_PKiPfP15HIP_vector_typeIfLj2EEffffjfiS5_IjLj3EEiiiiiiiiiiiliiliiiiil,"axG",@progbits,_ZL18flash_attn_ext_f16ILi256ELi256ELi8ELi2ELb1ELb0EEvPKcS1_S1_S1_S1_PKiPfP15HIP_vector_typeIfLj2EEffffjfiS5_IjLj3EEiiiiiiiiiiiliiliiiiil,comdat
	.globl	_ZL18flash_attn_ext_f16ILi256ELi256ELi8ELi2ELb1ELb0EEvPKcS1_S1_S1_S1_PKiPfP15HIP_vector_typeIfLj2EEffffjfiS5_IjLj3EEiiiiiiiiiiiliiliiiiil ; -- Begin function _ZL18flash_attn_ext_f16ILi256ELi256ELi8ELi2ELb1ELb0EEvPKcS1_S1_S1_S1_PKiPfP15HIP_vector_typeIfLj2EEffffjfiS5_IjLj3EEiiiiiiiiiiiliiliiiiil
	.p2align	8
	.type	_ZL18flash_attn_ext_f16ILi256ELi256ELi8ELi2ELb1ELb0EEvPKcS1_S1_S1_S1_PKiPfP15HIP_vector_typeIfLj2EEffffjfiS5_IjLj3EEiiiiiiiiiiiliiliiiiil,@function
_ZL18flash_attn_ext_f16ILi256ELi256ELi8ELi2ELb1ELb0EEvPKcS1_S1_S1_S1_PKiPfP15HIP_vector_typeIfLj2EEffffjfiS5_IjLj3EEiiiiiiiiiiiliiliiiiil: ; @_ZL18flash_attn_ext_f16ILi256ELi256ELi8ELi2ELb1ELb0EEvPKcS1_S1_S1_S1_PKiPfP15HIP_vector_typeIfLj2EEffffjfiS5_IjLj3EEiiiiiiiiiiiliiliiiiil
; %bb.0:
	s_load_dwordx2 s[2:3], s[4:5], 0x80
	s_load_dwordx4 s[28:31], s[4:5], 0x64
	s_mov_b32 s51, s6
                                        ; implicit-def: $vgpr255 : SGPR spill to VGPR lane
	s_load_dword s41, s[4:5], 0xd0
	s_mov_b32 s0, 0
	s_waitcnt lgkmcnt(0)
	s_abs_i32 s1, s3
	v_cvt_f32_u32_e32 v1, s1
	s_sub_i32 s8, 0, s1
	s_abs_i32 s7, s29
	s_xor_b32 s6, s29, s3
	v_rcp_iflag_f32_e32 v1, v1
	s_ashr_i32 s6, s6, 31
	v_cvt_f32_ubyte0_e32 v3, 0
	v_mul_f32_e32 v1, 0x4f7ffffe, v1
	v_cvt_u32_f32_e32 v1, v1
	v_readfirstlane_b32 s9, v1
	s_mul_i32 s8, s8, s9
	s_mul_hi_u32 s8, s9, s8
	s_add_i32 s9, s9, s8
	s_mul_hi_u32 s8, s7, s9
	s_mul_i32 s9, s8, s1
	s_sub_i32 s7, s7, s9
	s_add_i32 s10, s8, 1
	s_sub_i32 s9, s7, s1
	s_cmp_ge_u32 s7, s1
	s_cselect_b32 s8, s10, s8
	s_cselect_b32 s7, s9, s7
	s_add_i32 s9, s8, 1
	s_cmp_ge_u32 s7, s1
	s_cselect_b32 s1, s9, s8
	s_add_i32 s2, s2, 63
	s_xor_b32 s1, s1, s6
	s_ashr_i32 s7, s2, 31
	s_sub_i32 s33, s1, s6
	s_lshr_b32 s1, s7, 26
	s_add_i32 s2, s2, s1
	s_add_i32 s1, s28, 7
	s_lshr_b32 s6, s1, 3
	s_add_i32 s1, s33, 1
	s_ashr_i32 s82, s2, 6
	s_lshr_b32 s2, s1, 31
	s_add_i32 s1, s1, s2
	s_ashr_i32 s1, s1, 1
	v_writelane_b32 v255, s6, 0
	s_mul_i32 s2, s6, s82
	v_writelane_b32 v255, s2, 1
	s_mul_i32 s1, s2, s1
	;; [unrolled: 2-line block ×3, first 2 shown]
	s_mul_i32 s6, s1, s30
	s_ashr_i32 s7, s6, 31
	v_cvt_f32_u32_e32 v1, s41
	v_writelane_b32 v255, s1, 3
	s_mul_i32 s1, s7, s51
	s_mul_hi_u32 s2, s6, s51
	s_add_i32 s1, s2, s1
	s_mul_i32 s8, s6, s51
	s_cmp_lg_u64 s[0:1], 0
	s_cbranch_scc0 .LBB30_2
; %bb.1:
	v_madmk_f32 v2, v3, 0x4f800000, v1
	v_rcp_f32_e32 v2, v2
	s_sub_u32 s0, 0, s41
	s_subb_u32 s9, 0, 0
	s_mov_b64 s[2:3], 0
	v_mul_f32_e32 v2, 0x5f7ffffc, v2
	v_mul_f32_e32 v4, 0x2f800000, v2
	v_trunc_f32_e32 v4, v4
	v_madmk_f32 v2, v4, 0xcf800000, v2
	v_cvt_u32_f32_e32 v4, v4
	v_cvt_u32_f32_e32 v2, v2
	v_readfirstlane_b32 s10, v4
	v_readfirstlane_b32 s11, v2
	s_mul_hi_u32 s13, s0, s11
	s_mul_i32 s14, s0, s10
	s_mul_i32 s12, s9, s11
	s_add_i32 s13, s13, s14
	s_add_i32 s13, s13, s12
	s_mul_i32 s15, s0, s11
	s_mul_hi_u32 s12, s11, s13
	s_mul_i32 s14, s11, s13
	s_mul_hi_u32 s11, s11, s15
	s_add_u32 s11, s11, s14
	s_addc_u32 s12, 0, s12
	s_mul_hi_u32 s16, s10, s15
	s_mul_i32 s15, s10, s15
	s_add_u32 s11, s11, s15
	s_mul_hi_u32 s14, s10, s13
	s_addc_u32 s11, s12, s16
	s_addc_u32 s12, s14, 0
	s_mul_i32 s13, s10, s13
	s_add_u32 s11, s11, s13
	s_addc_u32 s12, 0, s12
	v_add_co_u32_e32 v2, vcc, s11, v2
	s_cmp_lg_u64 vcc, 0
	s_addc_u32 s10, s10, s12
	v_readfirstlane_b32 s12, v2
	s_mul_i32 s11, s0, s10
	s_mul_hi_u32 s13, s0, s12
	s_add_i32 s11, s13, s11
	s_mul_i32 s9, s9, s12
	s_add_i32 s11, s11, s9
	s_mul_i32 s0, s0, s12
	s_mul_hi_u32 s13, s10, s0
	s_mul_i32 s14, s10, s0
	s_mul_i32 s16, s12, s11
	s_mul_hi_u32 s0, s12, s0
	s_mul_hi_u32 s15, s12, s11
	s_add_u32 s0, s0, s16
	s_addc_u32 s12, 0, s15
	s_add_u32 s0, s0, s14
	s_mul_hi_u32 s9, s10, s11
	s_addc_u32 s0, s12, s13
	s_addc_u32 s9, s9, 0
	s_mul_i32 s11, s10, s11
	s_add_u32 s0, s0, s11
	s_addc_u32 s9, 0, s9
	v_add_co_u32_e32 v2, vcc, s0, v2
	s_cmp_lg_u64 vcc, 0
	s_addc_u32 s9, s10, s9
	s_ashr_i32 s10, s1, 31
	s_add_u32 s0, s8, s10
	s_mov_b32 s11, s10
	s_addc_u32 s1, s1, s10
	s_xor_b64 s[0:1], s[0:1], s[10:11]
	v_readfirstlane_b32 s14, v2
	s_mul_i32 s13, s0, s9
	s_mul_hi_u32 s15, s0, s14
	s_mul_hi_u32 s12, s0, s9
	s_add_u32 s13, s15, s13
	s_addc_u32 s12, 0, s12
	s_mul_hi_u32 s16, s1, s14
	s_mul_i32 s14, s1, s14
	s_add_u32 s13, s13, s14
	s_mul_hi_u32 s15, s1, s9
	s_addc_u32 s12, s12, s16
	s_addc_u32 s13, s15, 0
	s_mul_i32 s9, s1, s9
	s_add_u32 s9, s12, s9
	s_addc_u32 s12, 0, s13
	s_add_u32 s13, s9, 1
	s_addc_u32 s14, s12, 0
	s_add_u32 s15, s9, 2
	s_mul_i32 s17, s41, s12
	s_mul_hi_u32 s18, s41, s9
	s_addc_u32 s16, s12, 0
	s_add_i32 s18, s18, s17
	s_mul_i32 s17, s41, s9
	v_mov_b32_e32 v2, s17
	v_sub_co_u32_e32 v2, vcc, s0, v2
	s_cmp_lg_u64 vcc, 0
	s_subb_u32 s0, s1, s18
	v_subrev_co_u32_e32 v4, vcc, s41, v2
	s_cmp_lg_u64 vcc, 0
	s_subb_u32 s1, s0, 0
	v_readfirstlane_b32 s17, v4
	s_cmp_ge_u32 s17, s41
	s_cselect_b32 s17, -1, 0
	s_cmp_eq_u32 s1, 0
	s_cselect_b32 s1, s17, -1
	s_cmp_lg_u32 s1, 0
	s_cselect_b32 s1, s16, s14
	v_readfirstlane_b32 s14, v2
	s_cselect_b32 s13, s15, s13
	s_cmp_ge_u32 s14, s41
	s_cselect_b32 s14, -1, 0
	s_cmp_eq_u32 s0, 0
	s_cselect_b32 s0, s14, -1
	s_cmp_lg_u32 s0, 0
	s_cselect_b32 s1, s1, s12
	s_cselect_b32 s0, s13, s9
	s_xor_b64 s[0:1], s[0:1], s[10:11]
	s_sub_u32 s54, s0, s10
	s_branch .LBB30_3
.LBB30_2:
	s_mov_b64 s[2:3], -1
                                        ; implicit-def: $sgpr54_sgpr55
.LBB30_3:
	s_load_dwordx2 s[0:1], s[4:5], 0x74
	v_cvt_f32_u32_e32 v2, s41
	s_andn2_b64 vcc, exec, s[2:3]
	s_waitcnt lgkmcnt(0)
	v_writelane_b32 v255, s0, 4
	v_writelane_b32 v255, s1, 5
	s_cbranch_vccnz .LBB30_5
; %bb.4:
	v_rcp_iflag_f32_e32 v4, v2
	s_sub_i32 s0, 0, s41
	v_mul_f32_e32 v4, 0x4f7ffffe, v4
	v_cvt_u32_f32_e32 v4, v4
	v_readfirstlane_b32 s1, v4
	s_mul_i32 s0, s0, s1
	s_mul_hi_u32 s0, s1, s0
	s_add_i32 s1, s1, s0
	s_mul_hi_u32 s0, s8, s1
	s_mul_i32 s2, s0, s41
	s_sub_i32 s2, s8, s2
	s_add_i32 s1, s0, 1
	s_sub_i32 s3, s2, s41
	s_cmp_ge_u32 s2, s41
	s_cselect_b32 s0, s1, s0
	s_cselect_b32 s2, s3, s2
	s_add_i32 s1, s0, 1
	s_cmp_ge_u32 s2, s41
	s_cselect_b32 s54, s1, s0
.LBB30_5:
	s_add_i32 s0, s51, 1
	s_mul_i32 s1, s7, s0
	s_mul_hi_u32 s2, s6, s0
	s_add_i32 s3, s2, s1
	s_mov_b32 s2, 0
	s_cmp_lg_u64 s[2:3], 0
	s_mul_i32 s2, s6, s0
	s_cbranch_scc0 .LBB30_324
; %bb.6:
	v_madmk_f32 v1, v3, 0x4f800000, v1
	v_rcp_f32_e32 v1, v1
	s_sub_u32 s6, 0, s41
	s_subb_u32 s7, 0, 0
	v_mul_f32_e32 v1, 0x5f7ffffc, v1
	v_mul_f32_e32 v3, 0x2f800000, v1
	v_trunc_f32_e32 v3, v3
	v_madmk_f32 v1, v3, 0xcf800000, v1
	v_cvt_u32_f32_e32 v3, v3
	v_cvt_u32_f32_e32 v1, v1
	v_readfirstlane_b32 s8, v3
	v_readfirstlane_b32 s9, v1
	s_mul_hi_u32 s11, s6, s9
	s_mul_i32 s12, s6, s8
	s_mul_i32 s10, s7, s9
	s_add_i32 s11, s11, s12
	s_add_i32 s11, s11, s10
	s_mul_i32 s13, s6, s9
	s_mul_hi_u32 s10, s9, s11
	s_mul_i32 s12, s9, s11
	s_mul_hi_u32 s9, s9, s13
	s_add_u32 s9, s9, s12
	s_addc_u32 s10, 0, s10
	s_mul_hi_u32 s14, s8, s13
	s_mul_i32 s13, s8, s13
	s_add_u32 s9, s9, s13
	s_mul_hi_u32 s12, s8, s11
	s_addc_u32 s9, s10, s14
	s_addc_u32 s10, s12, 0
	s_mul_i32 s11, s8, s11
	s_add_u32 s9, s9, s11
	s_addc_u32 s10, 0, s10
	v_add_co_u32_e32 v1, vcc, s9, v1
	s_cmp_lg_u64 vcc, 0
	s_addc_u32 s8, s8, s10
	v_readfirstlane_b32 s10, v1
	s_mul_i32 s9, s6, s8
	s_mul_hi_u32 s11, s6, s10
	s_add_i32 s9, s11, s9
	s_mul_i32 s7, s7, s10
	s_add_i32 s9, s9, s7
	s_mul_i32 s6, s6, s10
	s_mul_hi_u32 s11, s8, s6
	s_mul_i32 s12, s8, s6
	s_mul_i32 s14, s10, s9
	s_mul_hi_u32 s6, s10, s6
	s_mul_hi_u32 s13, s10, s9
	s_add_u32 s6, s6, s14
	s_addc_u32 s10, 0, s13
	s_add_u32 s6, s6, s12
	s_mul_hi_u32 s7, s8, s9
	s_addc_u32 s6, s10, s11
	s_addc_u32 s7, s7, 0
	s_mul_i32 s9, s8, s9
	s_add_u32 s6, s6, s9
	s_addc_u32 s7, 0, s7
	v_add_co_u32_e32 v1, vcc, s6, v1
	s_cmp_lg_u64 vcc, 0
	s_addc_u32 s10, s8, s7
	s_ashr_i32 s6, s3, 31
	s_add_u32 s8, s2, s6
	s_mov_b32 s7, s6
	s_addc_u32 s9, s3, s6
	s_xor_b64 s[8:9], s[8:9], s[6:7]
	v_readfirstlane_b32 s12, v1
	s_mul_i32 s11, s8, s10
	s_mul_hi_u32 s13, s8, s12
	s_mul_hi_u32 s3, s8, s10
	s_add_u32 s11, s13, s11
	s_addc_u32 s3, 0, s3
	s_mul_hi_u32 s14, s9, s12
	s_mul_i32 s12, s9, s12
	s_add_u32 s11, s11, s12
	s_mul_hi_u32 s13, s9, s10
	s_addc_u32 s3, s3, s14
	s_addc_u32 s11, s13, 0
	s_mul_i32 s10, s9, s10
	s_add_u32 s3, s3, s10
	s_addc_u32 s10, 0, s11
	s_add_u32 s11, s3, 1
	s_addc_u32 s12, s10, 0
	s_add_u32 s13, s3, 2
	s_mul_i32 s15, s41, s10
	s_mul_hi_u32 s16, s41, s3
	s_addc_u32 s14, s10, 0
	s_add_i32 s16, s16, s15
	s_mul_i32 s15, s41, s3
	v_mov_b32_e32 v1, s15
	v_sub_co_u32_e32 v1, vcc, s8, v1
	s_cmp_lg_u64 vcc, 0
	s_subb_u32 s8, s9, s16
	v_subrev_co_u32_e32 v3, vcc, s41, v1
	s_cmp_lg_u64 vcc, 0
	s_subb_u32 s9, s8, 0
	v_readfirstlane_b32 s15, v3
	s_cmp_ge_u32 s15, s41
	s_cselect_b32 s15, -1, 0
	s_cmp_eq_u32 s9, 0
	s_cselect_b32 s9, s15, -1
	s_cmp_lg_u32 s9, 0
	s_cselect_b32 s9, s14, s12
	v_readfirstlane_b32 s12, v1
	s_cselect_b32 s11, s13, s11
	s_cmp_ge_u32 s12, s41
	s_cselect_b32 s12, -1, 0
	s_cmp_eq_u32 s8, 0
	s_cselect_b32 s8, s12, -1
	s_cmp_lg_u32 s8, 0
	s_cselect_b32 s9, s9, s10
	s_cselect_b32 s8, s11, s3
	s_xor_b64 s[8:9], s[8:9], s[6:7]
	s_sub_u32 s58, s8, s6
	s_load_dwordx2 s[44:45], s[4:5], 0x5c
	s_cbranch_execnz .LBB30_8
.LBB30_7:
	v_rcp_iflag_f32_e32 v1, v2
	s_sub_i32 s0, 0, s41
	v_mul_f32_e32 v1, 0x4f7ffffe, v1
	v_cvt_u32_f32_e32 v1, v1
	v_readfirstlane_b32 s1, v1
	s_mul_i32 s0, s0, s1
	s_mul_hi_u32 s0, s1, s0
	s_add_i32 s1, s1, s0
	s_mul_hi_u32 s0, s2, s1
	s_mul_i32 s3, s0, s41
	s_sub_i32 s2, s2, s3
	s_add_i32 s1, s0, 1
	s_sub_i32 s3, s2, s41
	s_cmp_ge_u32 s2, s41
	s_cselect_b32 s0, s1, s0
	s_cselect_b32 s2, s3, s2
	s_add_i32 s1, s0, 1
	s_cmp_ge_u32 s2, s41
	s_cselect_b32 s58, s1, s0
.LBB30_8:
	s_abs_i32 s83, s82
	v_cvt_f32_u32_e32 v1, s83
	v_readlane_b32 s2, v255, 4
	s_ashr_i32 s53, s2, 3
	s_sub_i32 s2, 0, s83
	v_rcp_iflag_f32_e32 v1, v1
	s_load_dwordx16 s[12:27], s[4:5], 0x0
	s_load_dword s6, s[4:5], 0x40
	s_load_dword s34, s[4:5], 0x54
	s_load_dwordx2 s[0:1], s[4:5], 0x8c
	s_load_dwordx4 s[36:39], s[4:5], 0x98
	s_load_dwordx2 s[46:47], s[4:5], 0xa8
	s_load_dwordx2 s[10:11], s[4:5], 0xb8
	s_load_dwordx2 s[48:49], s[4:5], 0xc8
	v_readlane_b32 s3, v255, 5
	s_waitcnt lgkmcnt(0)
	v_writelane_b32 v255, s0, 6
	v_mul_f32_e32 v1, 0x4f7ffffe, v1
	v_cvt_u32_f32_e32 v1, v1
	v_writelane_b32 v255, s1, 7
	s_abs_i32 s1, s54
	s_ashr_i32 s55, s31, 3
	v_readfirstlane_b32 s50, v1
	s_mul_i32 s2, s2, s50
	s_mul_hi_u32 s2, s50, s2
	s_add_i32 s50, s50, s2
	s_mul_hi_u32 s2, s1, s50
	s_mul_i32 s2, s2, s83
	s_sub_i32 s1, s1, s2
	s_ashr_i32 s40, s0, 2
	s_ashr_i32 s42, s11, 1
	s_ashr_i32 s30, s38, 2
	s_ashr_i32 s0, s54, 31
	s_ashr_i32 s38, s82, 31
	s_sub_i32 s2, s1, s83
	s_cmp_ge_u32 s1, s83
	s_cselect_b32 s1, s2, s1
	s_sub_i32 s2, s1, s83
	s_cmp_ge_u32 s1, s83
	s_cselect_b32 s1, s2, s1
	s_xor_b32 s1, s1, s0
	s_sub_i32 s74, s1, s0
	s_sub_i32 s0, s58, s54
	s_add_i32 s2, s0, s74
	s_min_i32 s62, s82, s2
	s_cmp_gt_i32 s58, s54
	s_cselect_b64 s[8:9], -1, 0
	s_cmp_le_i32 s58, s54
	v_cvt_f16_f32_e32 v1, s6
	s_cselect_b64 s[0:1], -1, 0
	s_cmp_gt_i32 s82, s2
	s_cselect_b64 s[2:3], -1, 0
	s_or_b64 s[0:1], s[2:3], s[0:1]
	v_bfe_u32 v105, v0, 10, 10
	s_mov_b32 s61, 0
	s_and_b64 vcc, exec, s[0:1]
	v_pack_b32_f16 v111, v1, v1
	v_lshlrev_b32_e32 v216, 2, v105
	v_and_b32_e32 v217, 3, v105
	v_and_b32_e32 v114, 1, v105
	v_lshrrev_b32_e32 v117, 1, v105
	v_add_u32_e32 v116, 4, v105
	v_add_u32_e32 v78, 8, v105
	;; [unrolled: 1-line block ×3, first 2 shown]
	s_cbranch_vccz .LBB30_11
; %bb.9:
	s_andn2_b64 vcc, exec, s[8:9]
	s_cbranch_vccz .LBB30_304
.LBB30_10:
	s_endpgm
.LBB30_11:
	s_cmp_eq_u64 s[20:21], 0
	v_writelane_b32 v255, s41, 8
	s_cselect_b64 s[0:1], -1, 0
	v_writelane_b32 v255, s0, 9
	s_cmp_lg_u64 s[22:23], 0
	v_writelane_b32 v255, s1, 10
	s_cselect_b64 s[0:1], -1, 0
	v_and_b32_e32 v38, 0x3ff, v0
	v_writelane_b32 v255, s0, 11
	v_lshrrev_b32_e32 v4, 3, v38
	v_writelane_b32 v255, s1, 12
	v_and_b32_e32 v1, 0x3f0, v216
	s_movk_i32 s1, 0x210
	v_and_b32_e32 v3, 15, v38
	v_and_b32_e32 v6, 30, v4
	v_mad_u32_u24 v2, v1, s1, 0
	v_mul_u32_u24_e32 v5, 0x210, v3
	v_lshlrev_b32_e32 v7, 2, v6
	v_add3_u32 v118, v2, v5, v7
	v_lshrrev_b32_e32 v2, 5, v38
	v_lshl_add_u32 v119, v105, 1, v2
	v_lshlrev_b32_e32 v2, 2, v38
	v_and_b32_e32 v4, 0x7c, v2
	v_lshlrev_b32_e32 v36, 4, v105
	s_movk_i32 s2, 0x90
	v_and_b32_e32 v8, 48, v36
	v_mad_u32_u24 v20, v119, s2, 0
	v_mul_u32_u24_e32 v9, 0x180, v119
	v_lshlrev_b32_e32 v10, 2, v4
	v_add3_u32 v120, v20, v9, v10
	v_mad_u32_u24 v9, v8, s1, 0
	v_add3_u32 v121, v9, v5, v7
	v_lshrrev_b32_e32 v5, 2, v38
	v_and_b32_e32 v7, 60, v5
	v_and_or_b32 v1, v38, 14, v1
	v_add_u16_e32 v8, v8, v7
	v_lshrrev_b32_e32 v1, 1, v1
	v_lshrrev_b16_e32 v8, 1, v8
	v_mul_u32_u24_e32 v1, 0x90, v1
	v_lshlrev_b32_e32 v8, 2, v8
	v_add3_u32 v122, 0, v1, v8
	v_mul_u32_u24_e32 v1, 0x108, v7
	v_or_b32_e32 v1, v1, v3
	v_or_b32_e32 v5, 3, v5
	v_mul_u32_u24_e32 v7, 0x210, v7
	v_mul_u32_u24_e32 v5, 0x210, v5
	v_lshl_add_u32 v123, v1, 1, v9
	v_lshlrev_b32_e32 v1, 1, v3
	s_lshl_b32 s60, s51, 4
	s_ashr_i32 s43, s42, 31
	s_ashr_i32 s41, s40, 31
	s_lshl_b32 s0, s40, 3
	s_ashr_i32 s31, s30, 31
	s_lshl_b32 s1, s30, 3
	v_add3_u32 v124, v9, v7, v1
	v_add3_u32 v125, v9, v5, v1
	s_lshl_b64 s[4:5], s[60:61], 3
	v_or_b32_e32 v1, v216, v38
	s_add_u32 s3, s26, s4
	v_lshlrev_b32_e32 v1, 3, v1
	s_addc_u32 s4, s27, s5
	v_add_co_u32_e32 v40, vcc, s3, v1
	v_lshrrev_b32_e32 v1, 2, v105
	v_mov_b32_e32 v5, s4
	s_movk_i32 s6, 0x84
	v_or_b32_e32 v3, v36, v3
	v_add_u32_e32 v37, 1, v1
	s_movk_i32 s2, 0x1c0
	v_addc_co_u32_e32 v41, vcc, 0, v5, vcc
	v_mad_u32_u24 v5, v3, s6, v6
	v_lshlrev_b32_e32 v3, 2, v37
	v_and_b32_e32 v6, 15, v37
	v_add_u32_e32 v43, 2, v1
	v_and_or_b32 v39, v3, s2, v6
	v_lshlrev_b32_e32 v3, 2, v43
	v_and_b32_e32 v6, 15, v43
	v_add_u32_e32 v45, 3, v1
	v_and_or_b32 v44, v3, s2, v6
	;; [unrolled: 4-line block ×14, first 2 shown]
	v_lshlrev_b32_e32 v6, 2, v1
	v_and_b32_e32 v8, 15, v1
	v_and_or_b32 v69, v6, s2, v8
	s_mov_b32 s2, s10
	s_abs_i32 s87, s10
	s_movk_i32 s10, 0xc0
	v_mad_u32_u24 v71, v105, s6, v38
	v_lshl_add_u32 v132, v5, 2, 0
	v_bfe_u32 v5, v105, 2, 4
	v_lshl_add_u32 v129, v71, 2, 0
	v_or_b32_e32 v71, v36, v38
	v_add_u32_e32 v36, v36, v38
	v_and_or_b32 v5, v105, s10, v5
	v_mul_u32_u24_e32 v131, 0x210, v36
	v_mad_u32_u24 v36, v5, s6, v38
	v_lshl_add_u32 v133, v36, 2, 0
	v_add_u32_e32 v36, 64, v38
	v_mul_u32_u24_e32 v134, 0x210, v5
	v_mad_u32_u24 v5, v5, s6, v36
	v_lshl_add_u32 v135, v5, 2, 0
	v_mad_u32_u24 v5, v39, s6, v38
	v_lshl_add_u32 v138, v5, 2, 0
	v_mul_u32_u24_e32 v5, 0x210, v39
	v_accvgpr_write_b32 a8, v5
	v_mad_u32_u24 v5, v39, s6, v36
	v_lshl_add_u32 v115, v5, 2, 0
	v_lshrrev_b32_e32 v5, 1, v43
	v_accvgpr_write_b32 a9, v5
	v_mad_u32_u24 v5, v44, s6, v38
	v_lshl_add_u32 v5, v5, 2, 0
	v_accvgpr_write_b32 a10, v5
	v_mul_u32_u24_e32 v5, 0x210, v44
	v_accvgpr_write_b32 a11, v5
	v_mad_u32_u24 v5, v44, s6, v36
	v_lshl_add_u32 v5, v5, 2, 0
	v_accvgpr_write_b32 a12, v5
	v_lshrrev_b32_e32 v5, 1, v45
	v_accvgpr_write_b32 a13, v5
	v_and_b32_e32 v5, 1, v45
	v_accvgpr_write_b32 a14, v5
	v_mad_u32_u24 v5, v46, s6, v38
	v_lshl_add_u32 v5, v5, 2, 0
	v_accvgpr_write_b32 a15, v5
	v_mul_u32_u24_e32 v5, 0x210, v46
	v_accvgpr_write_b32 a16, v5
	v_mad_u32_u24 v5, v46, s6, v36
	v_lshl_add_u32 v5, v5, 2, 0
	v_accvgpr_write_b32 a17, v5
	v_lshrrev_b32_e32 v5, 1, v47
	v_accvgpr_write_b32 a18, v5
	v_mad_u32_u24 v5, v48, s6, v38
	v_lshl_add_u32 v5, v5, 2, 0
	v_accvgpr_write_b32 a19, v5
	v_mul_u32_u24_e32 v5, 0x210, v48
	v_accvgpr_write_b32 a20, v5
	v_mad_u32_u24 v5, v48, s6, v36
	v_lshl_add_u32 v5, v5, 2, 0
	v_accvgpr_write_b32 a21, v5
	v_lshrrev_b32_e32 v5, 1, v49
	v_accvgpr_write_b32 a22, v5
	v_and_b32_e32 v5, 1, v49
	v_accvgpr_write_b32 a23, v5
	v_mad_u32_u24 v5, v50, s6, v38
	v_lshl_add_u32 v5, v5, 2, 0
	v_accvgpr_write_b32 a24, v5
	v_mul_u32_u24_e32 v5, 0x210, v50
	v_accvgpr_write_b32 a25, v5
	v_mad_u32_u24 v5, v50, s6, v36
	v_lshl_add_u32 v5, v5, 2, 0
	v_accvgpr_write_b32 a26, v5
	;; [unrolled: 22-line block ×5, first 2 shown]
	v_lshrrev_b32_e32 v5, 1, v63
	v_accvgpr_write_b32 a54, v5
	v_mad_u32_u24 v5, v64, s6, v38
	v_lshl_add_u32 v5, v5, 2, 0
	v_accvgpr_write_b32 a55, v5
	v_mul_u32_u24_e32 v5, 0x210, v64
	v_accvgpr_write_b32 a56, v5
	v_mad_u32_u24 v5, v64, s6, v36
	v_lshl_add_u32 v5, v5, 2, 0
	v_accvgpr_write_b32 a57, v5
	v_lshrrev_b32_e32 v5, 1, v65
	v_accvgpr_write_b32 a58, v5
	v_and_b32_e32 v5, 1, v65
	v_accvgpr_write_b32 a59, v5
	v_mad_u32_u24 v5, v66, s6, v38
	v_writelane_b32 v255, s51, 13
	v_lshl_add_u32 v5, v5, 2, 0
	v_readlane_b32 s51, v255, 2
	v_accvgpr_write_b32 a60, v5
	v_mul_u32_u24_e32 v5, 0x210, v66
	s_abs_i32 s85, s51
	v_accvgpr_write_b32 a61, v5
	v_mad_u32_u24 v5, v66, s6, v36
	v_cvt_f32_u32_e32 v7, s85
	v_cvt_f32_u32_e32 v8, s87
	v_lshl_add_u32 v5, v5, 2, 0
	v_accvgpr_write_b32 a62, v5
	v_lshrrev_b32_e32 v5, 1, v67
	v_accvgpr_write_b32 a63, v5
	v_mad_u32_u24 v5, v68, s6, v38
	v_lshl_add_u32 v5, v5, 2, 0
	v_rcp_iflag_f32_e32 v6, v7
	v_rcp_iflag_f32_e32 v8, v8
	v_accvgpr_write_b32 a64, v5
	v_mul_u32_u24_e32 v5, 0x210, v68
	v_lshlrev_b32_e32 v21, 1, v38
	v_accvgpr_write_b32 a65, v5
	v_mad_u32_u24 v5, v68, s6, v36
	v_and_b32_e32 v42, 62, v21
	v_lshl_add_u32 v5, v5, 2, 0
	v_lshl_add_u32 v128, v42, 1, v20
	v_mul_lo_u32 v20, s30, v119
	v_accvgpr_write_b32 a66, v5
	v_lshrrev_b32_e32 v5, 1, v1
	v_and_b32_e32 v1, 1, v1
	v_mul_f32_e32 v6, 0x4f7ffffe, v6
	v_mul_f32_e32 v8, 0x4f7ffffe, v8
	v_mov_b32_e32 v70, s19
	v_ashrrev_i32_e32 v21, 31, v20
	v_accvgpr_write_b32 a68, v1
	v_mad_u32_u24 v1, v69, s6, v36
	v_add_co_u32_e32 v144, vcc, s18, v4
	v_readlane_b32 s52, v255, 3
	v_cvt_u32_f32_e32 v6, v6
	v_cvt_u32_f32_e32 v8, v8
	v_add_u32_e32 v22, s1, v20
	v_lshl_add_u32 v1, v1, 2, 0
	v_addc_co_u32_e32 v142, vcc, 0, v70, vcc
	v_lshlrev_b64 v[44:45], 2, v[20:21]
	s_abs_i32 s84, s52
	v_ashrrev_i32_e32 v23, 31, v22
	v_accvgpr_write_b32 a71, v1
	v_mov_b32_e32 v1, s17
	v_add_co_u32_e32 v107, vcc, s16, v44
	v_cvt_f32_u32_e32 v3, s84
	v_readlane_b32 s11, v255, 1
	v_writelane_b32 v255, s2, 14
	v_add_u32_e32 v24, s1, v22
	v_addc_co_u32_e32 v113, vcc, v1, v45, vcc
	v_lshlrev_b64 v[46:47], 2, v[22:23]
	s_abs_i32 s86, s11
	v_writelane_b32 v255, s3, 15
	s_sub_i32 s2, 0, s87
	v_ashrrev_i32_e32 v25, 31, v24
	v_add_co_u32_e32 v208, vcc, s16, v46
	v_cvt_f32_u32_e32 v7, s86
	v_readfirstlane_b32 s9, v6
	v_mul_lo_u32 v6, s2, v8
	v_add_u32_e32 v26, s1, v24
	v_addc_co_u32_e32 v209, vcc, v1, v47, vcc
	v_lshlrev_b64 v[48:49], 2, v[24:25]
	v_mul_lo_u32 v2, s40, v119
	v_mul_hi_u32 v6, v8, v6
	v_ashrrev_i32_e32 v27, 31, v26
	v_add_co_u32_e32 v210, vcc, s16, v48
	v_rcp_iflag_f32_e32 v3, v3
	v_add_u32_e32 v126, v8, v6
	v_add_u32_e32 v6, s0, v2
	;; [unrolled: 1-line block ×3, first 2 shown]
	v_addc_co_u32_e32 v211, vcc, v1, v49, vcc
	v_lshlrev_b64 v[50:51], 2, v[26:27]
	v_add_u32_e32 v8, s0, v6
	v_ashrrev_i32_e32 v29, 31, v28
	v_add_co_u32_e32 v212, vcc, s16, v50
	v_rcp_iflag_f32_e32 v7, v7
	v_add_u32_e32 v10, s0, v8
	v_add_u32_e32 v30, s1, v28
	v_addc_co_u32_e32 v213, vcc, v1, v51, vcc
	v_lshlrev_b64 v[52:53], 2, v[28:29]
	v_add_u32_e32 v12, s0, v10
	v_ashrrev_i32_e32 v31, 31, v30
	v_add_co_u32_e32 v214, vcc, s16, v52
	v_mul_f32_e32 v3, 0x4f7ffffe, v3
	v_add_u32_e32 v14, s0, v12
	v_add_u32_e32 v32, s1, v30
	v_addc_co_u32_e32 v215, vcc, v1, v53, vcc
	v_lshlrev_b64 v[54:55], 2, v[30:31]
	v_accvgpr_write_b32 a4, v216
	v_cvt_u32_f32_e32 v3, v3
	v_add_u32_e32 v16, s0, v14
	v_ashrrev_i32_e32 v33, 31, v32
	v_add_co_u32_e32 v216, vcc, s16, v54
	v_mul_f32_e32 v7, 0x4f7ffffe, v7
	v_add_u32_e32 v18, s0, v16
	v_add_u32_e32 v34, s1, v32
	v_cmp_eq_u32_e64 s[0:1], 0, v217
	v_accvgpr_write_b32 a5, v217
	v_cmp_ne_u32_e64 s[2:3], 0, v217
	v_addc_co_u32_e32 v217, vcc, v1, v55, vcc
	v_lshlrev_b64 v[56:57], 2, v[32:33]
	v_cvt_u32_f32_e32 v7, v7
	v_ashrrev_i32_e32 v35, 31, v34
	v_add_co_u32_e32 v218, vcc, s16, v56
	v_addc_co_u32_e32 v219, vcc, v1, v57, vcc
	v_lshlrev_b64 v[58:59], 2, v[34:35]
	v_readfirstlane_b32 s7, v3
	v_ashrrev_i32_e32 v3, 31, v2
	v_accvgpr_write_b32 a67, v5
	v_mul_u32_u24_e32 v5, 0x210, v69
	v_add_co_u32_e32 v220, vcc, s16, v58
	v_accvgpr_write_b32 a69, v5
	v_mad_u32_u24 v5, v69, s6, v38
	s_ashr_i32 s6, s52, 31
	v_addc_co_u32_e32 v221, vcc, v1, v59, vcc
	v_lshlrev_b64 v[60:61], 2, v[2:3]
	v_readfirstlane_b32 s8, v7
	v_ashrrev_i32_e32 v7, 31, v6
	v_writelane_b32 v255, s6, 16
	s_sub_i32 s6, 0, s84
	v_mov_b32_e32 v1, s15
	v_add_co_u32_e32 v222, vcc, s14, v60
	s_mul_i32 s6, s6, s7
	v_addc_co_u32_e32 v223, vcc, v1, v61, vcc
	v_lshlrev_b64 v[62:63], 2, v[6:7]
	v_ashrrev_i32_e32 v9, 31, v8
	s_mul_hi_u32 s6, s7, s6
	v_add_co_u32_e32 v224, vcc, s14, v62
	s_add_i32 s6, s7, s6
	v_addc_co_u32_e32 v225, vcc, v1, v63, vcc
	v_lshlrev_b64 v[64:65], 2, v[8:9]
	v_ashrrev_i32_e32 v11, 31, v10
	v_writelane_b32 v255, s6, 17
	s_ashr_i32 s6, s51, 31
	v_add_co_u32_e32 v226, vcc, s14, v64
	v_writelane_b32 v255, s6, 18
	s_sub_i32 s6, 0, s85
	v_addc_co_u32_e32 v227, vcc, v1, v65, vcc
	v_lshlrev_b64 v[66:67], 2, v[10:11]
	v_ashrrev_i32_e32 v13, 31, v12
	s_mul_i32 s6, s6, s9
	v_add_co_u32_e32 v228, vcc, s14, v66
	s_mul_hi_u32 s6, s9, s6
	v_addc_co_u32_e32 v229, vcc, v1, v67, vcc
	v_lshlrev_b64 v[68:69], 2, v[12:13]
	v_ashrrev_i32_e32 v15, 31, v14
	s_add_i32 s6, s9, s6
	v_add_co_u32_e32 v230, vcc, s14, v68
	v_mul_u32_u24_e32 v130, 0x210, v71
	v_writelane_b32 v255, s6, 19
	s_ashr_i32 s6, s11, 31
	v_addc_co_u32_e32 v231, vcc, v1, v69, vcc
	v_lshlrev_b64 v[70:71], 2, v[14:15]
	v_ashrrev_i32_e32 v17, 31, v16
	v_writelane_b32 v255, s6, 20
	s_sub_i32 s6, 0, s86
	v_add_co_u32_e32 v232, vcc, s14, v70
	s_mul_i32 s6, s6, s8
	v_addc_co_u32_e32 v233, vcc, v1, v71, vcc
	v_lshlrev_b64 v[72:73], 2, v[16:17]
	v_ashrrev_i32_e32 v19, 31, v18
	s_mul_hi_u32 s6, s8, s6
	v_add_co_u32_e32 v234, vcc, s14, v72
	s_add_i32 s6, s8, s6
	v_addc_co_u32_e32 v235, vcc, v1, v73, vcc
	v_lshlrev_b64 v[74:75], 2, v[18:19]
	v_writelane_b32 v255, s6, 21
	s_lshl_b64 s[6:7], s[42:43], 1
	v_add_co_u32_e32 v236, vcc, s14, v74
	v_writelane_b32 v255, s6, 22
	v_addc_co_u32_e32 v237, vcc, v1, v75, vcc
	v_mbcnt_lo_u32_b32 v1, -1, 0
	v_lshl_add_u32 v5, v5, 2, 0
	v_writelane_b32 v255, s7, 23
	v_mbcnt_hi_u32_b32 v238, -1, v1
	v_and_b32_e32 v1, 31, v38
	v_lshlrev_b32_e32 v127, 2, v4
	s_movk_i32 s88, 0x80
	v_cmp_gt_u32_e64 s[4:5], 16, v38
	v_lshrrev_b32_e32 v136, 1, v37
	v_and_b32_e32 v137, 1, v37
	v_accvgpr_write_b32 a70, v5
	s_mov_b32 s35, s34
	s_lshl_b64 s[68:69], s[30:31], 8
	s_lshl_b64 s[70:71], s[40:41], 8
	s_mov_b32 s43, 0x3f200000
	s_mov_b32 s67, 0x3fb8aa3b
	;; [unrolled: 1-line block ×4, first 2 shown]
	s_brev_b32 s59, -2
	s_mov_b32 s66, 0xc1a00000
	s_mov_b32 s7, 0x5040100
	v_mov_b32_e32 v239, 0
	v_add_u32_e32 v240, 0x1080, v120
	v_add_u32_e32 v241, 0x2100, v120
	v_add_u32_e32 v242, 0x3180, v120
	v_add_u32_e32 v243, 0x4200, v120
	v_add_u32_e32 v244, 0x5280, v120
	v_add_u32_e32 v245, 0x6300, v120
	v_add_u32_e32 v246, 0x7380, v120
	v_add_u32_e32 v247, 32, v124
	v_add_u32_e32 v248, 64, v124
	v_add_u32_e32 v249, 0x60, v124
	v_add_u32_e32 v250, 0x80, v124
	v_add_u32_e32 v251, 0xa0, v124
	v_add_u32_e32 v252, 0xc0, v124
	v_add_u32_e32 v253, 0xe0, v124
	v_add_u32_e32 v254, 0x100, v124
	v_add_u32_e32 v201, 0x120, v124
	v_add_u32_e32 v197, 0x140, v124
	v_add_u32_e32 v199, 0x160, v124
	v_add_u32_e32 v193, 0x180, v124
	v_add_u32_e32 v203, 0x1a0, v124
	v_add_u32_e32 v200, 0x1c0, v124
	v_add_u32_e32 v195, 0x1e0, v124
	v_writelane_b32 v255, s53, 24
	v_mul_lo_u32 v202, v114, s53
	v_lshrrev_b32_e32 v198, 1, v116
	v_accvgpr_write_b32 a7, v78
	v_lshrrev_b32_e32 v196, 1, v78
	v_accvgpr_write_b32 a6, v77
	v_lshrrev_b32_e32 v188, 1, v77
	v_lshrrev_b32_e32 v190, 3, v105
	v_bfe_u32 v194, v105, 2, 1
	v_lshlrev_b32_e32 v76, 4, v1
	v_mov_b32_e32 v191, 0xbd5c1c4e
	v_mov_b32_e32 v192, 0x3e088382
	;; [unrolled: 1-line block ×4, first 2 shown]
	v_and_b32_e32 v78, 1, v38
	s_branch .LBB30_14
.LBB30_12:                              ;   in Loop: Header=BB30_14 Depth=1
	s_or_b64 exec, exec, s[72:73]
	s_barrier
.LBB30_13:                              ;   in Loop: Header=BB30_14 Depth=1
	s_add_i32 s6, s54, s82
	s_abs_i32 s9, s6
	s_mul_hi_u32 s10, s9, s50
	s_mul_i32 s10, s10, s83
	s_sub_i32 s9, s9, s10
	s_ashr_i32 s8, s6, 31
	s_sub_i32 s10, s9, s83
	s_cmp_ge_u32 s9, s83
	s_cselect_b32 s9, s10, s9
	s_sub_i32 s10, s9, s83
	s_cmp_ge_u32 s9, s83
	s_cselect_b32 s9, s10, s9
	s_xor_b32 s9, s9, s8
	s_sub_i32 s8, s8, s9
	s_add_i32 s54, s6, s8
	s_sub_i32 s6, s58, s54
	s_min_i32 s62, s82, s6
	s_cmp_gt_i32 s58, s54
	s_cselect_b64 s[8:9], -1, 0
	s_cmp_le_i32 s82, s6
	s_cselect_b64 s[10:11], -1, 0
	s_and_b64 s[10:11], s[10:11], s[8:9]
	s_mov_b32 s74, 0
	s_and_b64 vcc, exec, s[10:11]
	s_cbranch_vccz .LBB30_303
.LBB30_14:                              ; =>This Loop Header: Depth=1
                                        ;     Child Loop BB30_183 Depth 2
                                        ;     Child Loop BB30_39 Depth 2
	s_ashr_i32 s6, s54, 31
	v_readlane_b32 s8, v255, 16
	s_xor_b32 s6, s6, s8
	s_abs_i32 s8, s54
	v_readlane_b32 s9, v255, 17
	s_mul_hi_u32 s9, s8, s9
	s_mul_i32 s10, s9, s84
	s_sub_i32 s8, s8, s10
	s_add_i32 s10, s9, 1
	s_sub_i32 s11, s8, s84
	s_cmp_ge_u32 s8, s84
	s_cselect_b32 s9, s10, s9
	s_cselect_b32 s8, s11, s8
	s_add_i32 s10, s9, 1
	s_cmp_ge_u32 s8, s84
	s_cselect_b32 s8, s10, s9
	s_xor_b32 s8, s8, s6
	s_sub_i32 s8, s8, s6
	v_readlane_b32 s6, v255, 3
	s_mul_i32 s6, s8, s6
	s_sub_i32 s6, s54, s6
	s_ashr_i32 s9, s6, 31
	v_readlane_b32 s10, v255, 18
	s_xor_b32 s9, s9, s10
	s_abs_i32 s10, s6
	v_readlane_b32 s11, v255, 19
	s_mul_hi_u32 s11, s10, s11
	s_mul_i32 s51, s11, s85
	s_sub_i32 s10, s10, s51
	s_add_i32 s51, s11, 1
	s_sub_i32 s52, s10, s85
	s_cmp_ge_u32 s10, s85
	s_cselect_b32 s11, s51, s11
	s_cselect_b32 s10, s52, s10
	s_add_i32 s51, s11, 1
	s_cmp_ge_u32 s10, s85
	s_cselect_b32 s10, s51, s11
	s_xor_b32 s10, s10, s9
	s_sub_i32 s9, s10, s9
	v_readlane_b32 s10, v255, 2
	s_mul_i32 s10, s9, s10
	s_sub_i32 s10, s6, s10
	;; [unrolled: 21-line block ×3, first 2 shown]
	s_ashr_i32 s11, s10, 31
	s_abs_i32 s10, s10
	s_mul_hi_u32 s51, s10, s50
	s_mul_i32 s52, s51, s83
	s_sub_i32 s10, s10, s52
	s_xor_b32 s11, s11, s38
	s_add_i32 s52, s51, 1
	s_sub_i32 s53, s10, s83
	s_cmp_ge_u32 s10, s83
	s_cselect_b32 s51, s52, s51
	s_cselect_b32 s10, s53, s10
	s_add_i32 s52, s51, 1
	s_cmp_ge_u32 s10, s83
	s_cselect_b32 s10, s52, s51
	v_readlane_b32 s52, v255, 11
	s_xor_b32 s10, s10, s11
	v_readlane_b32 s53, v255, 12
	s_andn2_b64 vcc, exec, s[52:53]
	s_sub_i32 s52, s10, s11
	s_cbranch_vccnz .LBB30_16
; %bb.15:                               ;   in Loop: Header=BB30_14 Depth=1
	v_readlane_b32 s10, v255, 0
	s_mul_i32 s10, s8, s10
	s_add_i32 s10, s52, s10
	s_ashr_i32 s11, s10, 31
	s_lshl_b64 s[10:11], s[10:11], 2
	s_add_u32 s10, s22, s10
	s_addc_u32 s11, s23, s11
	global_load_dword v1, v239, s[10:11]
	s_waitcnt vmcnt(0)
	v_readfirstlane_b32 s10, v1
	s_ashr_i32 s11, s10, 31
	s_lshr_b32 s11, s11, 26
	s_add_i32 s10, s10, s11
	s_ashr_i32 s10, s10, 6
	s_min_i32 s62, s62, s10
.LBB30_16:                              ;   in Loop: Header=BB30_14 Depth=1
	v_readlane_b32 s64, v255, 4
	v_readlane_b32 s65, v255, 5
	s_mul_i32 s10, s9, s33
	s_lshl_b32 s6, s6, 1
	s_mul_i32 s11, s8, s65
	s_add_i32 s10, s6, s10
	s_ashr_i32 s51, s11, 31
	s_add_u32 s11, s12, s11
	s_mul_i32 s53, s10, s64
	s_addc_u32 s51, s13, s51
	s_ashr_i32 s57, s53, 31
	s_add_u32 s93, s11, s53
	s_addc_u32 s94, s51, s57
	s_ashr_i32 s11, s8, 31
	s_mul_i32 s51, s8, s37
	s_mul_hi_u32 s53, s8, s36
	s_add_i32 s51, s53, s51
	s_mul_i32 s53, s11, s36
	v_readlane_b32 s72, v255, 6
	s_add_i32 s63, s51, s53
	s_mul_i32 s64, s8, s36
	v_readlane_b32 s73, v255, 7
	s_add_u32 s51, s14, s64
	s_mul_i32 s65, s9, s73
	s_addc_u32 s53, s15, s63
	s_ashr_i32 s89, s65, 31
	s_add_u32 s81, s51, s65
	s_addc_u32 s78, s53, s89
	s_abs_i32 s51, s8
	v_mul_hi_u32 v1, s51, v126
	v_mul_lo_u32 v1, v1, s87
	v_sub_u32_e32 v1, s51, v1
	s_mul_i32 s51, s28, s29
	v_subrev_u32_e32 v2, s87, v1
	v_cmp_le_u32_e32 vcc, s87, v1
	s_mul_i32 s51, s51, s8
	v_cndmask_b32_e32 v1, v1, v2, vcc
	s_add_i32 s51, s10, s51
	v_subrev_u32_e32 v2, s87, v1
	v_cmp_le_u32_e32 vcc, s87, v1
	s_lshl_b32 s60, s51, 7
	v_cndmask_b32_e32 v1, v1, v2, vcc
	s_lshl_b64 s[72:73], s[60:61], 3
	v_xor_b32_e32 v1, s11, v1
	s_add_u32 s57, s24, s72
	s_mul_i32 s53, s8, s47
	s_mul_hi_u32 s60, s8, s46
	v_subrev_u32_e32 v1, s11, v1
	s_addc_u32 s51, s25, s73
	s_add_i32 s53, s60, s53
	s_mul_i32 s11, s11, s46
	s_add_i32 s60, s53, s11
	s_mul_i32 s90, s8, s46
	s_add_u32 s8, s16, s90
	s_mul_i32 s91, s9, s39
	s_addc_u32 s11, s17, s60
	s_ashr_i32 s92, s91, 31
	s_add_u32 s79, s8, s91
	s_addc_u32 s80, s11, s92
	s_ashr_i32 s11, s10, 31
	s_lshl_b64 s[8:9], s[10:11], 2
	v_ashrrev_i32_e32 v2, 31, v1
	v_mul_lo_u32 v3, v1, s49
	v_mul_hi_u32 v4, v1, s48
	s_add_u32 s10, s20, s8
	v_add_u32_e32 v3, v4, v3
	v_mul_lo_u32 v2, v2, s48
	v_mul_lo_u32 v80, v1, s48
	s_addc_u32 s11, s21, s9
	v_readlane_b32 s8, v255, 9
	v_add_u32_e32 v81, v3, v2
	v_mov_b32_e32 v1, s19
	v_add_co_u32_e32 v187, vcc, s18, v80
	v_readlane_b32 s9, v255, 10
	v_addc_co_u32_e32 v189, vcc, v1, v81, vcc
	s_and_b64 s[8:9], s[8:9], exec
	v_or_b32_e32 v39, s6, v114
	s_cselect_b32 s73, 0, s11
	s_cselect_b32 s72, 0, s10
	s_cmp_lg_u32 s74, 0
	v_cmp_gt_i32_e32 vcc, s33, v39
	s_cbranch_scc0 .LBB30_35
; %bb.17:                               ;   in Loop: Header=BB30_14 Depth=1
	s_lshl_b32 s53, s52, 3
	v_add_u32_e32 v1, s53, v117
	v_cmp_le_i32_e64 s[8:9], s28, v1
	s_xor_b64 s[10:11], vcc, -1
	s_or_b64 s[8:9], s[8:9], s[10:11]
	s_and_saveexec_b64 s[76:77], s[8:9]
	s_xor_b64 s[8:9], exec, s[76:77]
	s_cbranch_execz .LBB30_19
; %bb.18:                               ;   in Loop: Header=BB30_14 Depth=1
	ds_write2st64_b32 v129, v239, v239 offset1:1
                                        ; implicit-def: $vgpr1
.LBB30_19:                              ;   in Loop: Header=BB30_14 Depth=1
	s_andn2_saveexec_b64 s[8:9], s[8:9]
	s_cbranch_execz .LBB30_21
; %bb.20:                               ;   in Loop: Header=BB30_14 Depth=1
	v_mul_lo_u32 v1, v1, s55
	v_add3_u32 v2, v1, v202, v38
	v_ashrrev_i32_e32 v3, 31, v2
	v_lshlrev_b64 v[2:3], 3, v[2:3]
	v_add_co_u32_e32 v2, vcc, s93, v2
	v_mov_b32_e32 v1, s94
	v_addc_co_u32_e32 v3, vcc, v1, v3, vcc
	global_load_dwordx2 v[4:5], v[2:3], off
	s_waitcnt vmcnt(0)
	v_cvt_f16_f32_e32 v1, v4
	global_load_dwordx2 v[2:3], v[2:3], off offset:512
	v_cvt_f16_f32_e32 v4, v5
	v_pack_b32_f16 v1, v1, v4
	v_pk_mul_f16 v1, v111, v1
	s_waitcnt vmcnt(0)
	v_cvt_f16_f32_e32 v2, v2
	v_cvt_f16_f32_e32 v3, v3
	v_pack_b32_f16 v2, v2, v3
	v_pk_mul_f16 v2, v111, v2
	ds_write2st64_b32 v129, v1, v2 offset1:1
.LBB30_21:                              ;   in Loop: Header=BB30_14 Depth=1
	s_or_b64 exec, exec, s[8:9]
	v_add_u32_e32 v1, s53, v198
	v_cmp_le_i32_e32 vcc, s28, v1
	s_or_b64 s[8:9], vcc, s[10:11]
	s_and_saveexec_b64 s[76:77], s[8:9]
	s_xor_b64 s[8:9], exec, s[76:77]
	s_cbranch_execz .LBB30_23
; %bb.22:                               ;   in Loop: Header=BB30_14 Depth=1
	v_add_u32_e32 v1, 64, v129
	ds_write2st64_b32 v1, v239, v239 offset0:8 offset1:9
                                        ; implicit-def: $vgpr1
.LBB30_23:                              ;   in Loop: Header=BB30_14 Depth=1
	s_andn2_saveexec_b64 s[8:9], s[8:9]
	s_cbranch_execz .LBB30_25
; %bb.24:                               ;   in Loop: Header=BB30_14 Depth=1
	v_mul_lo_u32 v1, v1, s55
	v_add3_u32 v2, v1, v202, v38
	v_ashrrev_i32_e32 v3, 31, v2
	v_lshlrev_b64 v[2:3], 3, v[2:3]
	v_add_co_u32_e32 v2, vcc, s93, v2
	v_mov_b32_e32 v1, s94
	v_addc_co_u32_e32 v3, vcc, v1, v3, vcc
	global_load_dwordx2 v[4:5], v[2:3], off
	s_waitcnt vmcnt(0)
	v_cvt_f16_f32_e32 v1, v4
	global_load_dwordx2 v[2:3], v[2:3], off offset:512
	v_cvt_f16_f32_e32 v4, v5
	v_pack_b32_f16 v1, v1, v4
	v_pk_mul_f16 v1, v111, v1
	s_waitcnt vmcnt(0)
	v_cvt_f16_f32_e32 v2, v2
	v_cvt_f16_f32_e32 v3, v3
	v_pack_b32_f16 v2, v2, v3
	v_pk_mul_f16 v2, v111, v2
	v_add_u32_e32 v3, 64, v129
	ds_write2st64_b32 v3, v1, v2 offset0:8 offset1:9
.LBB30_25:                              ;   in Loop: Header=BB30_14 Depth=1
	s_or_b64 exec, exec, s[8:9]
	v_add_u32_e32 v1, s53, v196
	v_cmp_le_i32_e32 vcc, s28, v1
	s_or_b64 s[8:9], vcc, s[10:11]
	s_and_saveexec_b64 s[76:77], s[8:9]
	s_xor_b64 s[8:9], exec, s[76:77]
	s_cbranch_execz .LBB30_27
; %bb.26:                               ;   in Loop: Header=BB30_14 Depth=1
	v_add_u32_e32 v1, 0x80, v129
	ds_write2st64_b32 v1, v239, v239 offset0:16 offset1:17
                                        ; implicit-def: $vgpr1
.LBB30_27:                              ;   in Loop: Header=BB30_14 Depth=1
	s_andn2_saveexec_b64 s[8:9], s[8:9]
	s_cbranch_execz .LBB30_29
; %bb.28:                               ;   in Loop: Header=BB30_14 Depth=1
	v_mul_lo_u32 v1, v1, s55
	v_add3_u32 v2, v1, v202, v38
	v_ashrrev_i32_e32 v3, 31, v2
	v_lshlrev_b64 v[2:3], 3, v[2:3]
	v_add_co_u32_e32 v2, vcc, s93, v2
	v_mov_b32_e32 v1, s94
	v_addc_co_u32_e32 v3, vcc, v1, v3, vcc
	global_load_dwordx2 v[4:5], v[2:3], off
	s_waitcnt vmcnt(0)
	v_cvt_f16_f32_e32 v1, v4
	global_load_dwordx2 v[2:3], v[2:3], off offset:512
	v_cvt_f16_f32_e32 v4, v5
	v_pack_b32_f16 v1, v1, v4
	v_pk_mul_f16 v1, v111, v1
	s_waitcnt vmcnt(0)
	v_cvt_f16_f32_e32 v2, v2
	v_cvt_f16_f32_e32 v3, v3
	v_pack_b32_f16 v2, v2, v3
	v_pk_mul_f16 v2, v111, v2
	v_add_u32_e32 v3, 0x80, v129
	ds_write2st64_b32 v3, v1, v2 offset0:16 offset1:17
.LBB30_29:                              ;   in Loop: Header=BB30_14 Depth=1
	;; [unrolled: 37-line block ×3, first 2 shown]
	s_or_b64 exec, exec, s[8:9]
	s_waitcnt lgkmcnt(0)
	s_barrier
	ds_read2_b64 v[30:33], v118 offset1:4
	ds_read2_b64 v[26:29], v118 offset0:8 offset1:12
	ds_read2_b64 v[22:25], v118 offset0:16 offset1:20
	;; [unrolled: 1-line block ×7, first 2 shown]
	v_add_u32_e32 v1, s53, v119
	v_mul_hi_u32 v34, s44, v1
	v_add_u32_e32 v34, v1, v34
	v_lshrrev_b32_e32 v34, s45, v34
	v_mul_lo_u32 v34, v34, s28
	s_add_i32 s75, s62, -1
	v_sub_u32_e32 v1, v1, v34
	s_cmp_gt_i32 s75, s74
	v_mad_i64_i32 v[36:37], s[8:9], v1, s42, 0
	s_waitcnt lgkmcnt(0)
	s_barrier
	s_cbranch_scc1 .LBB30_36
; %bb.34:                               ;   in Loop: Header=BB30_14 Depth=1
	s_mov_b64 s[8:9], 0
	s_mov_b32 s10, 0xfeffffff
	s_mov_b32 s76, 0
	;; [unrolled: 1-line block ×3, first 2 shown]
	s_branch .LBB30_37
.LBB30_35:                              ;   in Loop: Header=BB30_14 Depth=1
	s_cbranch_execz .LBB30_13
	s_branch .LBB30_162
.LBB30_36:                              ;   in Loop: Header=BB30_14 Depth=1
	s_mov_b64 s[8:9], -1
                                        ; implicit-def: $sgpr11
                                        ; implicit-def: $sgpr76
                                        ; implicit-def: $sgpr10
.LBB30_37:                              ;   in Loop: Header=BB30_14 Depth=1
	s_andn2_b64 vcc, exec, s[8:9]
	v_mov_b32_e32 v1, s11
	v_mov_b32_e32 v85, s76
	;; [unrolled: 1-line block ×3, first 2 shown]
	v_lshlrev_b64 v[82:83], 1, v[36:37]
	v_mov_b32_e32 v77, s11
	v_mov_b32_e32 v79, s11
	v_mov_b32_e32 v84, s11
	v_mov_b32_e32 v89, s11
	v_mov_b32_e32 v90, s11
	v_mov_b32_e32 v91, s11
	v_mov_b32_e32 v92, s11
	v_mov_b32_e32 v93, s11
	v_mov_b32_e32 v94, s11
	v_mov_b32_e32 v95, s11
	v_mov_b32_e32 v96, s11
	v_mov_b32_e32 v97, s11
	v_mov_b32_e32 v98, s11
	v_mov_b32_e32 v99, s11
	v_mov_b32_e32 v100, s11
	v_mov_b32_e32 v101, s11
	v_mov_b32_e32 v102, s11
	v_mov_b32_e32 v103, s11
	v_mov_b32_e32 v104, s11
	v_mov_b32_e32 v106, s11
	v_mov_b32_e32 v108, s11
	v_mov_b32_e32 v110, s11
	v_mov_b32_e32 v112, s11
	v_mov_b32_e32 v152, s11
	v_mov_b32_e32 v154, s11
	v_mov_b32_e32 v155, s11
	v_mov_b32_e32 v157, s11
	v_mov_b32_e32 v148, s11
	v_mov_b32_e32 v150, s11
	v_mov_b32_e32 v143, s11
	v_mov_b32_e32 v153, s11
	s_cbranch_vccnz .LBB30_57
; %bb.38:                               ;   in Loop: Header=BB30_14 Depth=1
	v_add_co_u32_e32 v1, vcc, v187, v82
	v_addc_co_u32_e32 v34, vcc, v189, v83, vcc
	v_lshlrev_b32_e32 v35, 1, v42
	v_add_co_u32_e32 v43, vcc, v1, v35
	v_and_b32_e32 v1, 64, v238
	v_addc_co_u32_e32 v86, vcc, 0, v34, vcc
	v_add_u32_e32 v1, 64, v1
	v_xor_b32_e32 v34, 32, v238
	v_cmp_lt_i32_e32 vcc, v34, v1
	v_cndmask_b32_e32 v34, v238, v34, vcc
	v_lshlrev_b32_e32 v87, 2, v34
	v_xor_b32_e32 v34, 16, v238
	v_cmp_lt_i32_e32 vcc, v34, v1
	v_cndmask_b32_e32 v1, v238, v34, vcc
	v_mov_b32_e32 v153, 0
	v_lshlrev_b32_e32 v88, 2, v1
	s_lshl_b32 s8, s74, 6
	v_mov_b32_e32 v109, 0
	v_mov_b32_e32 v145, 0xfeffffff
	;; [unrolled: 1-line block ×33, first 2 shown]
.LBB30_39:                              ;   Parent Loop BB30_14 Depth=1
                                        ; =>  This Inner Loop Header: Depth=2
	s_ashr_i32 s9, s8, 31
	s_lshl_b64 s[10:11], s[8:9], 1
	v_add_co_u32_e32 v34, vcc, s10, v43
	v_mov_b32_e32 v35, s11
	v_addc_co_u32_e32 v35, vcc, v86, v35, vcc
	global_load_dword v34, v[34:35], off
	s_mul_hi_i32 s11, s8, s40
	s_mul_i32 s10, s8, s40
	s_lshl_b64 s[10:11], s[10:11], 2
	s_add_u32 s9, s81, s10
	s_addc_u32 s10, s78, s11
	v_mov_b32_e32 v35, s10
                                        ; implicit-def: $vgpr85
	s_waitcnt vmcnt(0)
	ds_write_b32 v128, v34 offset:33792
	v_add_co_u32_e32 v34, vcc, s9, v60
	v_addc_co_u32_e32 v35, vcc, v35, v61, vcc
	v_add_co_u32_e32 v34, vcc, v34, v127
	v_addc_co_u32_e32 v35, vcc, 0, v35, vcc
	global_load_dwordx4 v[34:37], v[34:35], off
	s_waitcnt vmcnt(0)
	ds_write_b128 v120, v[34:37]
	v_add_co_u32_e32 v34, vcc, s9, v62
	v_mov_b32_e32 v35, s10
	v_addc_co_u32_e32 v35, vcc, v35, v63, vcc
	v_add_co_u32_e32 v34, vcc, v34, v127
	v_addc_co_u32_e32 v35, vcc, 0, v35, vcc
	global_load_dwordx4 v[34:37], v[34:35], off
	s_waitcnt vmcnt(0)
	ds_write_b128 v240, v[34:37]
	v_add_co_u32_e32 v34, vcc, s9, v64
	v_mov_b32_e32 v35, s10
	;; [unrolled: 8-line block ×7, first 2 shown]
	v_addc_co_u32_e32 v35, vcc, v35, v75, vcc
	v_add_co_u32_e32 v34, vcc, v34, v127
	v_addc_co_u32_e32 v35, vcc, 0, v35, vcc
	global_load_dwordx4 v[34:37], v[34:35], off
	s_waitcnt vmcnt(0)
	ds_write_b128 v246, v[34:37]
	s_waitcnt lgkmcnt(0)
	s_barrier
	ds_read2_b64 v[34:37], v121 offset1:4
	s_waitcnt lgkmcnt(0)
	v_mfma_f32_16x16x16f16 a[0:3], v[34:35], v[30:31], 0
	v_mfma_f32_16x16x16f16 a[0:3], v[36:37], v[32:33], a[0:3]
	ds_read2_b64 v[34:37], v121 offset0:8 offset1:12
	s_waitcnt lgkmcnt(0)
	v_mfma_f32_16x16x16f16 a[0:3], v[34:35], v[26:27], a[0:3]
	v_mfma_f32_16x16x16f16 a[0:3], v[36:37], v[28:29], a[0:3]
	ds_read2_b64 v[34:37], v121 offset0:16 offset1:20
	;; [unrolled: 4-line block ×7, first 2 shown]
	s_waitcnt lgkmcnt(0)
	s_barrier
	v_mfma_f32_16x16x16f16 a[0:3], v[34:35], v[2:3], a[0:3]
	v_mfma_f32_16x16x16f16 a[0:3], v[36:37], v[4:5], a[0:3]
	s_nop 7
	s_nop 2
	v_accvgpr_read_b32 v34, a0
	v_cmp_nlt_f32_e64 s[10:11], |v34|, s43
	s_and_saveexec_b64 s[76:77], s[10:11]
	s_xor_b64 s[10:11], exec, s[76:77]
	s_cbranch_execz .LBB30_41
; %bb.40:                               ;   in Loop: Header=BB30_39 Depth=2
	v_add_f32_e64 v34, |v34|, |v34|
	v_mul_f32_e32 v35, 0x3fb8aa3b, v34
	v_rndne_f32_e32 v36, v35
	v_sub_f32_e32 v37, v35, v36
	v_fma_f32 v35, v34, s67, -v35
	v_fmac_f32_e32 v35, 0x32a5705f, v34
	v_add_f32_e32 v35, v37, v35
	v_cvt_i32_f32_e32 v36, v36
	v_exp_f32_e32 v35, v35
	v_cmp_ngt_f32_e32 vcc, s95, v34
	v_ldexp_f32 v35, v35, v36
	v_cndmask_b32_e32 v35, 0, v35, vcc
	v_cmp_nlt_f32_e32 vcc, s56, v34
	v_cndmask_b32_e32 v34, v186, v35, vcc
	v_add_f32_e32 v34, 1.0, v34
	v_rcp_f32_e32 v34, v34
	v_fma_f32 v85, v34, -2.0, 1.0
                                        ; implicit-def: $vgpr34
.LBB30_41:                              ;   in Loop: Header=BB30_39 Depth=2
	s_andn2_saveexec_b64 s[10:11], s[10:11]
; %bb.42:                               ;   in Loop: Header=BB30_39 Depth=2
	v_mul_f32_e32 v35, v34, v34
	v_mov_b32_e32 v36, 0x3ca908c9
	v_fmac_f32_e32 v36, 0xbbbac73d, v35
	v_fma_f32 v36, v35, v36, v191
	v_fma_f32 v36, v35, v36, v192
	;; [unrolled: 1-line block ×3, first 2 shown]
	v_mul_f32_e64 v36, |v34|, v36
	v_fma_f32 v85, v35, v36, |v34|
; %bb.43:                               ;   in Loop: Header=BB30_39 Depth=2
	s_or_b64 exec, exec, s[10:11]
	v_accvgpr_read_b32 v37, a3
	v_accvgpr_read_b32 v35, a1
	;; [unrolled: 1-line block ×4, first 2 shown]
	v_cmp_nlt_f32_e64 s[10:11], |v35|, s43
                                        ; implicit-def: $vgpr139
	s_and_saveexec_b64 s[76:77], s[10:11]
	s_xor_b64 s[10:11], exec, s[76:77]
	s_cbranch_execz .LBB30_45
; %bb.44:                               ;   in Loop: Header=BB30_39 Depth=2
	v_add_f32_e64 v139, |v35|, |v35|
	v_mul_f32_e32 v140, 0x3fb8aa3b, v139
	v_rndne_f32_e32 v141, v140
	v_sub_f32_e32 v146, v140, v141
	v_fma_f32 v140, v139, s67, -v140
	v_fmac_f32_e32 v140, 0x32a5705f, v139
	v_add_f32_e32 v140, v146, v140
	v_cvt_i32_f32_e32 v141, v141
	v_exp_f32_e32 v140, v140
	v_cmp_ngt_f32_e32 vcc, s95, v139
	v_ldexp_f32 v140, v140, v141
	v_cndmask_b32_e32 v140, 0, v140, vcc
	v_cmp_nlt_f32_e32 vcc, s56, v139
	v_cndmask_b32_e32 v139, v186, v140, vcc
	v_add_f32_e32 v139, 1.0, v139
	v_rcp_f32_e32 v139, v139
	v_fma_f32 v139, v139, -2.0, 1.0
.LBB30_45:                              ;   in Loop: Header=BB30_39 Depth=2
	s_andn2_saveexec_b64 s[10:11], s[10:11]
; %bb.46:                               ;   in Loop: Header=BB30_39 Depth=2
	v_mul_f32_e32 v139, v35, v35
	v_mov_b32_e32 v140, 0x3ca908c9
	v_fmac_f32_e32 v140, 0xbbbac73d, v139
	v_fma_f32 v140, v139, v140, v191
	v_fma_f32 v140, v139, v140, v192
	;; [unrolled: 1-line block ×3, first 2 shown]
	v_mul_f32_e64 v140, |v35|, v140
	v_fma_f32 v139, v139, v140, |v35|
; %bb.47:                               ;   in Loop: Header=BB30_39 Depth=2
	s_or_b64 exec, exec, s[10:11]
	v_cmp_nlt_f32_e64 s[10:11], |v36|, s43
                                        ; implicit-def: $vgpr141
	s_and_saveexec_b64 s[76:77], s[10:11]
	s_xor_b64 s[10:11], exec, s[76:77]
	s_cbranch_execz .LBB30_49
; %bb.48:                               ;   in Loop: Header=BB30_39 Depth=2
	v_add_f32_e64 v140, |v36|, |v36|
	v_mul_f32_e32 v141, 0x3fb8aa3b, v140
	v_rndne_f32_e32 v146, v141
	v_sub_f32_e32 v147, v141, v146
	v_fma_f32 v141, v140, s67, -v141
	v_fmac_f32_e32 v141, 0x32a5705f, v140
	v_add_f32_e32 v141, v147, v141
	v_cvt_i32_f32_e32 v146, v146
	v_exp_f32_e32 v141, v141
	v_cmp_ngt_f32_e32 vcc, s95, v140
	v_ldexp_f32 v141, v141, v146
	v_cndmask_b32_e32 v141, 0, v141, vcc
	v_cmp_nlt_f32_e32 vcc, s56, v140
	v_cndmask_b32_e32 v140, v186, v141, vcc
	v_add_f32_e32 v140, 1.0, v140
	v_rcp_f32_e32 v140, v140
	v_fma_f32 v141, v140, -2.0, 1.0
.LBB30_49:                              ;   in Loop: Header=BB30_39 Depth=2
	s_andn2_saveexec_b64 s[10:11], s[10:11]
; %bb.50:                               ;   in Loop: Header=BB30_39 Depth=2
	v_mul_f32_e32 v140, v36, v36
	v_mov_b32_e32 v141, 0x3ca908c9
	v_fmac_f32_e32 v141, 0xbbbac73d, v140
	v_fma_f32 v141, v140, v141, v191
	v_fma_f32 v141, v140, v141, v192
	;; [unrolled: 1-line block ×3, first 2 shown]
	v_mul_f32_e64 v141, |v36|, v141
	v_fma_f32 v141, v140, v141, |v36|
; %bb.51:                               ;   in Loop: Header=BB30_39 Depth=2
	s_or_b64 exec, exec, s[10:11]
	v_cmp_nlt_f32_e64 s[10:11], |v37|, s43
                                        ; implicit-def: $vgpr146
	s_and_saveexec_b64 s[76:77], s[10:11]
	s_xor_b64 s[10:11], exec, s[76:77]
	s_cbranch_execz .LBB30_53
; %bb.52:                               ;   in Loop: Header=BB30_39 Depth=2
	v_add_f32_e64 v140, |v37|, |v37|
	v_mul_f32_e32 v146, 0x3fb8aa3b, v140
	v_rndne_f32_e32 v147, v146
	v_sub_f32_e32 v149, v146, v147
	v_fma_f32 v146, v140, s67, -v146
	v_fmac_f32_e32 v146, 0x32a5705f, v140
	v_add_f32_e32 v146, v149, v146
	v_cvt_i32_f32_e32 v147, v147
	v_exp_f32_e32 v146, v146
	v_cmp_ngt_f32_e32 vcc, s95, v140
	v_ldexp_f32 v146, v146, v147
	v_cndmask_b32_e32 v146, 0, v146, vcc
	v_cmp_nlt_f32_e32 vcc, s56, v140
	v_cndmask_b32_e32 v140, v186, v146, vcc
	v_add_f32_e32 v140, 1.0, v140
	v_rcp_f32_e32 v140, v140
	v_fma_f32 v146, v140, -2.0, 1.0
.LBB30_53:                              ;   in Loop: Header=BB30_39 Depth=2
	s_andn2_saveexec_b64 s[10:11], s[10:11]
; %bb.54:                               ;   in Loop: Header=BB30_39 Depth=2
	v_mul_f32_e32 v140, v37, v37
	v_mov_b32_e32 v146, 0x3ca908c9
	v_fmac_f32_e32 v146, 0xbbbac73d, v140
	v_fma_f32 v146, v140, v146, v191
	v_fma_f32 v146, v140, v146, v192
	v_fma_f32 v146, v140, v146, v184
	v_mul_f32_e64 v146, |v37|, v146
	v_fma_f32 v146, v140, v146, |v37|
; %bb.55:                               ;   in Loop: Header=BB30_39 Depth=2
	s_or_b64 exec, exec, s[10:11]
	v_bfi_b32 v34, s59, v85, v34
	v_add_u32_e32 v85, 0x8400, v122
	v_bfi_b32 v36, s59, v141, v36
	ds_read2_b32 v[140:141], v85 offset1:1
	v_bfi_b32 v37, s59, v146, v37
	v_bfi_b32 v35, s59, v139, v35
	s_mul_hi_i32 s11, s8, s30
	s_mul_i32 s10, s8, s30
	s_waitcnt lgkmcnt(0)
	v_cvt_f32_f16_e32 v146, v140
	v_cvt_f32_f16_sdwa v147, v140 dst_sel:DWORD dst_unused:UNUSED_PAD src0_sel:WORD_1
	s_lshl_b64 s[10:11], s[10:11], 2
	s_add_u32 s9, s79, s10
	s_addc_u32 s10, s80, s11
	v_pk_fma_f32 v[146:147], v[34:35], s[34:35], v[146:147]
	v_add_f32_e32 v34, 0x40051340, v146
	v_add_f32_e32 v35, 0x40051340, v147
	v_max3_f32 v85, v145, v34, v35
	v_cvt_f32_f16_e32 v34, v141
	v_cvt_f32_f16_sdwa v35, v141 dst_sel:DWORD dst_unused:UNUSED_PAD src0_sel:WORD_1
	s_add_i32 s74, s74, 1
	s_add_i32 s8, s8, 64
	s_cmp_lt_i32 s74, s75
	v_pk_fma_f32 v[36:37], v[36:37], s[34:35], v[34:35]
	v_add_f32_e32 v34, 0x40051340, v36
	v_add_f32_e32 v35, 0x40051340, v37
	v_max3_f32 v34, v85, v34, v35
	ds_bpermute_b32 v35, v87, v34
	s_waitcnt lgkmcnt(0)
	v_max_f32_e32 v35, v35, v35
	v_max_f32_e32 v34, v34, v35
	ds_bpermute_b32 v35, v88, v34
	s_waitcnt lgkmcnt(0)
	v_max_f32_e32 v35, v35, v35
	v_max_f32_e32 v34, v34, v35
	v_pk_add_f32 v[140:141], v[146:147], v[34:35] op_sel_hi:[1,0] neg_lo:[0,1] neg_hi:[0,1]
	v_mul_f32_e32 v35, 0x3fb8aa3b, v141
	v_fma_f32 v85, v141, s67, -v35
	v_rndne_f32_e32 v139, v35
	v_fmac_f32_e32 v85, 0x32a5705f, v141
	v_sub_f32_e32 v35, v35, v139
	v_add_f32_e32 v35, v35, v85
	v_exp_f32_e32 v35, v35
	v_cvt_i32_f32_e32 v85, v139
	v_cmp_ngt_f32_e32 vcc, s95, v141
	v_ldexp_f32 v35, v35, v85
	v_cndmask_b32_e32 v35, 0, v35, vcc
	v_cmp_nlt_f32_e32 vcc, s56, v141
	v_cndmask_b32_e32 v139, v186, v35, vcc
	v_mul_f32_e32 v35, 0x3fb8aa3b, v140
	v_fma_f32 v85, v140, s67, -v35
	v_rndne_f32_e32 v141, v35
	v_fmac_f32_e32 v85, 0x32a5705f, v140
	v_sub_f32_e32 v35, v35, v141
	v_add_f32_e32 v35, v35, v85
	v_exp_f32_e32 v35, v35
	v_cvt_i32_f32_e32 v85, v141
	v_cmp_ngt_f32_e32 vcc, s95, v140
	v_ldexp_f32 v35, v35, v85
	v_cndmask_b32_e32 v35, 0, v35, vcc
	v_cmp_nlt_f32_e32 vcc, s56, v140
	v_pk_add_f32 v[36:37], v[36:37], v[34:35] op_sel_hi:[1,0] neg_lo:[0,1] neg_hi:[0,1]
	v_cndmask_b32_e32 v140, v186, v35, vcc
	v_mul_f32_e32 v35, 0x3fb8aa3b, v37
	v_fma_f32 v85, v37, s67, -v35
	v_rndne_f32_e32 v141, v35
	v_fmac_f32_e32 v85, 0x32a5705f, v37
	v_sub_f32_e32 v35, v35, v141
	v_add_f32_e32 v35, v35, v85
	v_exp_f32_e32 v35, v35
	v_cvt_i32_f32_e32 v85, v141
	v_cmp_ngt_f32_e32 vcc, s95, v37
	v_ldexp_f32 v35, v35, v85
	v_cndmask_b32_e32 v35, 0, v35, vcc
	v_cmp_nlt_f32_e32 vcc, s56, v37
	v_cndmask_b32_e32 v37, v186, v35, vcc
	v_mul_f32_e32 v35, 0x3fb8aa3b, v36
	v_fma_f32 v85, v36, s67, -v35
	v_rndne_f32_e32 v141, v35
	v_fmac_f32_e32 v85, 0x32a5705f, v36
	v_sub_f32_e32 v35, v35, v141
	v_add_f32_e32 v35, v35, v85
	v_exp_f32_e32 v35, v35
	v_cvt_i32_f32_e32 v85, v141
	v_cmp_ngt_f32_e32 vcc, s95, v36
	v_ldexp_f32 v35, v35, v85
	v_cndmask_b32_e32 v35, 0, v35, vcc
	v_cmp_nlt_f32_e32 vcc, s56, v36
	v_cndmask_b32_e32 v141, v186, v35, vcc
	v_add_f32_e32 v35, v140, v139
	v_add_f32_e32 v35, v141, v35
	;; [unrolled: 1-line block ×3, first 2 shown]
	v_sub_f32_e32 v35, v145, v34
	v_mul_f32_e32 v36, 0x3fb8aa3b, v35
	v_fma_f32 v145, v35, s67, -v36
	v_rndne_f32_e32 v146, v36
	v_fmac_f32_e32 v145, 0x32a5705f, v35
	v_sub_f32_e32 v36, v36, v146
	v_add_f32_e32 v36, v36, v145
	v_exp_f32_e32 v36, v36
	v_cvt_i32_f32_e32 v145, v146
	v_cmp_ngt_f32_e32 vcc, s95, v35
	v_cvt_f16_f32_e32 v37, v37
	v_ldexp_f32 v36, v36, v145
	v_cndmask_b32_e32 v36, 0, v36, vcc
	v_cmp_nlt_f32_e32 vcc, s56, v35
	v_cndmask_b32_e32 v36, v186, v36, vcc
	v_cmp_le_f32_e32 vcc, s66, v35
	v_cndmask_b32_e32 v35, 0, v36, vcc
	v_fmac_f32_e32 v85, v109, v35
	v_cvt_f16_f32_e32 v36, v140
	v_cvt_f16_f32_e32 v109, v139
	v_mov_b32_e32 v139, s10
	v_cvt_f16_f32_e32 v35, v35
	v_pack_b32_f16 v36, v36, v109
	v_cvt_f16_f32_e32 v109, v141
	v_pk_mul_f16 v1, v35, v1 op_sel_hi:[0,1]
	v_pk_mul_f16 v77, v35, v77 op_sel_hi:[0,1]
	;; [unrolled: 1-line block ×3, first 2 shown]
	v_pack_b32_f16 v37, v109, v37
	v_add_co_u32_e32 v109, vcc, s9, v44
	v_addc_co_u32_e32 v139, vcc, v139, v45, vcc
	v_add_co_u32_e32 v140, vcc, v109, v127
	v_addc_co_u32_e32 v141, vcc, 0, v139, vcc
	global_load_dwordx4 v[160:163], v[140:141], off
	v_add_co_u32_e32 v109, vcc, s9, v46
	v_mov_b32_e32 v139, s10
	v_addc_co_u32_e32 v139, vcc, v139, v47, vcc
	v_add_co_u32_e32 v140, vcc, v109, v127
	v_addc_co_u32_e32 v141, vcc, 0, v139, vcc
	v_add_co_u32_e32 v109, vcc, s9, v48
	v_mov_b32_e32 v139, s10
	v_addc_co_u32_e32 v139, vcc, v139, v49, vcc
	v_pk_mul_f16 v79, v35, v79 op_sel_hi:[0,1]
	v_pk_mul_f16 v90, v35, v90 op_sel_hi:[0,1]
	;; [unrolled: 1-line block ×29, first 2 shown]
	s_waitcnt vmcnt(0)
	ds_write_b128 v120, v[160:163]
	global_load_dwordx4 v[160:163], v[140:141], off
	v_add_co_u32_e32 v140, vcc, v109, v127
	v_addc_co_u32_e32 v141, vcc, 0, v139, vcc
	v_add_co_u32_e32 v109, vcc, s9, v50
	v_mov_b32_e32 v139, s10
	v_addc_co_u32_e32 v139, vcc, v139, v51, vcc
	s_waitcnt vmcnt(0)
	ds_write_b128 v240, v[160:163]
	global_load_dwordx4 v[160:163], v[140:141], off
	v_add_co_u32_e32 v140, vcc, v109, v127
	v_addc_co_u32_e32 v141, vcc, 0, v139, vcc
	v_add_co_u32_e32 v109, vcc, s9, v52
	v_mov_b32_e32 v139, s10
	v_addc_co_u32_e32 v139, vcc, v139, v53, vcc
	;; [unrolled: 8-line block ×5, first 2 shown]
	s_waitcnt vmcnt(0)
	ds_write_b128 v244, v[160:163]
	global_load_dwordx4 v[160:163], v[140:141], off
	v_add_co_u32_e32 v140, vcc, v109, v127
	v_addc_co_u32_e32 v141, vcc, 0, v139, vcc
	s_waitcnt vmcnt(0)
	ds_write_b128 v245, v[160:163]
	global_load_dwordx4 v[160:163], v[140:141], off
	s_waitcnt vmcnt(0)
	ds_write_b128 v246, v[160:163]
	s_waitcnt lgkmcnt(0)
	s_barrier
	ds_read_u16 v109, v124 offset:528
	ds_read_u16 v139, v124 offset:1056
	v_cvt_f32_f16_e32 v162, v1
	v_cvt_f32_f16_sdwa v163, v1 dst_sel:DWORD dst_unused:UNUSED_PAD src0_sel:WORD_1
	ds_read_u16 v1, v125
	ds_read_u16 v143, v125 offset:32
	v_cvt_f32_f16_e32 v160, v77
	v_cvt_f32_f16_sdwa v161, v77 dst_sel:DWORD dst_unused:UNUSED_PAD src0_sel:WORD_1
	s_waitcnt lgkmcnt(1)
	v_perm_b32 v141, v1, v139, s7
	ds_read_u16 v1, v123
	ds_read_u16 v139, v123 offset:32
	v_accvgpr_write_b32 a0, v160
	v_accvgpr_write_b32 a1, v161
	;; [unrolled: 1-line block ×3, first 2 shown]
	s_waitcnt lgkmcnt(1)
	v_perm_b32 v140, v109, v1, s7
	v_accvgpr_write_b32 a3, v163
	v_cvt_f32_f16_e32 v160, v84
	v_cvt_f32_f16_sdwa v161, v84 dst_sel:DWORD dst_unused:UNUSED_PAD src0_sel:WORD_1
	v_mfma_f32_16x16x16f16 a[0:3], v[140:141], v[36:37], a[0:3]
	v_cvt_f32_f16_e32 v162, v79
	v_cvt_f32_f16_sdwa v163, v79 dst_sel:DWORD dst_unused:UNUSED_PAD src0_sel:WORD_1
	s_nop 7
	s_nop 0
	v_accvgpr_read_b32 v1, a0
	v_accvgpr_read_b32 v77, a1
	v_accvgpr_read_b32 v109, a2
	v_accvgpr_read_b32 v140, a3
	v_cvt_f16_f32_e32 v1, v1
	v_cvt_f16_f32_e32 v77, v77
	;; [unrolled: 1-line block ×4, first 2 shown]
	v_accvgpr_write_b32 a0, v160
	v_pack_b32_f16 v77, v1, v77
	v_accvgpr_write_b32 a1, v161
	v_pack_b32_f16 v1, v109, v140
	ds_read_u16 v109, v247 offset:528
	ds_read_u16 v140, v247 offset:1056
	v_accvgpr_write_b32 a2, v162
	v_accvgpr_write_b32 a3, v163
	v_cvt_f32_f16_e32 v160, v90
	v_cvt_f32_f16_sdwa v161, v90 dst_sel:DWORD dst_unused:UNUSED_PAD src0_sel:WORD_1
	s_waitcnt lgkmcnt(0)
	v_perm_b32 v141, v143, v140, s7
	v_perm_b32 v140, v109, v139, s7
	v_cvt_f32_f16_e32 v162, v89
	v_cvt_f32_f16_sdwa v163, v89 dst_sel:DWORD dst_unused:UNUSED_PAD src0_sel:WORD_1
	v_mfma_f32_16x16x16f16 a[0:3], v[140:141], v[36:37], a[0:3]
	s_nop 7
	s_nop 2
	v_accvgpr_read_b32 v79, a0
	v_accvgpr_read_b32 v84, a1
	v_accvgpr_read_b32 v109, a2
	v_accvgpr_read_b32 v139, a3
	v_cvt_f16_f32_e32 v79, v79
	v_cvt_f16_f32_e32 v84, v84
	v_cvt_f16_f32_e32 v109, v109
	v_cvt_f16_f32_e32 v139, v139
	v_accvgpr_write_b32 a0, v160
	v_pack_b32_f16 v84, v79, v84
	v_accvgpr_write_b32 a1, v161
	v_pack_b32_f16 v79, v109, v139
	ds_read_u16 v109, v123 offset:64
	ds_read_u16 v139, v248 offset:528
	ds_read_u16 v140, v248 offset:1056
	ds_read_u16 v141, v125 offset:64
	v_accvgpr_write_b32 a2, v162
	v_accvgpr_write_b32 a3, v163
	v_cvt_f32_f16_e32 v160, v92
	v_cvt_f32_f16_sdwa v161, v92 dst_sel:DWORD dst_unused:UNUSED_PAD src0_sel:WORD_1
	s_waitcnt lgkmcnt(0)
	v_perm_b32 v141, v141, v140, s7
	v_perm_b32 v140, v139, v109, s7
	v_cvt_f32_f16_e32 v162, v91
	v_cvt_f32_f16_sdwa v163, v91 dst_sel:DWORD dst_unused:UNUSED_PAD src0_sel:WORD_1
	v_mfma_f32_16x16x16f16 a[0:3], v[140:141], v[36:37], a[0:3]
	s_nop 7
	s_nop 2
	v_accvgpr_read_b32 v89, a0
	v_accvgpr_read_b32 v90, a1
	v_accvgpr_read_b32 v109, a2
	v_accvgpr_read_b32 v139, a3
	v_cvt_f16_f32_e32 v89, v89
	v_cvt_f16_f32_e32 v90, v90
	v_cvt_f16_f32_e32 v109, v109
	v_cvt_f16_f32_e32 v139, v139
	v_accvgpr_write_b32 a0, v160
	v_pack_b32_f16 v90, v89, v90
	v_accvgpr_write_b32 a1, v161
	v_pack_b32_f16 v89, v109, v139
	ds_read_u16 v109, v123 offset:96
	ds_read_u16 v139, v249 offset:528
	;; [unrolled: 28-line block ×9, first 2 shown]
	ds_read_u16 v109, v197 offset:1056
	ds_read_u16 v141, v125 offset:320
	v_accvgpr_write_b32 a2, v162
	v_accvgpr_write_b32 a3, v163
	s_waitcnt lgkmcnt(2)
	v_perm_b32 v108, v140, v139, s7
	v_cvt_f32_f16_e32 v160, v112
	s_waitcnt lgkmcnt(0)
	v_perm_b32 v109, v141, v109, s7
	v_cvt_f32_f16_sdwa v161, v112 dst_sel:DWORD dst_unused:UNUSED_PAD src0_sel:WORD_1
	v_cvt_f32_f16_e32 v162, v110
	v_mfma_f32_16x16x16f16 a[0:3], v[108:109], v[36:37], a[0:3]
	v_cvt_f32_f16_sdwa v163, v110 dst_sel:DWORD dst_unused:UNUSED_PAD src0_sel:WORD_1
	s_nop 7
	s_nop 1
	v_accvgpr_read_b32 v106, a0
	v_accvgpr_read_b32 v108, a1
	;; [unrolled: 1-line block ×4, first 2 shown]
	v_cvt_f16_f32_e32 v106, v106
	v_cvt_f16_f32_e32 v108, v108
	;; [unrolled: 1-line block ×4, first 2 shown]
	v_accvgpr_write_b32 a0, v160
	v_pack_b32_f16 v108, v106, v108
	v_accvgpr_write_b32 a1, v161
	v_pack_b32_f16 v106, v109, v139
	ds_read_u16 v109, v123 offset:352
	ds_read_u16 v139, v199 offset:528
	;; [unrolled: 1-line block ×4, first 2 shown]
	v_accvgpr_write_b32 a2, v162
	v_accvgpr_write_b32 a3, v163
	v_cvt_f32_f16_e32 v160, v154
	v_cvt_f32_f16_sdwa v161, v154 dst_sel:DWORD dst_unused:UNUSED_PAD src0_sel:WORD_1
	s_waitcnt lgkmcnt(0)
	v_perm_b32 v141, v141, v140, s7
	v_perm_b32 v140, v139, v109, s7
	v_cvt_f32_f16_e32 v162, v152
	v_cvt_f32_f16_sdwa v163, v152 dst_sel:DWORD dst_unused:UNUSED_PAD src0_sel:WORD_1
	v_mfma_f32_16x16x16f16 a[0:3], v[140:141], v[36:37], a[0:3]
	s_nop 7
	s_nop 2
	v_accvgpr_read_b32 v112, a2
	v_accvgpr_read_b32 v109, a0
	;; [unrolled: 1-line block ×3, first 2 shown]
	v_cvt_f16_f32_e32 v139, v112
	v_accvgpr_read_b32 v112, a3
	v_cvt_f16_f32_e32 v109, v109
	v_cvt_f16_f32_e32 v110, v110
	;; [unrolled: 1-line block ×3, first 2 shown]
	v_accvgpr_write_b32 a0, v160
	v_accvgpr_write_b32 a1, v161
	v_pack_b32_f16 v112, v109, v110
	v_pack_b32_f16 v110, v139, v140
	ds_read_u16 v109, v123 offset:384
	ds_read_u16 v139, v193 offset:528
	ds_read_u16 v140, v193 offset:1056
	ds_read_u16 v141, v125 offset:384
	v_accvgpr_write_b32 a2, v162
	v_accvgpr_write_b32 a3, v163
	v_cvt_f32_f16_e32 v160, v156
	v_cvt_f32_f16_sdwa v161, v156 dst_sel:DWORD dst_unused:UNUSED_PAD src0_sel:WORD_1
	s_waitcnt lgkmcnt(0)
	v_perm_b32 v141, v141, v140, s7
	v_perm_b32 v140, v139, v109, s7
	v_cvt_f32_f16_e32 v162, v151
	v_cvt_f32_f16_sdwa v163, v151 dst_sel:DWORD dst_unused:UNUSED_PAD src0_sel:WORD_1
	v_mfma_f32_16x16x16f16 a[0:3], v[140:141], v[36:37], a[0:3]
	s_nop 7
	s_nop 2
	v_accvgpr_read_b32 v109, a0
	v_accvgpr_read_b32 v139, a1
	;; [unrolled: 1-line block ×4, first 2 shown]
	v_cvt_f16_f32_e32 v109, v109
	v_cvt_f16_f32_e32 v139, v139
	;; [unrolled: 1-line block ×4, first 2 shown]
	v_accvgpr_write_b32 a0, v160
	v_pack_b32_f16 v154, v109, v139
	v_accvgpr_write_b32 a1, v161
	v_pack_b32_f16 v152, v140, v141
	ds_read_u16 v109, v123 offset:416
	ds_read_u16 v139, v203 offset:528
	;; [unrolled: 1-line block ×4, first 2 shown]
	v_accvgpr_write_b32 a2, v162
	v_accvgpr_write_b32 a3, v163
	v_cvt_f32_f16_e32 v160, v150
	v_cvt_f32_f16_sdwa v161, v150 dst_sel:DWORD dst_unused:UNUSED_PAD src0_sel:WORD_1
	s_waitcnt lgkmcnt(0)
	v_perm_b32 v141, v141, v140, s7
	v_perm_b32 v140, v139, v109, s7
	v_cvt_f32_f16_e32 v162, v148
	v_cvt_f32_f16_sdwa v163, v148 dst_sel:DWORD dst_unused:UNUSED_PAD src0_sel:WORD_1
	v_mfma_f32_16x16x16f16 a[0:3], v[140:141], v[36:37], a[0:3]
	s_nop 7
	s_nop 2
	v_accvgpr_read_b32 v109, a0
	v_accvgpr_read_b32 v139, a1
	;; [unrolled: 1-line block ×4, first 2 shown]
	v_cvt_f16_f32_e32 v109, v109
	v_cvt_f16_f32_e32 v139, v139
	;; [unrolled: 1-line block ×4, first 2 shown]
	v_accvgpr_write_b32 a0, v160
	v_pack_b32_f16 v157, v109, v139
	v_accvgpr_write_b32 a1, v161
	v_pack_b32_f16 v155, v140, v141
	ds_read_u16 v109, v123 offset:448
	ds_read_u16 v139, v200 offset:528
	;; [unrolled: 1-line block ×4, first 2 shown]
	v_accvgpr_write_b32 a2, v162
	v_accvgpr_write_b32 a3, v163
	v_cvt_f32_f16_e32 v160, v158
	v_cvt_f32_f16_sdwa v161, v158 dst_sel:DWORD dst_unused:UNUSED_PAD src0_sel:WORD_1
	s_waitcnt lgkmcnt(0)
	v_perm_b32 v141, v141, v140, s7
	v_perm_b32 v140, v139, v109, s7
	v_cvt_f32_f16_e32 v162, v35
	v_cvt_f32_f16_sdwa v163, v35 dst_sel:DWORD dst_unused:UNUSED_PAD src0_sel:WORD_1
	v_mfma_f32_16x16x16f16 a[0:3], v[140:141], v[36:37], a[0:3]
	s_nop 7
	s_nop 2
	v_accvgpr_read_b32 v109, a0
	v_accvgpr_read_b32 v139, a1
	v_cvt_f16_f32_e32 v109, v109
	v_cvt_f16_f32_e32 v139, v139
	v_accvgpr_read_b32 v140, a2
	v_accvgpr_read_b32 v141, a3
	v_cvt_f16_f32_e32 v140, v140
	v_pack_b32_f16 v150, v109, v139
	ds_read_u16 v109, v123 offset:480
	ds_read_u16 v139, v195 offset:528
	ds_read_u16 v143, v195 offset:1056
	ds_read_u16 v145, v125 offset:480
	v_cvt_f16_f32_e32 v141, v141
	v_accvgpr_write_b32 a0, v160
	v_accvgpr_write_b32 a1, v161
	;; [unrolled: 1-line block ×3, first 2 shown]
	v_pack_b32_f16 v148, v140, v141
	s_waitcnt lgkmcnt(0)
	v_perm_b32 v141, v145, v143, s7
	v_perm_b32 v140, v139, v109, s7
	v_accvgpr_write_b32 a3, v163
	s_barrier
	s_nop 0
	v_mfma_f32_16x16x16f16 a[0:3], v[140:141], v[36:37], a[0:3]
	s_nop 7
	s_nop 2
	v_accvgpr_read_b32 v35, a0
	v_accvgpr_read_b32 v36, a1
	;; [unrolled: 1-line block ×4, first 2 shown]
	v_cvt_f16_f32_e32 v35, v35
	v_cvt_f16_f32_e32 v36, v36
	;; [unrolled: 1-line block ×4, first 2 shown]
	v_pack_b32_f16 v153, v35, v36
	v_pack_b32_f16 v143, v37, v109
	s_cbranch_scc0 .LBB30_57
; %bb.56:                               ;   in Loop: Header=BB30_39 Depth=2
	v_mov_b32_e32 v109, v85
	v_mov_b32_e32 v145, v34
	s_branch .LBB30_39
.LBB30_57:                              ;   in Loop: Header=BB30_14 Depth=1
	s_lshl_b32 s8, s74, 6
	s_ashr_i32 s9, s8, 31
	s_lshl_b64 s[10:11], s[8:9], 1
	v_add_co_u32_e32 v35, vcc, s10, v187
	v_mov_b32_e32 v36, s11
	v_addc_co_u32_e32 v36, vcc, v189, v36, vcc
	v_add_co_u32_e32 v35, vcc, v35, v82
	v_addc_co_u32_e32 v37, vcc, v36, v83, vcc
	v_lshlrev_b32_e32 v36, 1, v42
	v_add_co_u32_e32 v36, vcc, v35, v36
	v_addc_co_u32_e32 v37, vcc, 0, v37, vcc
	global_load_dword v35, v[36:37], off
	s_mul_hi_i32 s11, s40, s8
	s_mul_i32 s10, s40, s8
	s_lshl_b64 s[10:11], s[10:11], 2
	s_add_u32 s9, s81, s10
	s_addc_u32 s10, s78, s11
	v_mov_b32_e32 v36, s10
	s_waitcnt vmcnt(0)
	ds_write_b32 v128, v35 offset:33792
	v_add_co_u32_e32 v35, vcc, s9, v60
	v_addc_co_u32_e32 v37, vcc, v36, v61, vcc
	v_add_co_u32_e32 v36, vcc, v35, v127
	v_addc_co_u32_e32 v37, vcc, 0, v37, vcc
	global_load_dwordx4 v[158:161], v[36:37], off
	v_add_co_u32_e32 v35, vcc, s9, v62
	v_mov_b32_e32 v36, s10
	v_addc_co_u32_e32 v37, vcc, v36, v63, vcc
	v_add_co_u32_e32 v36, vcc, v35, v127
	v_addc_co_u32_e32 v37, vcc, 0, v37, vcc
	v_add_co_u32_e32 v35, vcc, s9, v64
	s_waitcnt vmcnt(0)
	ds_write_b128 v120, v[158:161]
	global_load_dwordx4 v[158:161], v[36:37], off
	v_mov_b32_e32 v36, s10
	v_addc_co_u32_e32 v37, vcc, v36, v65, vcc
	v_add_co_u32_e32 v36, vcc, v35, v127
	v_addc_co_u32_e32 v37, vcc, 0, v37, vcc
	v_add_co_u32_e32 v35, vcc, s9, v66
	s_waitcnt vmcnt(0)
	ds_write_b128 v240, v[158:161]
	global_load_dwordx4 v[158:161], v[36:37], off
	;; [unrolled: 8-line block ×6, first 2 shown]
	v_mov_b32_e32 v36, s10
	v_addc_co_u32_e32 v37, vcc, v36, v75, vcc
	v_add_co_u32_e32 v36, vcc, v35, v127
	v_addc_co_u32_e32 v37, vcc, 0, v37, vcc
	s_waitcnt vmcnt(0)
	ds_write_b128 v245, v[158:161]
	global_load_dwordx4 v[158:161], v[36:37], off
	s_waitcnt vmcnt(0)
	ds_write_b128 v246, v[158:161]
	s_waitcnt lgkmcnt(0)
	s_barrier
	ds_read2_b64 v[158:161], v121 offset1:4
	s_waitcnt lgkmcnt(0)
	v_mfma_f32_16x16x16f16 a[0:3], v[158:159], v[30:31], 0
	v_mfma_f32_16x16x16f16 a[0:3], v[160:161], v[32:33], a[0:3]
	ds_read2_b64 v[30:33], v121 offset0:8 offset1:12
	s_waitcnt lgkmcnt(0)
	v_mfma_f32_16x16x16f16 a[0:3], v[30:31], v[26:27], a[0:3]
	v_mfma_f32_16x16x16f16 a[0:3], v[32:33], v[28:29], a[0:3]
	ds_read2_b64 v[26:29], v121 offset0:16 offset1:20
	;; [unrolled: 4-line block ×7, first 2 shown]
	s_waitcnt lgkmcnt(0)
	s_barrier
	v_mfma_f32_16x16x16f16 a[0:3], v[6:7], v[2:3], a[0:3]
                                        ; implicit-def: $vgpr6
	v_mfma_f32_16x16x16f16 a[0:3], v[8:9], v[4:5], a[0:3]
	s_nop 7
	s_nop 2
	v_accvgpr_read_b32 v2, a0
	v_cmp_nlt_f32_e64 s[10:11], |v2|, s43
	s_and_saveexec_b64 s[74:75], s[10:11]
	s_xor_b64 s[10:11], exec, s[74:75]
	s_cbranch_execz .LBB30_59
; %bb.58:                               ;   in Loop: Header=BB30_14 Depth=1
	v_add_f32_e64 v2, |v2|, |v2|
	v_mul_f32_e32 v3, 0x3fb8aa3b, v2
	v_rndne_f32_e32 v4, v3
	v_sub_f32_e32 v5, v3, v4
	v_fma_f32 v3, v2, s67, -v3
	v_fmac_f32_e32 v3, 0x32a5705f, v2
	v_add_f32_e32 v3, v5, v3
	v_cvt_i32_f32_e32 v4, v4
	v_exp_f32_e32 v3, v3
	v_cmp_ngt_f32_e32 vcc, s95, v2
	v_ldexp_f32 v3, v3, v4
	v_cndmask_b32_e32 v3, 0, v3, vcc
	v_cmp_nlt_f32_e32 vcc, s56, v2
	v_cndmask_b32_e32 v2, v186, v3, vcc
	v_add_f32_e32 v2, 1.0, v2
	v_rcp_f32_e32 v2, v2
	v_fma_f32 v6, v2, -2.0, 1.0
                                        ; implicit-def: $vgpr2
.LBB30_59:                              ;   in Loop: Header=BB30_14 Depth=1
	s_andn2_saveexec_b64 s[10:11], s[10:11]
; %bb.60:                               ;   in Loop: Header=BB30_14 Depth=1
	v_mul_f32_e32 v3, v2, v2
	v_mov_b32_e32 v4, 0x3ca908c9
	v_fmac_f32_e32 v4, 0xbbbac73d, v3
	v_fma_f32 v4, v3, v4, v191
	v_fma_f32 v4, v3, v4, v192
	v_fma_f32 v4, v3, v4, v184
	v_mul_f32_e64 v4, |v2|, v4
	v_fma_f32 v6, v3, v4, |v2|
; %bb.61:                               ;   in Loop: Header=BB30_14 Depth=1
	s_or_b64 exec, exec, s[10:11]
	v_accvgpr_read_b32 v5, a3
	v_accvgpr_read_b32 v3, a1
	;; [unrolled: 1-line block ×4, first 2 shown]
	v_cmp_nlt_f32_e64 s[10:11], |v3|, s43
                                        ; implicit-def: $vgpr7
	s_and_saveexec_b64 s[74:75], s[10:11]
	s_xor_b64 s[10:11], exec, s[74:75]
	s_cbranch_execz .LBB30_63
; %bb.62:                               ;   in Loop: Header=BB30_14 Depth=1
	v_add_f32_e64 v7, |v3|, |v3|
	v_mul_f32_e32 v8, 0x3fb8aa3b, v7
	v_rndne_f32_e32 v9, v8
	v_sub_f32_e32 v10, v8, v9
	v_fma_f32 v8, v7, s67, -v8
	v_fmac_f32_e32 v8, 0x32a5705f, v7
	v_add_f32_e32 v8, v10, v8
	v_cvt_i32_f32_e32 v9, v9
	v_exp_f32_e32 v8, v8
	v_cmp_ngt_f32_e32 vcc, s95, v7
	v_ldexp_f32 v8, v8, v9
	v_cndmask_b32_e32 v8, 0, v8, vcc
	v_cmp_nlt_f32_e32 vcc, s56, v7
	v_cndmask_b32_e32 v7, v186, v8, vcc
	v_add_f32_e32 v7, 1.0, v7
	v_rcp_f32_e32 v7, v7
	v_fma_f32 v7, v7, -2.0, 1.0
.LBB30_63:                              ;   in Loop: Header=BB30_14 Depth=1
	s_andn2_saveexec_b64 s[10:11], s[10:11]
; %bb.64:                               ;   in Loop: Header=BB30_14 Depth=1
	v_mul_f32_e32 v7, v3, v3
	v_mov_b32_e32 v8, 0x3ca908c9
	v_fmac_f32_e32 v8, 0xbbbac73d, v7
	v_fma_f32 v8, v7, v8, v191
	v_fma_f32 v8, v7, v8, v192
	;; [unrolled: 1-line block ×3, first 2 shown]
	v_mul_f32_e64 v8, |v3|, v8
	v_fma_f32 v7, v7, v8, |v3|
; %bb.65:                               ;   in Loop: Header=BB30_14 Depth=1
	s_or_b64 exec, exec, s[10:11]
	v_cmp_nlt_f32_e64 s[10:11], |v4|, s43
                                        ; implicit-def: $vgpr8
	s_and_saveexec_b64 s[74:75], s[10:11]
	s_xor_b64 s[10:11], exec, s[74:75]
	s_cbranch_execz .LBB30_67
; %bb.66:                               ;   in Loop: Header=BB30_14 Depth=1
	v_add_f32_e64 v8, |v4|, |v4|
	v_mul_f32_e32 v9, 0x3fb8aa3b, v8
	v_rndne_f32_e32 v10, v9
	v_sub_f32_e32 v11, v9, v10
	v_fma_f32 v9, v8, s67, -v9
	v_fmac_f32_e32 v9, 0x32a5705f, v8
	v_add_f32_e32 v9, v11, v9
	v_cvt_i32_f32_e32 v10, v10
	v_exp_f32_e32 v9, v9
	v_cmp_ngt_f32_e32 vcc, s95, v8
	v_ldexp_f32 v9, v9, v10
	v_cndmask_b32_e32 v9, 0, v9, vcc
	v_cmp_nlt_f32_e32 vcc, s56, v8
	v_cndmask_b32_e32 v8, v186, v9, vcc
	v_add_f32_e32 v8, 1.0, v8
	v_rcp_f32_e32 v8, v8
	v_fma_f32 v8, v8, -2.0, 1.0
.LBB30_67:                              ;   in Loop: Header=BB30_14 Depth=1
	s_andn2_saveexec_b64 s[10:11], s[10:11]
; %bb.68:                               ;   in Loop: Header=BB30_14 Depth=1
	v_mul_f32_e32 v8, v4, v4
	v_mov_b32_e32 v9, 0x3ca908c9
	v_fmac_f32_e32 v9, 0xbbbac73d, v8
	v_fma_f32 v9, v8, v9, v191
	v_fma_f32 v9, v8, v9, v192
	;; [unrolled: 1-line block ×3, first 2 shown]
	v_mul_f32_e64 v9, |v4|, v9
	v_fma_f32 v8, v8, v9, |v4|
; %bb.69:                               ;   in Loop: Header=BB30_14 Depth=1
	s_or_b64 exec, exec, s[10:11]
	v_cmp_nlt_f32_e64 s[10:11], |v5|, s43
                                        ; implicit-def: $vgpr9
	s_and_saveexec_b64 s[74:75], s[10:11]
	s_xor_b64 s[10:11], exec, s[74:75]
	s_cbranch_execz .LBB30_71
; %bb.70:                               ;   in Loop: Header=BB30_14 Depth=1
	v_add_f32_e64 v9, |v5|, |v5|
	v_mul_f32_e32 v10, 0x3fb8aa3b, v9
	v_rndne_f32_e32 v11, v10
	v_sub_f32_e32 v12, v10, v11
	v_fma_f32 v10, v9, s67, -v10
	v_fmac_f32_e32 v10, 0x32a5705f, v9
	v_add_f32_e32 v10, v12, v10
	v_cvt_i32_f32_e32 v11, v11
	v_exp_f32_e32 v10, v10
	v_cmp_ngt_f32_e32 vcc, s95, v9
	v_ldexp_f32 v10, v10, v11
	v_cndmask_b32_e32 v10, 0, v10, vcc
	v_cmp_nlt_f32_e32 vcc, s56, v9
	v_cndmask_b32_e32 v9, v186, v10, vcc
	v_add_f32_e32 v9, 1.0, v9
	v_rcp_f32_e32 v9, v9
	v_fma_f32 v9, v9, -2.0, 1.0
.LBB30_71:                              ;   in Loop: Header=BB30_14 Depth=1
	s_andn2_saveexec_b64 s[10:11], s[10:11]
; %bb.72:                               ;   in Loop: Header=BB30_14 Depth=1
	v_mul_f32_e32 v9, v5, v5
	v_mov_b32_e32 v10, 0x3ca908c9
	v_fmac_f32_e32 v10, 0xbbbac73d, v9
	v_fma_f32 v10, v9, v10, v191
	v_fma_f32 v10, v9, v10, v192
	;; [unrolled: 1-line block ×3, first 2 shown]
	v_mul_f32_e64 v10, |v5|, v10
	v_fma_f32 v9, v9, v10, |v5|
; %bb.73:                               ;   in Loop: Header=BB30_14 Depth=1
	s_or_b64 exec, exec, s[10:11]
	v_bfi_b32 v4, s59, v8, v4
	v_and_b32_e32 v8, 64, v238
	v_bfi_b32 v2, s59, v6, v2
	v_bfi_b32 v5, s59, v9, v5
	v_add_u32_e32 v6, 0x8400, v122
	v_add_u32_e32 v8, 64, v8
	v_xor_b32_e32 v9, 32, v238
	v_bfi_b32 v3, s59, v7, v3
	ds_read2_b32 v[6:7], v6 offset1:1
	v_cmp_lt_i32_e32 vcc, v9, v8
	v_cndmask_b32_e32 v9, v238, v9, vcc
	v_lshlrev_b32_e32 v35, 2, v9
	v_xor_b32_e32 v9, 16, v238
	v_cmp_lt_i32_e32 vcc, v9, v8
	v_cndmask_b32_e32 v8, v238, v9, vcc
	v_lshlrev_b32_e32 v43, 2, v8
	s_waitcnt lgkmcnt(0)
	v_cvt_f32_f16_e32 v8, v6
	v_cvt_f32_f16_sdwa v9, v6 dst_sel:DWORD dst_unused:UNUSED_PAD src0_sel:WORD_1
	s_mul_hi_i32 s9, s8, s30
	s_mul_i32 s8, s8, s30
	s_lshl_b64 s[8:9], s[8:9], 2
	v_pk_fma_f32 v[8:9], v[2:3], s[34:35], v[8:9]
	v_add_f32_e32 v2, 0x40051340, v8
	v_add_f32_e32 v3, 0x40051340, v9
	v_max3_f32 v6, v34, v2, v3
	v_cvt_f32_f16_e32 v2, v7
	v_cvt_f32_f16_sdwa v3, v7 dst_sel:DWORD dst_unused:UNUSED_PAD src0_sel:WORD_1
	s_add_u32 s8, s79, s8
	s_addc_u32 s9, s80, s9
	s_cmp_eq_u64 s[72:73], 0
	v_pk_fma_f32 v[4:5], v[4:5], s[34:35], v[2:3]
	v_add_f32_e32 v2, 0x40051340, v4
	v_add_f32_e32 v3, 0x40051340, v5
	v_max3_f32 v2, v6, v2, v3
	ds_bpermute_b32 v3, v35, v2
	s_waitcnt lgkmcnt(0)
	v_max_f32_e32 v3, v3, v3
	v_max_f32_e32 v2, v2, v3
	ds_bpermute_b32 v3, v43, v2
	s_waitcnt lgkmcnt(0)
	v_max_f32_e32 v3, v3, v3
	v_max_f32_e32 v2, v2, v3
	v_pk_add_f32 v[6:7], v[8:9], v[2:3] op_sel_hi:[1,0] neg_lo:[0,1] neg_hi:[0,1]
	v_mul_f32_e32 v3, 0x3fb8aa3b, v7
	v_fma_f32 v8, v7, s67, -v3
	v_rndne_f32_e32 v9, v3
	v_fmac_f32_e32 v8, 0x32a5705f, v7
	v_sub_f32_e32 v3, v3, v9
	v_add_f32_e32 v3, v3, v8
	v_exp_f32_e32 v3, v3
	v_cvt_i32_f32_e32 v8, v9
	v_cmp_ngt_f32_e32 vcc, s95, v7
	v_ldexp_f32 v3, v3, v8
	v_cndmask_b32_e32 v3, 0, v3, vcc
	v_cmp_nlt_f32_e32 vcc, s56, v7
	v_cndmask_b32_e32 v10, v186, v3, vcc
	v_mul_f32_e32 v3, 0x3fb8aa3b, v6
	v_fma_f32 v7, v6, s67, -v3
	v_rndne_f32_e32 v8, v3
	v_fmac_f32_e32 v7, 0x32a5705f, v6
	v_sub_f32_e32 v3, v3, v8
	v_add_f32_e32 v3, v3, v7
	v_exp_f32_e32 v3, v3
	v_cvt_i32_f32_e32 v7, v8
	v_cmp_ngt_f32_e32 vcc, s95, v6
	v_ldexp_f32 v3, v3, v7
	v_cndmask_b32_e32 v3, 0, v3, vcc
	v_cmp_nlt_f32_e32 vcc, s56, v6
	v_pk_add_f32 v[4:5], v[4:5], v[2:3] op_sel_hi:[1,0] neg_lo:[0,1] neg_hi:[0,1]
	v_cndmask_b32_e32 v11, v186, v3, vcc
	v_mul_f32_e32 v3, 0x3fb8aa3b, v5
	v_fma_f32 v6, v5, s67, -v3
	v_rndne_f32_e32 v7, v3
	v_fmac_f32_e32 v6, 0x32a5705f, v5
	v_sub_f32_e32 v3, v3, v7
	v_add_f32_e32 v3, v3, v6
	v_exp_f32_e32 v3, v3
	v_cvt_i32_f32_e32 v6, v7
	v_cmp_ngt_f32_e32 vcc, s95, v5
	v_ldexp_f32 v3, v3, v6
	v_cndmask_b32_e32 v3, 0, v3, vcc
	v_cmp_nlt_f32_e32 vcc, s56, v5
	v_cndmask_b32_e32 v82, v186, v3, vcc
	v_mul_f32_e32 v3, 0x3fb8aa3b, v4
	v_fma_f32 v5, v4, s67, -v3
	v_rndne_f32_e32 v6, v3
	v_fmac_f32_e32 v5, 0x32a5705f, v4
	v_sub_f32_e32 v3, v3, v6
	v_add_f32_e32 v3, v3, v5
	v_exp_f32_e32 v3, v3
	v_cvt_i32_f32_e32 v5, v6
	v_cmp_ngt_f32_e32 vcc, s95, v4
	v_ldexp_f32 v3, v3, v5
	v_cndmask_b32_e32 v3, 0, v3, vcc
	v_cmp_nlt_f32_e32 vcc, s56, v4
	v_sub_f32_e32 v4, v34, v2
	v_mul_f32_e32 v5, 0x3fb8aa3b, v4
	v_fma_f32 v6, v4, s67, -v5
	v_rndne_f32_e32 v7, v5
	v_fmac_f32_e32 v6, 0x32a5705f, v4
	v_sub_f32_e32 v5, v5, v7
	v_add_f32_e32 v5, v5, v6
	v_exp_f32_e32 v5, v5
	v_cvt_i32_f32_e32 v6, v7
	v_cndmask_b32_e32 v83, v186, v3, vcc
	v_cmp_ngt_f32_e32 vcc, s95, v4
	v_add_f32_e32 v3, v11, v10
	v_ldexp_f32 v5, v5, v6
	v_cndmask_b32_e32 v5, 0, v5, vcc
	v_cmp_nlt_f32_e32 vcc, s56, v4
	v_cndmask_b32_e32 v5, v186, v5, vcc
	v_cmp_le_f32_e32 vcc, s66, v4
	v_cndmask_b32_e32 v4, 0, v5, vcc
	v_cvt_f16_f32_e32 v36, v4
	v_cvt_f16_f32_e32 v11, v11
	;; [unrolled: 1-line block ×3, first 2 shown]
	v_add_f32_e32 v3, v83, v3
	v_add_f32_e32 v3, v82, v3
	v_fmac_f32_e32 v3, v85, v4
	v_pk_mul_f16 v4, v36, v77 op_sel_hi:[0,1]
	v_pack_b32_f16 v10, v11, v10
	v_cvt_f16_f32_e32 v11, v82
	v_cvt_f16_f32_e32 v77, v83
	v_pk_mul_f16 v5, v36, v79 op_sel_hi:[0,1]
	v_mov_b32_e32 v79, s9
	v_pk_mul_f16 v6, v36, v84 op_sel_hi:[0,1]
	v_pack_b32_f16 v11, v77, v11
	v_add_co_u32_e32 v77, vcc, s8, v44
	v_addc_co_u32_e32 v79, vcc, v79, v45, vcc
	v_add_co_u32_e32 v82, vcc, v77, v127
	v_addc_co_u32_e32 v83, vcc, 0, v79, vcc
	global_load_dwordx4 v[82:85], v[82:83], off
	v_add_co_u32_e32 v77, vcc, s8, v46
	v_mov_b32_e32 v79, s9
	v_addc_co_u32_e32 v79, vcc, v79, v47, vcc
	v_pk_mul_f16 v1, v36, v1 op_sel_hi:[0,1]
	v_pk_mul_f16 v8, v36, v90 op_sel_hi:[0,1]
	;; [unrolled: 1-line block ×29, first 2 shown]
	s_waitcnt vmcnt(0)
	ds_write_b128 v120, v[82:85]
	v_add_co_u32_e32 v82, vcc, v77, v127
	v_addc_co_u32_e32 v83, vcc, 0, v79, vcc
	global_load_dwordx4 v[82:85], v[82:83], off
	v_add_co_u32_e32 v77, vcc, s8, v48
	v_mov_b32_e32 v79, s9
	v_addc_co_u32_e32 v79, vcc, v79, v49, vcc
	s_waitcnt vmcnt(0)
	ds_write_b128 v240, v[82:85]
	v_add_co_u32_e32 v82, vcc, v77, v127
	v_addc_co_u32_e32 v83, vcc, 0, v79, vcc
	global_load_dwordx4 v[82:85], v[82:83], off
	v_add_co_u32_e32 v77, vcc, s8, v50
	v_mov_b32_e32 v79, s9
	v_addc_co_u32_e32 v79, vcc, v79, v51, vcc
	;; [unrolled: 8-line block ×6, first 2 shown]
	s_cselect_b64 s[8:9], -1, 0
	s_xor_b64 s[10:11], s[0:1], -1
	s_or_b64 s[8:9], s[10:11], s[8:9]
	s_waitcnt vmcnt(0)
	ds_write_b128 v245, v[82:85]
	v_add_co_u32_e32 v82, vcc, v77, v127
	v_addc_co_u32_e32 v83, vcc, 0, v79, vcc
	global_load_dwordx4 v[82:85], v[82:83], off
	s_waitcnt vmcnt(0)
	ds_write_b128 v246, v[82:85]
	s_waitcnt lgkmcnt(0)
	s_barrier
	ds_read_u16 v77, v124 offset:528
	ds_read_u16 v79, v124 offset:1056
	v_cvt_f32_f16_e32 v84, v1
	v_cvt_f32_f16_sdwa v85, v1 dst_sel:DWORD dst_unused:UNUSED_PAD src0_sel:WORD_1
	ds_read_u16 v1, v125
	ds_read_u16 v88, v125 offset:32
	v_cvt_f32_f16_e32 v82, v4
	v_cvt_f32_f16_sdwa v83, v4 dst_sel:DWORD dst_unused:UNUSED_PAD src0_sel:WORD_1
	s_waitcnt lgkmcnt(1)
	v_perm_b32 v87, v1, v79, s7
	ds_read_u16 v1, v123
	ds_read_u16 v79, v123 offset:32
	v_accvgpr_write_b32 a0, v82
	v_accvgpr_write_b32 a1, v83
	;; [unrolled: 1-line block ×3, first 2 shown]
	s_waitcnt lgkmcnt(1)
	v_perm_b32 v86, v77, v1, s7
	v_accvgpr_write_b32 a3, v85
	v_cvt_f32_f16_sdwa v83, v6 dst_sel:DWORD dst_unused:UNUSED_PAD src0_sel:WORD_1
	v_cvt_f32_f16_e32 v84, v5
	v_mfma_f32_16x16x16f16 a[0:3], v[86:87], v[10:11], a[0:3]
	v_cvt_f32_f16_sdwa v85, v5 dst_sel:DWORD dst_unused:UNUSED_PAD src0_sel:WORD_1
	s_nop 7
	s_nop 1
	v_accvgpr_read_b32 v1, a0
	v_accvgpr_read_b32 v4, a1
	;; [unrolled: 1-line block ×4, first 2 shown]
	v_cvt_f16_f32_e32 v1, v1
	v_cvt_f16_f32_e32 v4, v4
	;; [unrolled: 1-line block ×4, first 2 shown]
	v_pack_b32_f16 v4, v1, v4
	v_pack_b32_f16 v1, v77, v82
	ds_read_u16 v77, v247 offset:528
	ds_read_u16 v86, v247 offset:1056
	v_cvt_f32_f16_e32 v82, v6
	s_waitcnt lgkmcnt(0)
	v_perm_b32 v87, v88, v86, s7
	v_perm_b32 v86, v77, v79, s7
	v_accvgpr_write_b32 a0, v82
	v_accvgpr_write_b32 a1, v83
	;; [unrolled: 1-line block ×4, first 2 shown]
	v_cvt_f32_f16_e32 v82, v8
	v_cvt_f32_f16_sdwa v83, v8 dst_sel:DWORD dst_unused:UNUSED_PAD src0_sel:WORD_1
	v_mfma_f32_16x16x16f16 a[0:3], v[86:87], v[10:11], a[0:3]
	v_cvt_f32_f16_e32 v84, v7
	v_cvt_f32_f16_sdwa v85, v7 dst_sel:DWORD dst_unused:UNUSED_PAD src0_sel:WORD_1
	s_nop 7
	s_nop 0
	v_accvgpr_read_b32 v5, a0
	v_accvgpr_read_b32 v6, a1
	v_accvgpr_read_b32 v77, a2
	v_accvgpr_read_b32 v79, a3
	v_cvt_f16_f32_e32 v5, v5
	v_cvt_f16_f32_e32 v6, v6
	v_cvt_f16_f32_e32 v77, v77
	v_cvt_f16_f32_e32 v79, v79
	v_accvgpr_write_b32 a0, v82
	v_pack_b32_f16 v6, v5, v6
	v_accvgpr_write_b32 a1, v83
	v_pack_b32_f16 v5, v77, v79
	ds_read_u16 v77, v123 offset:64
	ds_read_u16 v79, v248 offset:528
	ds_read_u16 v86, v248 offset:1056
	ds_read_u16 v87, v125 offset:64
	v_accvgpr_write_b32 a2, v84
	v_accvgpr_write_b32 a3, v85
	v_cvt_f32_f16_e32 v82, v12
	v_cvt_f32_f16_sdwa v83, v12 dst_sel:DWORD dst_unused:UNUSED_PAD src0_sel:WORD_1
	s_waitcnt lgkmcnt(0)
	v_perm_b32 v87, v87, v86, s7
	v_perm_b32 v86, v79, v77, s7
	v_cvt_f32_f16_e32 v84, v9
	v_cvt_f32_f16_sdwa v85, v9 dst_sel:DWORD dst_unused:UNUSED_PAD src0_sel:WORD_1
	v_mfma_f32_16x16x16f16 a[0:3], v[86:87], v[10:11], a[0:3]
	s_nop 7
	s_nop 2
	v_accvgpr_read_b32 v7, a0
	v_accvgpr_read_b32 v8, a1
	v_accvgpr_read_b32 v77, a2
	v_accvgpr_read_b32 v79, a3
	v_cvt_f16_f32_e32 v7, v7
	v_cvt_f16_f32_e32 v8, v8
	v_cvt_f16_f32_e32 v77, v77
	v_cvt_f16_f32_e32 v79, v79
	v_accvgpr_write_b32 a0, v82
	v_pack_b32_f16 v8, v7, v8
	v_accvgpr_write_b32 a1, v83
	v_pack_b32_f16 v7, v77, v79
	ds_read_u16 v77, v123 offset:96
	ds_read_u16 v79, v249 offset:528
	ds_read_u16 v86, v249 offset:1056
	ds_read_u16 v87, v125 offset:96
	v_accvgpr_write_b32 a2, v84
	v_accvgpr_write_b32 a3, v85
	v_cvt_f32_f16_e32 v82, v14
	v_cvt_f32_f16_sdwa v83, v14 dst_sel:DWORD dst_unused:UNUSED_PAD src0_sel:WORD_1
	s_waitcnt lgkmcnt(0)
	v_perm_b32 v87, v87, v86, s7
	v_perm_b32 v86, v79, v77, s7
	v_cvt_f32_f16_e32 v84, v13
	v_cvt_f32_f16_sdwa v85, v13 dst_sel:DWORD dst_unused:UNUSED_PAD src0_sel:WORD_1
	v_mfma_f32_16x16x16f16 a[0:3], v[86:87], v[10:11], a[0:3]
	;; [unrolled: 28-line block ×12, first 2 shown]
	s_nop 7
	s_nop 2
	v_accvgpr_read_b32 v31, a0
	v_accvgpr_read_b32 v32, a1
	;; [unrolled: 1-line block ×4, first 2 shown]
	v_cvt_f16_f32_e32 v31, v31
	v_cvt_f16_f32_e32 v32, v32
	;; [unrolled: 1-line block ×4, first 2 shown]
	v_accvgpr_write_b32 a0, v82
	v_pack_b32_f16 v32, v31, v32
	v_accvgpr_write_b32 a1, v83
	v_pack_b32_f16 v31, v77, v79
	ds_read_u16 v77, v123 offset:448
	ds_read_u16 v79, v200 offset:528
	;; [unrolled: 1-line block ×4, first 2 shown]
	v_accvgpr_write_b32 a2, v84
	v_accvgpr_write_b32 a3, v85
	v_cvt_f32_f16_e32 v84, v37
	v_cvt_f32_f16_sdwa v85, v37 dst_sel:DWORD dst_unused:UNUSED_PAD src0_sel:WORD_1
	s_waitcnt lgkmcnt(0)
	v_perm_b32 v87, v87, v86, s7
	v_perm_b32 v86, v79, v77, s7
	s_nop 1
	v_mfma_f32_16x16x16f16 a[0:3], v[86:87], v[10:11], a[0:3]
	v_cvt_f32_f16_e32 v86, v36
	v_cvt_f32_f16_sdwa v87, v36 dst_sel:DWORD dst_unused:UNUSED_PAD src0_sel:WORD_1
	s_nop 7
	s_nop 0
	v_accvgpr_read_b32 v33, a0
	v_accvgpr_read_b32 v34, a1
	;; [unrolled: 1-line block ×4, first 2 shown]
	v_cvt_f16_f32_e32 v33, v33
	v_cvt_f16_f32_e32 v34, v34
	;; [unrolled: 1-line block ×4, first 2 shown]
	v_accvgpr_write_b32 a0, v84
	v_pack_b32_f16 v34, v33, v34
	v_accvgpr_write_b32 a1, v85
	v_pack_b32_f16 v33, v77, v79
	ds_read_u16 v77, v123 offset:480
	ds_read_u16 v79, v195 offset:528
	;; [unrolled: 1-line block ×4, first 2 shown]
	v_accvgpr_write_b32 a2, v86
	v_accvgpr_write_b32 a3, v87
	s_waitcnt lgkmcnt(2)
	v_perm_b32 v36, v79, v77, s7
	s_waitcnt lgkmcnt(0)
	v_perm_b32 v37, v83, v82, s7
	s_barrier
	s_nop 0
	v_mfma_f32_16x16x16f16 a[0:3], v[36:37], v[10:11], a[0:3]
	s_nop 7
	s_nop 2
	v_accvgpr_read_b32 v10, a0
	v_accvgpr_read_b32 v11, a1
	;; [unrolled: 1-line block ×4, first 2 shown]
	v_cvt_f16_f32_e32 v10, v10
	v_cvt_f16_f32_e32 v11, v11
	v_cvt_f16_f32_e32 v36, v36
	v_cvt_f16_f32_e32 v37, v37
	v_pack_b32_f16 v10, v10, v11
	v_pack_b32_f16 v11, v36, v37
	ds_bpermute_b32 v36, v35, v3
	s_waitcnt lgkmcnt(0)
	v_add_f32_e32 v3, v3, v36
	ds_bpermute_b32 v36, v43, v3
	s_waitcnt lgkmcnt(0)
	v_add_f32_e32 v3, v3, v36
	s_and_saveexec_b64 s[10:11], s[8:9]
	s_xor_b64 s[8:9], exec, s[10:11]
	s_andn2_saveexec_b64 s[8:9], s[8:9]
	s_cbranch_execz .LBB30_75
; %bb.74:                               ;   in Loop: Header=BB30_14 Depth=1
	v_lshlrev_b32_e32 v36, 2, v78
	global_load_dword v37, v36, s[72:73]
	v_max_f32_e32 v77, v2, v2
	s_waitcnt vmcnt(0)
	v_max_f32_e32 v36, v37, v37
	v_max_f32_e32 v36, v77, v36
	v_sub_f32_e32 v2, v2, v36
	v_mul_f32_e32 v77, 0x3fb8aa3b, v2
	v_fma_f32 v79, v2, s67, -v77
	v_rndne_f32_e32 v82, v77
	v_fmac_f32_e32 v79, 0x32a5705f, v2
	v_sub_f32_e32 v77, v77, v82
	v_add_f32_e32 v77, v77, v79
	v_exp_f32_e32 v77, v77
	v_cvt_i32_f32_e32 v79, v82
	v_cmp_ngt_f32_e32 vcc, s95, v2
	v_sub_f32_e32 v37, v37, v36
	v_ldexp_f32 v77, v77, v79
	v_cndmask_b32_e32 v77, 0, v77, vcc
	v_cmp_nlt_f32_e32 vcc, s56, v2
	v_cndmask_b32_e32 v77, v186, v77, vcc
	v_cmp_le_f32_e32 vcc, s66, v2
	v_cndmask_b32_e32 v2, 0, v77, vcc
	v_cvt_f16_f32_e32 v77, v2
	v_cmp_ngt_f32_e32 vcc, s95, v37
	v_pk_mul_f16 v4, v77, v4 op_sel_hi:[0,1]
	v_pk_mul_f16 v1, v77, v1 op_sel_hi:[0,1]
	;; [unrolled: 1-line block ×32, first 2 shown]
	v_mul_f32_e32 v77, 0x3fb8aa3b, v37
	v_fma_f32 v79, v37, s67, -v77
	v_rndne_f32_e32 v82, v77
	v_fmac_f32_e32 v79, 0x32a5705f, v37
	v_sub_f32_e32 v77, v77, v82
	v_add_f32_e32 v77, v77, v79
	v_exp_f32_e32 v77, v77
	v_cvt_i32_f32_e32 v79, v82
	v_ldexp_f32 v77, v77, v79
	v_cndmask_b32_e32 v77, 0, v77, vcc
	v_cmp_nlt_f32_e32 vcc, s56, v37
	v_cndmask_b32_e32 v37, v186, v77, vcc
	v_fmac_f32_e32 v37, v3, v2
	v_pk_mov_b32 v[2:3], v[36:37], v[36:37] op_sel:[0,1]
.LBB30_75:                              ;   in Loop: Header=BB30_14 Depth=1
	s_or_b64 exec, exec, s[8:9]
	s_and_saveexec_b64 s[8:9], s[4:5]
	s_cbranch_execz .LBB30_77
; %bb.76:                               ;   in Loop: Header=BB30_14 Depth=1
	v_add_u32_e32 v36, 0, v130
	ds_write2_b32 v36, v2, v3 offset0:128 offset1:129
.LBB30_77:                              ;   in Loop: Header=BB30_14 Depth=1
	s_or_b64 exec, exec, s[8:9]
	s_waitcnt lgkmcnt(0)
	s_barrier
	s_and_saveexec_b64 s[8:9], s[2:3]
	s_xor_b64 s[8:9], exec, s[8:9]
	s_cbranch_execz .LBB30_79
; %bb.78:                               ;   in Loop: Header=BB30_14 Depth=1
	s_barrier
	s_waitcnt lgkmcnt(0)
                                        ; implicit-def: $vgpr35
                                        ; implicit-def: $vgpr43
.LBB30_79:                              ;   in Loop: Header=BB30_14 Depth=1
	s_andn2_saveexec_b64 s[8:9], s[8:9]
	s_cbranch_execz .LBB30_83
; %bb.80:                               ;   in Loop: Header=BB30_14 Depth=1
	v_add_u32_e32 v3, 0, v131
	ds_read_b64 v[36:37], v3 offset:512
	s_waitcnt lgkmcnt(0)
	s_barrier
	ds_bpermute_b32 v2, v35, v36
	v_max_f32_e32 v77, v36, v36
	s_waitcnt lgkmcnt(0)
	v_max_f32_e32 v2, v2, v2
	v_max_f32_e32 v2, v77, v2
	ds_bpermute_b32 v77, v43, v2
	s_waitcnt lgkmcnt(0)
	v_max_f32_e32 v77, v77, v77
	v_max_f32_e32 v2, v2, v77
	v_sub_f32_e32 v36, v36, v2
	v_mul_f32_e32 v77, 0x3fb8aa3b, v36
	v_fma_f32 v79, v36, s67, -v77
	v_rndne_f32_e32 v82, v77
	v_fmac_f32_e32 v79, 0x32a5705f, v36
	v_sub_f32_e32 v77, v77, v82
	v_add_f32_e32 v77, v77, v79
	v_cvt_i32_f32_e32 v82, v82
	v_exp_f32_e32 v77, v77
	v_cmp_ngt_f32_e32 vcc, s95, v36
	v_ldexp_f32 v77, v77, v82
	v_cndmask_b32_e32 v77, 0, v77, vcc
	v_cmp_nlt_f32_e32 vcc, s56, v36
	v_cndmask_b32_e32 v36, v186, v77, vcc
	v_mul_f32_e32 v77, v37, v36
	ds_bpermute_b32 v35, v35, v77
	s_waitcnt lgkmcnt(0)
	v_fmac_f32_e32 v35, v37, v36
	ds_bpermute_b32 v37, v43, v35
	s_waitcnt lgkmcnt(0)
	v_add_f32_e32 v37, v35, v37
	ds_write_b64 v3, v[36:37] offset:512
	s_and_saveexec_b64 s[10:11], s[4:5]
	s_cbranch_execz .LBB30_82
; %bb.81:                               ;   in Loop: Header=BB30_14 Depth=1
	v_mov_b32_e32 v3, v37
	global_store_dwordx2 v[40:41], v[2:3], off
.LBB30_82:                              ;   in Loop: Header=BB30_14 Depth=1
	s_or_b64 exec, exec, s[10:11]
.LBB30_83:                              ;   in Loop: Header=BB30_14 Depth=1
	s_or_b64 exec, exec, s[8:9]
	ds_write2_b32 v132, v4, v1 offset1:1
	ds_write2_b32 v132, v6, v5 offset0:8 offset1:9
	ds_write2_b32 v132, v8, v7 offset0:16 offset1:17
	;; [unrolled: 1-line block ×15, first 2 shown]
	s_waitcnt lgkmcnt(0)
	s_barrier
	s_and_saveexec_b64 s[74:75], s[0:1]
	s_cbranch_execz .LBB30_161
; %bb.84:                               ;   in Loop: Header=BB30_14 Depth=1
	v_add_u32_e32 v2, s53, v190
	v_or_b32_e32 v1, s6, v194
	v_cmp_gt_i32_e64 s[8:9], s28, v2
	v_cmp_gt_i32_e32 vcc, s33, v1
	s_and_b64 s[8:9], s[8:9], vcc
	v_mov_b32_e32 v1, 0x47
	s_and_saveexec_b64 s[10:11], s[8:9]
	s_cbranch_execz .LBB30_86
; %bb.85:                               ;   in Loop: Header=BB30_14 Depth=1
	v_mul_lo_u32 v1, v2, s29
	v_add_lshl_u32 v1, v1, v194, 7
	v_add_u32_e32 v4, 0, v134
	v_add_u32_e32 v10, v38, v1
	ds_read2st64_b32 v[2:3], v4 offset0:2 offset1:35
	ds_read2st64_b32 v[4:5], v4 offset0:68 offset1:101
	ds_read2st64_b32 v[6:7], v133 offset1:1
	ds_read2st64_b32 v[8:9], v133 offset0:33 offset1:66
	ds_read_b32 v16, v133 offset:25344
	v_ashrrev_i32_e32 v11, 31, v10
	v_lshlrev_b64 v[10:11], 3, v[10:11]
	v_add_co_u32_e64 v10, s[8:9], s57, v10
	v_mov_b32_e32 v12, s51
	v_addc_co_u32_e64 v11, s[8:9], v12, v11, s[8:9]
	s_waitcnt lgkmcnt(2)
	v_cvt_f32_f16_sdwa v13, v6 dst_sel:DWORD dst_unused:UNUSED_PAD src0_sel:WORD_1
	v_cvt_f32_f16_e32 v12, v6
	s_waitcnt lgkmcnt(1)
	v_cvt_f32_f16_sdwa v15, v8 dst_sel:DWORD dst_unused:UNUSED_PAD src0_sel:WORD_1
	v_cvt_f32_f16_e32 v14, v8
	v_mov_b32_e32 v6, v3
	v_pk_fma_f32 v[12:13], v[2:3], v[12:13], 0 op_sel_hi:[0,1,0]
	v_ashrrev_i32_e32 v3, 31, v1
	v_pk_fma_f32 v[12:13], v[6:7], v[14:15], v[12:13] op_sel_hi:[0,1,1]
	v_cvt_f32_f16_sdwa v15, v9 dst_sel:DWORD dst_unused:UNUSED_PAD src0_sel:WORD_1
	v_cvt_f32_f16_e32 v14, v9
	v_pk_fma_f32 v[8:9], v[4:5], v[14:15], v[12:13] op_sel_hi:[0,1,1]
	s_waitcnt lgkmcnt(0)
	v_cvt_f32_f16_sdwa v13, v16 dst_sel:DWORD dst_unused:UNUSED_PAD src0_sel:WORD_1
	v_cvt_f32_f16_e32 v12, v16
	v_mov_b32_e32 v14, v5
	v_pk_fma_f32 v[8:9], v[14:15], v[12:13], v[8:9] op_sel_hi:[0,1,1]
	global_store_dwordx2 v[10:11], v[8:9], off
	ds_read2st64_b32 v[8:9], v135 offset0:33 offset1:66
	ds_read_b32 v15, v135 offset:25344
	v_cvt_f32_f16_sdwa v13, v7 dst_sel:DWORD dst_unused:UNUSED_PAD src0_sel:WORD_1
	v_cvt_f32_f16_e32 v12, v7
	v_add_co_u32_e64 v10, s[8:9], v38, v1
	v_addc_co_u32_e64 v11, s[8:9], 0, v3, s[8:9]
	v_pk_fma_f32 v[2:3], v[2:3], v[12:13], 0 op_sel_hi:[0,1,0]
	s_waitcnt lgkmcnt(1)
	v_cvt_f32_f16_sdwa v13, v8 dst_sel:DWORD dst_unused:UNUSED_PAD src0_sel:WORD_1
	v_cvt_f32_f16_e32 v12, v8
	v_lshlrev_b64 v[10:11], 3, v[10:11]
	v_add_co_u32_e64 v10, s[8:9], s57, v10
	v_pk_fma_f32 v[2:3], v[6:7], v[12:13], v[2:3] op_sel_hi:[0,1,1]
	v_cvt_f32_f16_sdwa v7, v9 dst_sel:DWORD dst_unused:UNUSED_PAD src0_sel:WORD_1
	v_cvt_f32_f16_e32 v6, v9
	v_mov_b32_e32 v1, s51
	v_addc_co_u32_e64 v11, s[8:9], v1, v11, s[8:9]
	v_pk_fma_f32 v[2:3], v[4:5], v[6:7], v[2:3] op_sel_hi:[0,1,1]
	s_waitcnt lgkmcnt(0)
	v_cvt_f32_f16_sdwa v5, v15 dst_sel:DWORD dst_unused:UNUSED_PAD src0_sel:WORD_1
	v_cvt_f32_f16_e32 v4, v15
	v_mov_b32_e32 v1, 0
	v_pk_fma_f32 v[2:3], v[14:15], v[4:5], v[2:3] op_sel_hi:[0,1,1]
	global_store_dwordx2 v[10:11], v[2:3], off offset:512
.LBB30_86:                              ;   in Loop: Header=BB30_14 Depth=1
	s_or_b64 exec, exec, s[10:11]
	s_movk_i32 s8, 0x47
	v_cmp_gt_i32_e64 s[8:9], s8, v1
	s_mov_b64 s[10:11], -1
	s_and_saveexec_b64 s[76:77], s[8:9]
; %bb.87:                               ;   in Loop: Header=BB30_14 Depth=1
	v_cmp_eq_u32_e64 s[8:9], 0, v1
	s_orn2_b64 s[10:11], s[8:9], exec
; %bb.88:                               ;   in Loop: Header=BB30_14 Depth=1
	s_or_b64 exec, exec, s[76:77]
	s_and_b64 exec, exec, s[10:11]
	s_cbranch_execz .LBB30_161
; %bb.89:                               ;   in Loop: Header=BB30_14 Depth=1
	v_add_u32_e32 v2, s53, v136
	v_or_b32_e32 v1, s6, v137
	v_cmp_gt_i32_e64 s[8:9], s28, v2
	v_cmp_gt_i32_e64 s[10:11], s33, v1
	s_and_b64 s[8:9], s[8:9], s[10:11]
	v_mov_b32_e32 v1, 0x47
	s_and_saveexec_b64 s[10:11], s[8:9]
	s_cbranch_execz .LBB30_91
; %bb.90:                               ;   in Loop: Header=BB30_14 Depth=1
	v_mul_lo_u32 v1, v2, s29
	v_add_lshl_u32 v1, v1, v137, 7
	v_accvgpr_read_b32 v2, a8
	v_add_u32_e32 v4, 0, v2
	v_add_u32_e32 v10, v38, v1
	ds_read2st64_b32 v[2:3], v4 offset0:2 offset1:35
	ds_read2st64_b32 v[4:5], v4 offset0:68 offset1:101
	ds_read2st64_b32 v[6:7], v138 offset1:1
	ds_read2st64_b32 v[8:9], v138 offset0:33 offset1:66
	ds_read_b32 v16, v138 offset:25344
	v_ashrrev_i32_e32 v11, 31, v10
	v_lshlrev_b64 v[10:11], 3, v[10:11]
	v_add_co_u32_e64 v10, s[8:9], s57, v10
	v_mov_b32_e32 v12, s51
	v_addc_co_u32_e64 v11, s[8:9], v12, v11, s[8:9]
	s_waitcnt lgkmcnt(2)
	v_cvt_f32_f16_sdwa v13, v6 dst_sel:DWORD dst_unused:UNUSED_PAD src0_sel:WORD_1
	v_cvt_f32_f16_e32 v12, v6
	s_waitcnt lgkmcnt(1)
	v_cvt_f32_f16_sdwa v15, v8 dst_sel:DWORD dst_unused:UNUSED_PAD src0_sel:WORD_1
	v_cvt_f32_f16_e32 v14, v8
	v_mov_b32_e32 v6, v3
	v_pk_fma_f32 v[12:13], v[2:3], v[12:13], 0 op_sel_hi:[0,1,0]
	v_ashrrev_i32_e32 v3, 31, v1
	v_pk_fma_f32 v[12:13], v[6:7], v[14:15], v[12:13] op_sel_hi:[0,1,1]
	v_cvt_f32_f16_sdwa v15, v9 dst_sel:DWORD dst_unused:UNUSED_PAD src0_sel:WORD_1
	v_cvt_f32_f16_e32 v14, v9
	v_pk_fma_f32 v[8:9], v[4:5], v[14:15], v[12:13] op_sel_hi:[0,1,1]
	s_waitcnt lgkmcnt(0)
	v_cvt_f32_f16_sdwa v13, v16 dst_sel:DWORD dst_unused:UNUSED_PAD src0_sel:WORD_1
	v_cvt_f32_f16_e32 v12, v16
	v_mov_b32_e32 v14, v5
	v_pk_fma_f32 v[8:9], v[14:15], v[12:13], v[8:9] op_sel_hi:[0,1,1]
	global_store_dwordx2 v[10:11], v[8:9], off
	ds_read2st64_b32 v[8:9], v115 offset0:33 offset1:66
	ds_read_b32 v15, v115 offset:25344
	v_cvt_f32_f16_sdwa v13, v7 dst_sel:DWORD dst_unused:UNUSED_PAD src0_sel:WORD_1
	v_cvt_f32_f16_e32 v12, v7
	v_add_co_u32_e64 v10, s[8:9], v38, v1
	v_addc_co_u32_e64 v11, s[8:9], 0, v3, s[8:9]
	v_pk_fma_f32 v[2:3], v[2:3], v[12:13], 0 op_sel_hi:[0,1,0]
	s_waitcnt lgkmcnt(1)
	v_cvt_f32_f16_sdwa v13, v8 dst_sel:DWORD dst_unused:UNUSED_PAD src0_sel:WORD_1
	v_cvt_f32_f16_e32 v12, v8
	v_lshlrev_b64 v[10:11], 3, v[10:11]
	v_add_co_u32_e64 v10, s[8:9], s57, v10
	v_pk_fma_f32 v[2:3], v[6:7], v[12:13], v[2:3] op_sel_hi:[0,1,1]
	v_cvt_f32_f16_sdwa v7, v9 dst_sel:DWORD dst_unused:UNUSED_PAD src0_sel:WORD_1
	v_cvt_f32_f16_e32 v6, v9
	v_mov_b32_e32 v1, s51
	v_addc_co_u32_e64 v11, s[8:9], v1, v11, s[8:9]
	v_pk_fma_f32 v[2:3], v[4:5], v[6:7], v[2:3] op_sel_hi:[0,1,1]
	s_waitcnt lgkmcnt(0)
	v_cvt_f32_f16_sdwa v5, v15 dst_sel:DWORD dst_unused:UNUSED_PAD src0_sel:WORD_1
	v_cvt_f32_f16_e32 v4, v15
	v_mov_b32_e32 v1, 0
	v_pk_fma_f32 v[2:3], v[14:15], v[4:5], v[2:3] op_sel_hi:[0,1,1]
	global_store_dwordx2 v[10:11], v[2:3], off offset:512
.LBB30_91:                              ;   in Loop: Header=BB30_14 Depth=1
	s_or_b64 exec, exec, s[10:11]
	s_movk_i32 s8, 0x47
	v_cmp_gt_i32_e64 s[8:9], s8, v1
	s_mov_b64 s[10:11], -1
	s_and_saveexec_b64 s[76:77], s[8:9]
; %bb.92:                               ;   in Loop: Header=BB30_14 Depth=1
	v_cmp_eq_u32_e64 s[8:9], 0, v1
	s_orn2_b64 s[10:11], s[8:9], exec
; %bb.93:                               ;   in Loop: Header=BB30_14 Depth=1
	s_or_b64 exec, exec, s[76:77]
	s_and_b64 exec, exec, s[10:11]
	s_cbranch_execz .LBB30_161
; %bb.94:                               ;   in Loop: Header=BB30_14 Depth=1
	v_accvgpr_read_b32 v1, a9
	v_add_u32_e32 v2, s53, v1
	v_cmp_gt_i32_e64 s[8:9], s28, v2
	s_and_b64 s[8:9], s[8:9], vcc
	v_mov_b32_e32 v1, 0x47
	s_and_saveexec_b64 s[10:11], s[8:9]
	s_cbranch_execz .LBB30_96
; %bb.95:                               ;   in Loop: Header=BB30_14 Depth=1
	v_mul_lo_u32 v1, v2, s29
	v_accvgpr_read_b32 v2, a11
	v_add_lshl_u32 v1, v1, v194, 7
	v_add_u32_e32 v4, 0, v2
	v_accvgpr_read_b32 v10, a10
	ds_read2st64_b32 v[2:3], v4 offset0:2 offset1:35
	ds_read2st64_b32 v[4:5], v4 offset0:68 offset1:101
	ds_read2st64_b32 v[6:7], v10 offset1:1
	ds_read2st64_b32 v[8:9], v10 offset0:33 offset1:66
	ds_read_b32 v16, v10 offset:25344
	v_add_u32_e32 v10, v38, v1
	v_ashrrev_i32_e32 v11, 31, v10
	v_lshlrev_b64 v[10:11], 3, v[10:11]
	v_add_co_u32_e64 v10, s[8:9], s57, v10
	v_mov_b32_e32 v12, s51
	v_addc_co_u32_e64 v11, s[8:9], v12, v11, s[8:9]
	s_waitcnt lgkmcnt(2)
	v_cvt_f32_f16_sdwa v13, v6 dst_sel:DWORD dst_unused:UNUSED_PAD src0_sel:WORD_1
	v_cvt_f32_f16_e32 v12, v6
	s_waitcnt lgkmcnt(1)
	v_cvt_f32_f16_sdwa v15, v8 dst_sel:DWORD dst_unused:UNUSED_PAD src0_sel:WORD_1
	v_cvt_f32_f16_e32 v14, v8
	v_mov_b32_e32 v6, v3
	v_pk_fma_f32 v[12:13], v[2:3], v[12:13], 0 op_sel_hi:[0,1,0]
	v_accvgpr_read_b32 v3, a12
	v_pk_fma_f32 v[12:13], v[6:7], v[14:15], v[12:13] op_sel_hi:[0,1,1]
	v_cvt_f32_f16_sdwa v15, v9 dst_sel:DWORD dst_unused:UNUSED_PAD src0_sel:WORD_1
	v_cvt_f32_f16_e32 v14, v9
	v_pk_fma_f32 v[8:9], v[4:5], v[14:15], v[12:13] op_sel_hi:[0,1,1]
	s_waitcnt lgkmcnt(0)
	v_cvt_f32_f16_sdwa v13, v16 dst_sel:DWORD dst_unused:UNUSED_PAD src0_sel:WORD_1
	v_cvt_f32_f16_e32 v12, v16
	v_mov_b32_e32 v14, v5
	v_pk_fma_f32 v[8:9], v[14:15], v[12:13], v[8:9] op_sel_hi:[0,1,1]
	global_store_dwordx2 v[10:11], v[8:9], off
	ds_read2st64_b32 v[8:9], v3 offset0:33 offset1:66
	ds_read_b32 v15, v3 offset:25344
	v_cvt_f32_f16_sdwa v13, v7 dst_sel:DWORD dst_unused:UNUSED_PAD src0_sel:WORD_1
	v_cvt_f32_f16_e32 v12, v7
	v_ashrrev_i32_e32 v3, 31, v1
	v_add_co_u32_e64 v10, s[8:9], v38, v1
	v_addc_co_u32_e64 v11, s[8:9], 0, v3, s[8:9]
	v_pk_fma_f32 v[2:3], v[2:3], v[12:13], 0 op_sel_hi:[0,1,0]
	s_waitcnt lgkmcnt(1)
	v_cvt_f32_f16_sdwa v13, v8 dst_sel:DWORD dst_unused:UNUSED_PAD src0_sel:WORD_1
	v_cvt_f32_f16_e32 v12, v8
	v_lshlrev_b64 v[10:11], 3, v[10:11]
	v_add_co_u32_e64 v10, s[8:9], s57, v10
	v_pk_fma_f32 v[2:3], v[6:7], v[12:13], v[2:3] op_sel_hi:[0,1,1]
	v_cvt_f32_f16_sdwa v7, v9 dst_sel:DWORD dst_unused:UNUSED_PAD src0_sel:WORD_1
	v_cvt_f32_f16_e32 v6, v9
	v_mov_b32_e32 v1, s51
	v_addc_co_u32_e64 v11, s[8:9], v1, v11, s[8:9]
	v_pk_fma_f32 v[2:3], v[4:5], v[6:7], v[2:3] op_sel_hi:[0,1,1]
	s_waitcnt lgkmcnt(0)
	v_cvt_f32_f16_sdwa v5, v15 dst_sel:DWORD dst_unused:UNUSED_PAD src0_sel:WORD_1
	v_cvt_f32_f16_e32 v4, v15
	v_mov_b32_e32 v1, 0
	v_pk_fma_f32 v[2:3], v[14:15], v[4:5], v[2:3] op_sel_hi:[0,1,1]
	global_store_dwordx2 v[10:11], v[2:3], off offset:512
.LBB30_96:                              ;   in Loop: Header=BB30_14 Depth=1
	s_or_b64 exec, exec, s[10:11]
	s_movk_i32 s8, 0x47
	v_cmp_gt_i32_e64 s[8:9], s8, v1
	s_mov_b64 s[10:11], -1
	s_and_saveexec_b64 s[76:77], s[8:9]
; %bb.97:                               ;   in Loop: Header=BB30_14 Depth=1
	v_cmp_eq_u32_e64 s[8:9], 0, v1
	s_orn2_b64 s[10:11], s[8:9], exec
; %bb.98:                               ;   in Loop: Header=BB30_14 Depth=1
	s_or_b64 exec, exec, s[76:77]
	s_and_b64 exec, exec, s[10:11]
	s_cbranch_execz .LBB30_161
; %bb.99:                               ;   in Loop: Header=BB30_14 Depth=1
	v_accvgpr_read_b32 v1, a13
	v_add_u32_e32 v2, s53, v1
	v_accvgpr_read_b32 v1, a14
	v_or_b32_e32 v1, s6, v1
	v_cmp_gt_i32_e64 s[8:9], s28, v2
	v_cmp_gt_i32_e64 s[10:11], s33, v1
	s_and_b64 s[8:9], s[8:9], s[10:11]
	v_mov_b32_e32 v1, 0x47
	s_and_saveexec_b64 s[10:11], s[8:9]
	s_cbranch_execz .LBB30_101
; %bb.100:                              ;   in Loop: Header=BB30_14 Depth=1
	v_mul_lo_u32 v1, v2, s29
	v_accvgpr_read_b32 v2, a14
	v_add_lshl_u32 v1, v1, v2, 7
	v_accvgpr_read_b32 v2, a16
	v_add_u32_e32 v4, 0, v2
	v_accvgpr_read_b32 v10, a15
	ds_read2st64_b32 v[2:3], v4 offset0:2 offset1:35
	ds_read2st64_b32 v[4:5], v4 offset0:68 offset1:101
	ds_read2st64_b32 v[6:7], v10 offset1:1
	ds_read2st64_b32 v[8:9], v10 offset0:33 offset1:66
	ds_read_b32 v16, v10 offset:25344
	v_add_u32_e32 v10, v38, v1
	v_ashrrev_i32_e32 v11, 31, v10
	v_lshlrev_b64 v[10:11], 3, v[10:11]
	v_add_co_u32_e64 v10, s[8:9], s57, v10
	v_mov_b32_e32 v12, s51
	v_addc_co_u32_e64 v11, s[8:9], v12, v11, s[8:9]
	s_waitcnt lgkmcnt(2)
	v_cvt_f32_f16_sdwa v13, v6 dst_sel:DWORD dst_unused:UNUSED_PAD src0_sel:WORD_1
	v_cvt_f32_f16_e32 v12, v6
	s_waitcnt lgkmcnt(1)
	v_cvt_f32_f16_sdwa v15, v8 dst_sel:DWORD dst_unused:UNUSED_PAD src0_sel:WORD_1
	v_cvt_f32_f16_e32 v14, v8
	v_mov_b32_e32 v6, v3
	v_pk_fma_f32 v[12:13], v[2:3], v[12:13], 0 op_sel_hi:[0,1,0]
	v_accvgpr_read_b32 v3, a17
	v_pk_fma_f32 v[12:13], v[6:7], v[14:15], v[12:13] op_sel_hi:[0,1,1]
	v_cvt_f32_f16_sdwa v15, v9 dst_sel:DWORD dst_unused:UNUSED_PAD src0_sel:WORD_1
	v_cvt_f32_f16_e32 v14, v9
	v_pk_fma_f32 v[8:9], v[4:5], v[14:15], v[12:13] op_sel_hi:[0,1,1]
	s_waitcnt lgkmcnt(0)
	v_cvt_f32_f16_sdwa v13, v16 dst_sel:DWORD dst_unused:UNUSED_PAD src0_sel:WORD_1
	v_cvt_f32_f16_e32 v12, v16
	v_mov_b32_e32 v14, v5
	v_pk_fma_f32 v[8:9], v[14:15], v[12:13], v[8:9] op_sel_hi:[0,1,1]
	global_store_dwordx2 v[10:11], v[8:9], off
	ds_read2st64_b32 v[8:9], v3 offset0:33 offset1:66
	ds_read_b32 v15, v3 offset:25344
	v_cvt_f32_f16_sdwa v13, v7 dst_sel:DWORD dst_unused:UNUSED_PAD src0_sel:WORD_1
	v_cvt_f32_f16_e32 v12, v7
	v_ashrrev_i32_e32 v3, 31, v1
	v_add_co_u32_e64 v10, s[8:9], v38, v1
	v_addc_co_u32_e64 v11, s[8:9], 0, v3, s[8:9]
	v_pk_fma_f32 v[2:3], v[2:3], v[12:13], 0 op_sel_hi:[0,1,0]
	s_waitcnt lgkmcnt(1)
	v_cvt_f32_f16_sdwa v13, v8 dst_sel:DWORD dst_unused:UNUSED_PAD src0_sel:WORD_1
	v_cvt_f32_f16_e32 v12, v8
	v_lshlrev_b64 v[10:11], 3, v[10:11]
	v_add_co_u32_e64 v10, s[8:9], s57, v10
	v_pk_fma_f32 v[2:3], v[6:7], v[12:13], v[2:3] op_sel_hi:[0,1,1]
	v_cvt_f32_f16_sdwa v7, v9 dst_sel:DWORD dst_unused:UNUSED_PAD src0_sel:WORD_1
	v_cvt_f32_f16_e32 v6, v9
	v_mov_b32_e32 v1, s51
	v_addc_co_u32_e64 v11, s[8:9], v1, v11, s[8:9]
	v_pk_fma_f32 v[2:3], v[4:5], v[6:7], v[2:3] op_sel_hi:[0,1,1]
	s_waitcnt lgkmcnt(0)
	v_cvt_f32_f16_sdwa v5, v15 dst_sel:DWORD dst_unused:UNUSED_PAD src0_sel:WORD_1
	v_cvt_f32_f16_e32 v4, v15
	v_mov_b32_e32 v1, 0
	v_pk_fma_f32 v[2:3], v[14:15], v[4:5], v[2:3] op_sel_hi:[0,1,1]
	global_store_dwordx2 v[10:11], v[2:3], off offset:512
.LBB30_101:                             ;   in Loop: Header=BB30_14 Depth=1
	s_or_b64 exec, exec, s[10:11]
	s_movk_i32 s8, 0x47
	v_cmp_gt_i32_e64 s[8:9], s8, v1
	s_mov_b64 s[10:11], -1
	s_and_saveexec_b64 s[76:77], s[8:9]
; %bb.102:                              ;   in Loop: Header=BB30_14 Depth=1
	v_cmp_eq_u32_e64 s[8:9], 0, v1
	s_orn2_b64 s[10:11], s[8:9], exec
; %bb.103:                              ;   in Loop: Header=BB30_14 Depth=1
	s_or_b64 exec, exec, s[76:77]
	s_and_b64 exec, exec, s[10:11]
	s_cbranch_execz .LBB30_161
; %bb.104:                              ;   in Loop: Header=BB30_14 Depth=1
	v_accvgpr_read_b32 v1, a18
	v_add_u32_e32 v2, s53, v1
	v_cmp_gt_i32_e64 s[8:9], s28, v2
	s_and_b64 s[8:9], s[8:9], vcc
	v_mov_b32_e32 v1, 0x47
	s_and_saveexec_b64 s[10:11], s[8:9]
	s_cbranch_execz .LBB30_106
; %bb.105:                              ;   in Loop: Header=BB30_14 Depth=1
	v_mul_lo_u32 v1, v2, s29
	v_accvgpr_read_b32 v2, a20
	v_add_lshl_u32 v1, v1, v194, 7
	v_add_u32_e32 v4, 0, v2
	v_accvgpr_read_b32 v10, a19
	ds_read2st64_b32 v[2:3], v4 offset0:2 offset1:35
	ds_read2st64_b32 v[4:5], v4 offset0:68 offset1:101
	ds_read2st64_b32 v[6:7], v10 offset1:1
	ds_read2st64_b32 v[8:9], v10 offset0:33 offset1:66
	ds_read_b32 v16, v10 offset:25344
	v_add_u32_e32 v10, v38, v1
	v_ashrrev_i32_e32 v11, 31, v10
	v_lshlrev_b64 v[10:11], 3, v[10:11]
	v_add_co_u32_e64 v10, s[8:9], s57, v10
	v_mov_b32_e32 v12, s51
	v_addc_co_u32_e64 v11, s[8:9], v12, v11, s[8:9]
	s_waitcnt lgkmcnt(2)
	v_cvt_f32_f16_sdwa v13, v6 dst_sel:DWORD dst_unused:UNUSED_PAD src0_sel:WORD_1
	v_cvt_f32_f16_e32 v12, v6
	s_waitcnt lgkmcnt(1)
	v_cvt_f32_f16_sdwa v15, v8 dst_sel:DWORD dst_unused:UNUSED_PAD src0_sel:WORD_1
	v_cvt_f32_f16_e32 v14, v8
	v_mov_b32_e32 v6, v3
	v_pk_fma_f32 v[12:13], v[2:3], v[12:13], 0 op_sel_hi:[0,1,0]
	v_accvgpr_read_b32 v3, a21
	v_pk_fma_f32 v[12:13], v[6:7], v[14:15], v[12:13] op_sel_hi:[0,1,1]
	v_cvt_f32_f16_sdwa v15, v9 dst_sel:DWORD dst_unused:UNUSED_PAD src0_sel:WORD_1
	v_cvt_f32_f16_e32 v14, v9
	v_pk_fma_f32 v[8:9], v[4:5], v[14:15], v[12:13] op_sel_hi:[0,1,1]
	s_waitcnt lgkmcnt(0)
	v_cvt_f32_f16_sdwa v13, v16 dst_sel:DWORD dst_unused:UNUSED_PAD src0_sel:WORD_1
	v_cvt_f32_f16_e32 v12, v16
	v_mov_b32_e32 v14, v5
	v_pk_fma_f32 v[8:9], v[14:15], v[12:13], v[8:9] op_sel_hi:[0,1,1]
	global_store_dwordx2 v[10:11], v[8:9], off
	ds_read2st64_b32 v[8:9], v3 offset0:33 offset1:66
	ds_read_b32 v15, v3 offset:25344
	v_cvt_f32_f16_sdwa v13, v7 dst_sel:DWORD dst_unused:UNUSED_PAD src0_sel:WORD_1
	v_cvt_f32_f16_e32 v12, v7
	v_ashrrev_i32_e32 v3, 31, v1
	v_add_co_u32_e64 v10, s[8:9], v38, v1
	v_addc_co_u32_e64 v11, s[8:9], 0, v3, s[8:9]
	v_pk_fma_f32 v[2:3], v[2:3], v[12:13], 0 op_sel_hi:[0,1,0]
	s_waitcnt lgkmcnt(1)
	v_cvt_f32_f16_sdwa v13, v8 dst_sel:DWORD dst_unused:UNUSED_PAD src0_sel:WORD_1
	v_cvt_f32_f16_e32 v12, v8
	v_lshlrev_b64 v[10:11], 3, v[10:11]
	v_add_co_u32_e64 v10, s[8:9], s57, v10
	v_pk_fma_f32 v[2:3], v[6:7], v[12:13], v[2:3] op_sel_hi:[0,1,1]
	v_cvt_f32_f16_sdwa v7, v9 dst_sel:DWORD dst_unused:UNUSED_PAD src0_sel:WORD_1
	v_cvt_f32_f16_e32 v6, v9
	v_mov_b32_e32 v1, s51
	v_addc_co_u32_e64 v11, s[8:9], v1, v11, s[8:9]
	v_pk_fma_f32 v[2:3], v[4:5], v[6:7], v[2:3] op_sel_hi:[0,1,1]
	s_waitcnt lgkmcnt(0)
	v_cvt_f32_f16_sdwa v5, v15 dst_sel:DWORD dst_unused:UNUSED_PAD src0_sel:WORD_1
	v_cvt_f32_f16_e32 v4, v15
	v_mov_b32_e32 v1, 0
	v_pk_fma_f32 v[2:3], v[14:15], v[4:5], v[2:3] op_sel_hi:[0,1,1]
	global_store_dwordx2 v[10:11], v[2:3], off offset:512
.LBB30_106:                             ;   in Loop: Header=BB30_14 Depth=1
	s_or_b64 exec, exec, s[10:11]
	s_movk_i32 s8, 0x47
	v_cmp_gt_i32_e64 s[8:9], s8, v1
	s_mov_b64 s[10:11], -1
	s_and_saveexec_b64 s[76:77], s[8:9]
; %bb.107:                              ;   in Loop: Header=BB30_14 Depth=1
	v_cmp_eq_u32_e64 s[8:9], 0, v1
	s_orn2_b64 s[10:11], s[8:9], exec
; %bb.108:                              ;   in Loop: Header=BB30_14 Depth=1
	s_or_b64 exec, exec, s[76:77]
	s_and_b64 exec, exec, s[10:11]
	s_cbranch_execz .LBB30_161
; %bb.109:                              ;   in Loop: Header=BB30_14 Depth=1
	v_accvgpr_read_b32 v1, a22
	v_add_u32_e32 v2, s53, v1
	v_accvgpr_read_b32 v1, a23
	v_or_b32_e32 v1, s6, v1
	v_cmp_gt_i32_e64 s[8:9], s28, v2
	v_cmp_gt_i32_e64 s[10:11], s33, v1
	s_and_b64 s[8:9], s[8:9], s[10:11]
	v_mov_b32_e32 v1, 0x47
	s_and_saveexec_b64 s[10:11], s[8:9]
	s_cbranch_execz .LBB30_111
; %bb.110:                              ;   in Loop: Header=BB30_14 Depth=1
	v_mul_lo_u32 v1, v2, s29
	v_accvgpr_read_b32 v2, a23
	v_add_lshl_u32 v1, v1, v2, 7
	v_accvgpr_read_b32 v2, a25
	v_add_u32_e32 v4, 0, v2
	v_accvgpr_read_b32 v10, a24
	ds_read2st64_b32 v[2:3], v4 offset0:2 offset1:35
	ds_read2st64_b32 v[4:5], v4 offset0:68 offset1:101
	ds_read2st64_b32 v[6:7], v10 offset1:1
	ds_read2st64_b32 v[8:9], v10 offset0:33 offset1:66
	ds_read_b32 v16, v10 offset:25344
	v_add_u32_e32 v10, v38, v1
	v_ashrrev_i32_e32 v11, 31, v10
	v_lshlrev_b64 v[10:11], 3, v[10:11]
	v_add_co_u32_e64 v10, s[8:9], s57, v10
	v_mov_b32_e32 v12, s51
	v_addc_co_u32_e64 v11, s[8:9], v12, v11, s[8:9]
	s_waitcnt lgkmcnt(2)
	v_cvt_f32_f16_sdwa v13, v6 dst_sel:DWORD dst_unused:UNUSED_PAD src0_sel:WORD_1
	v_cvt_f32_f16_e32 v12, v6
	s_waitcnt lgkmcnt(1)
	v_cvt_f32_f16_sdwa v15, v8 dst_sel:DWORD dst_unused:UNUSED_PAD src0_sel:WORD_1
	v_cvt_f32_f16_e32 v14, v8
	v_mov_b32_e32 v6, v3
	v_pk_fma_f32 v[12:13], v[2:3], v[12:13], 0 op_sel_hi:[0,1,0]
	v_accvgpr_read_b32 v3, a26
	v_pk_fma_f32 v[12:13], v[6:7], v[14:15], v[12:13] op_sel_hi:[0,1,1]
	v_cvt_f32_f16_sdwa v15, v9 dst_sel:DWORD dst_unused:UNUSED_PAD src0_sel:WORD_1
	v_cvt_f32_f16_e32 v14, v9
	v_pk_fma_f32 v[8:9], v[4:5], v[14:15], v[12:13] op_sel_hi:[0,1,1]
	s_waitcnt lgkmcnt(0)
	v_cvt_f32_f16_sdwa v13, v16 dst_sel:DWORD dst_unused:UNUSED_PAD src0_sel:WORD_1
	v_cvt_f32_f16_e32 v12, v16
	v_mov_b32_e32 v14, v5
	v_pk_fma_f32 v[8:9], v[14:15], v[12:13], v[8:9] op_sel_hi:[0,1,1]
	global_store_dwordx2 v[10:11], v[8:9], off
	ds_read2st64_b32 v[8:9], v3 offset0:33 offset1:66
	ds_read_b32 v15, v3 offset:25344
	v_cvt_f32_f16_sdwa v13, v7 dst_sel:DWORD dst_unused:UNUSED_PAD src0_sel:WORD_1
	v_cvt_f32_f16_e32 v12, v7
	v_ashrrev_i32_e32 v3, 31, v1
	v_add_co_u32_e64 v10, s[8:9], v38, v1
	v_addc_co_u32_e64 v11, s[8:9], 0, v3, s[8:9]
	v_pk_fma_f32 v[2:3], v[2:3], v[12:13], 0 op_sel_hi:[0,1,0]
	s_waitcnt lgkmcnt(1)
	v_cvt_f32_f16_sdwa v13, v8 dst_sel:DWORD dst_unused:UNUSED_PAD src0_sel:WORD_1
	v_cvt_f32_f16_e32 v12, v8
	v_lshlrev_b64 v[10:11], 3, v[10:11]
	v_add_co_u32_e64 v10, s[8:9], s57, v10
	v_pk_fma_f32 v[2:3], v[6:7], v[12:13], v[2:3] op_sel_hi:[0,1,1]
	v_cvt_f32_f16_sdwa v7, v9 dst_sel:DWORD dst_unused:UNUSED_PAD src0_sel:WORD_1
	v_cvt_f32_f16_e32 v6, v9
	v_mov_b32_e32 v1, s51
	v_addc_co_u32_e64 v11, s[8:9], v1, v11, s[8:9]
	v_pk_fma_f32 v[2:3], v[4:5], v[6:7], v[2:3] op_sel_hi:[0,1,1]
	s_waitcnt lgkmcnt(0)
	v_cvt_f32_f16_sdwa v5, v15 dst_sel:DWORD dst_unused:UNUSED_PAD src0_sel:WORD_1
	v_cvt_f32_f16_e32 v4, v15
	v_mov_b32_e32 v1, 0
	v_pk_fma_f32 v[2:3], v[14:15], v[4:5], v[2:3] op_sel_hi:[0,1,1]
	global_store_dwordx2 v[10:11], v[2:3], off offset:512
.LBB30_111:                             ;   in Loop: Header=BB30_14 Depth=1
	s_or_b64 exec, exec, s[10:11]
	s_movk_i32 s8, 0x47
	v_cmp_gt_i32_e64 s[8:9], s8, v1
	s_mov_b64 s[10:11], -1
	s_and_saveexec_b64 s[76:77], s[8:9]
; %bb.112:                              ;   in Loop: Header=BB30_14 Depth=1
	v_cmp_eq_u32_e64 s[8:9], 0, v1
	s_orn2_b64 s[10:11], s[8:9], exec
; %bb.113:                              ;   in Loop: Header=BB30_14 Depth=1
	s_or_b64 exec, exec, s[76:77]
	s_and_b64 exec, exec, s[10:11]
	s_cbranch_execz .LBB30_161
; %bb.114:                              ;   in Loop: Header=BB30_14 Depth=1
	v_accvgpr_read_b32 v1, a27
	v_add_u32_e32 v2, s53, v1
	v_cmp_gt_i32_e64 s[8:9], s28, v2
	s_and_b64 s[8:9], s[8:9], vcc
	v_mov_b32_e32 v1, 0x47
	s_and_saveexec_b64 s[10:11], s[8:9]
	s_cbranch_execz .LBB30_116
; %bb.115:                              ;   in Loop: Header=BB30_14 Depth=1
	v_mul_lo_u32 v1, v2, s29
	v_accvgpr_read_b32 v2, a29
	v_add_lshl_u32 v1, v1, v194, 7
	v_add_u32_e32 v4, 0, v2
	v_accvgpr_read_b32 v10, a28
	ds_read2st64_b32 v[2:3], v4 offset0:2 offset1:35
	ds_read2st64_b32 v[4:5], v4 offset0:68 offset1:101
	ds_read2st64_b32 v[6:7], v10 offset1:1
	ds_read2st64_b32 v[8:9], v10 offset0:33 offset1:66
	ds_read_b32 v16, v10 offset:25344
	v_add_u32_e32 v10, v38, v1
	v_ashrrev_i32_e32 v11, 31, v10
	v_lshlrev_b64 v[10:11], 3, v[10:11]
	v_add_co_u32_e64 v10, s[8:9], s57, v10
	v_mov_b32_e32 v12, s51
	v_addc_co_u32_e64 v11, s[8:9], v12, v11, s[8:9]
	s_waitcnt lgkmcnt(2)
	v_cvt_f32_f16_sdwa v13, v6 dst_sel:DWORD dst_unused:UNUSED_PAD src0_sel:WORD_1
	v_cvt_f32_f16_e32 v12, v6
	s_waitcnt lgkmcnt(1)
	v_cvt_f32_f16_sdwa v15, v8 dst_sel:DWORD dst_unused:UNUSED_PAD src0_sel:WORD_1
	v_cvt_f32_f16_e32 v14, v8
	v_mov_b32_e32 v6, v3
	v_pk_fma_f32 v[12:13], v[2:3], v[12:13], 0 op_sel_hi:[0,1,0]
	v_accvgpr_read_b32 v3, a30
	v_pk_fma_f32 v[12:13], v[6:7], v[14:15], v[12:13] op_sel_hi:[0,1,1]
	v_cvt_f32_f16_sdwa v15, v9 dst_sel:DWORD dst_unused:UNUSED_PAD src0_sel:WORD_1
	v_cvt_f32_f16_e32 v14, v9
	v_pk_fma_f32 v[8:9], v[4:5], v[14:15], v[12:13] op_sel_hi:[0,1,1]
	s_waitcnt lgkmcnt(0)
	v_cvt_f32_f16_sdwa v13, v16 dst_sel:DWORD dst_unused:UNUSED_PAD src0_sel:WORD_1
	v_cvt_f32_f16_e32 v12, v16
	v_mov_b32_e32 v14, v5
	v_pk_fma_f32 v[8:9], v[14:15], v[12:13], v[8:9] op_sel_hi:[0,1,1]
	global_store_dwordx2 v[10:11], v[8:9], off
	ds_read2st64_b32 v[8:9], v3 offset0:33 offset1:66
	ds_read_b32 v15, v3 offset:25344
	v_cvt_f32_f16_sdwa v13, v7 dst_sel:DWORD dst_unused:UNUSED_PAD src0_sel:WORD_1
	v_cvt_f32_f16_e32 v12, v7
	v_ashrrev_i32_e32 v3, 31, v1
	v_add_co_u32_e64 v10, s[8:9], v38, v1
	v_addc_co_u32_e64 v11, s[8:9], 0, v3, s[8:9]
	v_pk_fma_f32 v[2:3], v[2:3], v[12:13], 0 op_sel_hi:[0,1,0]
	s_waitcnt lgkmcnt(1)
	v_cvt_f32_f16_sdwa v13, v8 dst_sel:DWORD dst_unused:UNUSED_PAD src0_sel:WORD_1
	v_cvt_f32_f16_e32 v12, v8
	v_lshlrev_b64 v[10:11], 3, v[10:11]
	v_add_co_u32_e64 v10, s[8:9], s57, v10
	v_pk_fma_f32 v[2:3], v[6:7], v[12:13], v[2:3] op_sel_hi:[0,1,1]
	v_cvt_f32_f16_sdwa v7, v9 dst_sel:DWORD dst_unused:UNUSED_PAD src0_sel:WORD_1
	v_cvt_f32_f16_e32 v6, v9
	v_mov_b32_e32 v1, s51
	v_addc_co_u32_e64 v11, s[8:9], v1, v11, s[8:9]
	v_pk_fma_f32 v[2:3], v[4:5], v[6:7], v[2:3] op_sel_hi:[0,1,1]
	s_waitcnt lgkmcnt(0)
	v_cvt_f32_f16_sdwa v5, v15 dst_sel:DWORD dst_unused:UNUSED_PAD src0_sel:WORD_1
	v_cvt_f32_f16_e32 v4, v15
	v_mov_b32_e32 v1, 0
	v_pk_fma_f32 v[2:3], v[14:15], v[4:5], v[2:3] op_sel_hi:[0,1,1]
	global_store_dwordx2 v[10:11], v[2:3], off offset:512
.LBB30_116:                             ;   in Loop: Header=BB30_14 Depth=1
	s_or_b64 exec, exec, s[10:11]
	s_movk_i32 s8, 0x47
	v_cmp_gt_i32_e64 s[8:9], s8, v1
	s_mov_b64 s[10:11], -1
	s_and_saveexec_b64 s[76:77], s[8:9]
; %bb.117:                              ;   in Loop: Header=BB30_14 Depth=1
	v_cmp_eq_u32_e64 s[8:9], 0, v1
	s_orn2_b64 s[10:11], s[8:9], exec
; %bb.118:                              ;   in Loop: Header=BB30_14 Depth=1
	s_or_b64 exec, exec, s[76:77]
	s_and_b64 exec, exec, s[10:11]
	s_cbranch_execz .LBB30_161
; %bb.119:                              ;   in Loop: Header=BB30_14 Depth=1
	v_accvgpr_read_b32 v1, a31
	v_add_u32_e32 v2, s53, v1
	v_accvgpr_read_b32 v1, a32
	v_or_b32_e32 v1, s6, v1
	v_cmp_gt_i32_e64 s[8:9], s28, v2
	v_cmp_gt_i32_e64 s[10:11], s33, v1
	s_and_b64 s[8:9], s[8:9], s[10:11]
	v_mov_b32_e32 v1, 0x47
	s_and_saveexec_b64 s[10:11], s[8:9]
	s_cbranch_execz .LBB30_121
; %bb.120:                              ;   in Loop: Header=BB30_14 Depth=1
	v_mul_lo_u32 v1, v2, s29
	v_accvgpr_read_b32 v2, a32
	v_add_lshl_u32 v1, v1, v2, 7
	v_accvgpr_read_b32 v2, a34
	v_add_u32_e32 v4, 0, v2
	v_accvgpr_read_b32 v10, a33
	ds_read2st64_b32 v[2:3], v4 offset0:2 offset1:35
	ds_read2st64_b32 v[4:5], v4 offset0:68 offset1:101
	ds_read2st64_b32 v[6:7], v10 offset1:1
	ds_read2st64_b32 v[8:9], v10 offset0:33 offset1:66
	ds_read_b32 v16, v10 offset:25344
	v_add_u32_e32 v10, v38, v1
	v_ashrrev_i32_e32 v11, 31, v10
	v_lshlrev_b64 v[10:11], 3, v[10:11]
	v_add_co_u32_e64 v10, s[8:9], s57, v10
	v_mov_b32_e32 v12, s51
	v_addc_co_u32_e64 v11, s[8:9], v12, v11, s[8:9]
	s_waitcnt lgkmcnt(2)
	v_cvt_f32_f16_sdwa v13, v6 dst_sel:DWORD dst_unused:UNUSED_PAD src0_sel:WORD_1
	v_cvt_f32_f16_e32 v12, v6
	s_waitcnt lgkmcnt(1)
	v_cvt_f32_f16_sdwa v15, v8 dst_sel:DWORD dst_unused:UNUSED_PAD src0_sel:WORD_1
	v_cvt_f32_f16_e32 v14, v8
	v_mov_b32_e32 v6, v3
	v_pk_fma_f32 v[12:13], v[2:3], v[12:13], 0 op_sel_hi:[0,1,0]
	v_accvgpr_read_b32 v3, a35
	v_pk_fma_f32 v[12:13], v[6:7], v[14:15], v[12:13] op_sel_hi:[0,1,1]
	v_cvt_f32_f16_sdwa v15, v9 dst_sel:DWORD dst_unused:UNUSED_PAD src0_sel:WORD_1
	v_cvt_f32_f16_e32 v14, v9
	v_pk_fma_f32 v[8:9], v[4:5], v[14:15], v[12:13] op_sel_hi:[0,1,1]
	s_waitcnt lgkmcnt(0)
	v_cvt_f32_f16_sdwa v13, v16 dst_sel:DWORD dst_unused:UNUSED_PAD src0_sel:WORD_1
	v_cvt_f32_f16_e32 v12, v16
	v_mov_b32_e32 v14, v5
	v_pk_fma_f32 v[8:9], v[14:15], v[12:13], v[8:9] op_sel_hi:[0,1,1]
	global_store_dwordx2 v[10:11], v[8:9], off
	ds_read2st64_b32 v[8:9], v3 offset0:33 offset1:66
	ds_read_b32 v15, v3 offset:25344
	v_cvt_f32_f16_sdwa v13, v7 dst_sel:DWORD dst_unused:UNUSED_PAD src0_sel:WORD_1
	v_cvt_f32_f16_e32 v12, v7
	v_ashrrev_i32_e32 v3, 31, v1
	v_add_co_u32_e64 v10, s[8:9], v38, v1
	v_addc_co_u32_e64 v11, s[8:9], 0, v3, s[8:9]
	v_pk_fma_f32 v[2:3], v[2:3], v[12:13], 0 op_sel_hi:[0,1,0]
	s_waitcnt lgkmcnt(1)
	v_cvt_f32_f16_sdwa v13, v8 dst_sel:DWORD dst_unused:UNUSED_PAD src0_sel:WORD_1
	v_cvt_f32_f16_e32 v12, v8
	v_lshlrev_b64 v[10:11], 3, v[10:11]
	v_add_co_u32_e64 v10, s[8:9], s57, v10
	v_pk_fma_f32 v[2:3], v[6:7], v[12:13], v[2:3] op_sel_hi:[0,1,1]
	v_cvt_f32_f16_sdwa v7, v9 dst_sel:DWORD dst_unused:UNUSED_PAD src0_sel:WORD_1
	v_cvt_f32_f16_e32 v6, v9
	v_mov_b32_e32 v1, s51
	v_addc_co_u32_e64 v11, s[8:9], v1, v11, s[8:9]
	v_pk_fma_f32 v[2:3], v[4:5], v[6:7], v[2:3] op_sel_hi:[0,1,1]
	s_waitcnt lgkmcnt(0)
	v_cvt_f32_f16_sdwa v5, v15 dst_sel:DWORD dst_unused:UNUSED_PAD src0_sel:WORD_1
	v_cvt_f32_f16_e32 v4, v15
	v_mov_b32_e32 v1, 0
	v_pk_fma_f32 v[2:3], v[14:15], v[4:5], v[2:3] op_sel_hi:[0,1,1]
	global_store_dwordx2 v[10:11], v[2:3], off offset:512
.LBB30_121:                             ;   in Loop: Header=BB30_14 Depth=1
	s_or_b64 exec, exec, s[10:11]
	s_movk_i32 s8, 0x47
	v_cmp_gt_i32_e64 s[8:9], s8, v1
	s_mov_b64 s[10:11], -1
	s_and_saveexec_b64 s[76:77], s[8:9]
; %bb.122:                              ;   in Loop: Header=BB30_14 Depth=1
	v_cmp_eq_u32_e64 s[8:9], 0, v1
	s_orn2_b64 s[10:11], s[8:9], exec
; %bb.123:                              ;   in Loop: Header=BB30_14 Depth=1
	s_or_b64 exec, exec, s[76:77]
	s_and_b64 exec, exec, s[10:11]
	s_cbranch_execz .LBB30_161
; %bb.124:                              ;   in Loop: Header=BB30_14 Depth=1
	v_accvgpr_read_b32 v1, a36
	v_add_u32_e32 v2, s53, v1
	v_cmp_gt_i32_e64 s[8:9], s28, v2
	s_and_b64 s[8:9], s[8:9], vcc
	v_mov_b32_e32 v1, 0x47
	s_and_saveexec_b64 s[10:11], s[8:9]
	s_cbranch_execz .LBB30_126
; %bb.125:                              ;   in Loop: Header=BB30_14 Depth=1
	v_mul_lo_u32 v1, v2, s29
	v_accvgpr_read_b32 v2, a38
	v_add_lshl_u32 v1, v1, v194, 7
	v_add_u32_e32 v4, 0, v2
	v_accvgpr_read_b32 v10, a37
	ds_read2st64_b32 v[2:3], v4 offset0:2 offset1:35
	ds_read2st64_b32 v[4:5], v4 offset0:68 offset1:101
	ds_read2st64_b32 v[6:7], v10 offset1:1
	ds_read2st64_b32 v[8:9], v10 offset0:33 offset1:66
	ds_read_b32 v16, v10 offset:25344
	v_add_u32_e32 v10, v38, v1
	v_ashrrev_i32_e32 v11, 31, v10
	v_lshlrev_b64 v[10:11], 3, v[10:11]
	v_add_co_u32_e64 v10, s[8:9], s57, v10
	v_mov_b32_e32 v12, s51
	v_addc_co_u32_e64 v11, s[8:9], v12, v11, s[8:9]
	s_waitcnt lgkmcnt(2)
	v_cvt_f32_f16_sdwa v13, v6 dst_sel:DWORD dst_unused:UNUSED_PAD src0_sel:WORD_1
	v_cvt_f32_f16_e32 v12, v6
	s_waitcnt lgkmcnt(1)
	v_cvt_f32_f16_sdwa v15, v8 dst_sel:DWORD dst_unused:UNUSED_PAD src0_sel:WORD_1
	v_cvt_f32_f16_e32 v14, v8
	v_mov_b32_e32 v6, v3
	v_pk_fma_f32 v[12:13], v[2:3], v[12:13], 0 op_sel_hi:[0,1,0]
	v_accvgpr_read_b32 v3, a39
	v_pk_fma_f32 v[12:13], v[6:7], v[14:15], v[12:13] op_sel_hi:[0,1,1]
	v_cvt_f32_f16_sdwa v15, v9 dst_sel:DWORD dst_unused:UNUSED_PAD src0_sel:WORD_1
	v_cvt_f32_f16_e32 v14, v9
	v_pk_fma_f32 v[8:9], v[4:5], v[14:15], v[12:13] op_sel_hi:[0,1,1]
	s_waitcnt lgkmcnt(0)
	v_cvt_f32_f16_sdwa v13, v16 dst_sel:DWORD dst_unused:UNUSED_PAD src0_sel:WORD_1
	v_cvt_f32_f16_e32 v12, v16
	v_mov_b32_e32 v14, v5
	v_pk_fma_f32 v[8:9], v[14:15], v[12:13], v[8:9] op_sel_hi:[0,1,1]
	global_store_dwordx2 v[10:11], v[8:9], off
	ds_read2st64_b32 v[8:9], v3 offset0:33 offset1:66
	ds_read_b32 v15, v3 offset:25344
	v_cvt_f32_f16_sdwa v13, v7 dst_sel:DWORD dst_unused:UNUSED_PAD src0_sel:WORD_1
	v_cvt_f32_f16_e32 v12, v7
	v_ashrrev_i32_e32 v3, 31, v1
	v_add_co_u32_e64 v10, s[8:9], v38, v1
	v_addc_co_u32_e64 v11, s[8:9], 0, v3, s[8:9]
	v_pk_fma_f32 v[2:3], v[2:3], v[12:13], 0 op_sel_hi:[0,1,0]
	s_waitcnt lgkmcnt(1)
	v_cvt_f32_f16_sdwa v13, v8 dst_sel:DWORD dst_unused:UNUSED_PAD src0_sel:WORD_1
	v_cvt_f32_f16_e32 v12, v8
	v_lshlrev_b64 v[10:11], 3, v[10:11]
	v_add_co_u32_e64 v10, s[8:9], s57, v10
	v_pk_fma_f32 v[2:3], v[6:7], v[12:13], v[2:3] op_sel_hi:[0,1,1]
	v_cvt_f32_f16_sdwa v7, v9 dst_sel:DWORD dst_unused:UNUSED_PAD src0_sel:WORD_1
	v_cvt_f32_f16_e32 v6, v9
	v_mov_b32_e32 v1, s51
	v_addc_co_u32_e64 v11, s[8:9], v1, v11, s[8:9]
	v_pk_fma_f32 v[2:3], v[4:5], v[6:7], v[2:3] op_sel_hi:[0,1,1]
	s_waitcnt lgkmcnt(0)
	v_cvt_f32_f16_sdwa v5, v15 dst_sel:DWORD dst_unused:UNUSED_PAD src0_sel:WORD_1
	v_cvt_f32_f16_e32 v4, v15
	v_mov_b32_e32 v1, 0
	v_pk_fma_f32 v[2:3], v[14:15], v[4:5], v[2:3] op_sel_hi:[0,1,1]
	global_store_dwordx2 v[10:11], v[2:3], off offset:512
.LBB30_126:                             ;   in Loop: Header=BB30_14 Depth=1
	s_or_b64 exec, exec, s[10:11]
	s_movk_i32 s8, 0x47
	v_cmp_gt_i32_e64 s[8:9], s8, v1
	s_mov_b64 s[10:11], -1
	s_and_saveexec_b64 s[76:77], s[8:9]
; %bb.127:                              ;   in Loop: Header=BB30_14 Depth=1
	v_cmp_eq_u32_e64 s[8:9], 0, v1
	s_orn2_b64 s[10:11], s[8:9], exec
; %bb.128:                              ;   in Loop: Header=BB30_14 Depth=1
	s_or_b64 exec, exec, s[76:77]
	s_and_b64 exec, exec, s[10:11]
	s_cbranch_execz .LBB30_161
; %bb.129:                              ;   in Loop: Header=BB30_14 Depth=1
	v_accvgpr_read_b32 v1, a40
	v_add_u32_e32 v2, s53, v1
	v_accvgpr_read_b32 v1, a41
	v_or_b32_e32 v1, s6, v1
	v_cmp_gt_i32_e64 s[8:9], s28, v2
	v_cmp_gt_i32_e64 s[10:11], s33, v1
	s_and_b64 s[8:9], s[8:9], s[10:11]
	v_mov_b32_e32 v1, 0x47
	s_and_saveexec_b64 s[10:11], s[8:9]
	s_cbranch_execz .LBB30_131
; %bb.130:                              ;   in Loop: Header=BB30_14 Depth=1
	v_mul_lo_u32 v1, v2, s29
	v_accvgpr_read_b32 v2, a41
	v_add_lshl_u32 v1, v1, v2, 7
	v_accvgpr_read_b32 v2, a43
	v_add_u32_e32 v4, 0, v2
	v_accvgpr_read_b32 v10, a42
	ds_read2st64_b32 v[2:3], v4 offset0:2 offset1:35
	ds_read2st64_b32 v[4:5], v4 offset0:68 offset1:101
	ds_read2st64_b32 v[6:7], v10 offset1:1
	ds_read2st64_b32 v[8:9], v10 offset0:33 offset1:66
	ds_read_b32 v16, v10 offset:25344
	v_add_u32_e32 v10, v38, v1
	v_ashrrev_i32_e32 v11, 31, v10
	v_lshlrev_b64 v[10:11], 3, v[10:11]
	v_add_co_u32_e64 v10, s[8:9], s57, v10
	v_mov_b32_e32 v12, s51
	v_addc_co_u32_e64 v11, s[8:9], v12, v11, s[8:9]
	s_waitcnt lgkmcnt(2)
	v_cvt_f32_f16_sdwa v13, v6 dst_sel:DWORD dst_unused:UNUSED_PAD src0_sel:WORD_1
	v_cvt_f32_f16_e32 v12, v6
	s_waitcnt lgkmcnt(1)
	v_cvt_f32_f16_sdwa v15, v8 dst_sel:DWORD dst_unused:UNUSED_PAD src0_sel:WORD_1
	v_cvt_f32_f16_e32 v14, v8
	v_mov_b32_e32 v6, v3
	v_pk_fma_f32 v[12:13], v[2:3], v[12:13], 0 op_sel_hi:[0,1,0]
	v_accvgpr_read_b32 v3, a44
	v_pk_fma_f32 v[12:13], v[6:7], v[14:15], v[12:13] op_sel_hi:[0,1,1]
	v_cvt_f32_f16_sdwa v15, v9 dst_sel:DWORD dst_unused:UNUSED_PAD src0_sel:WORD_1
	v_cvt_f32_f16_e32 v14, v9
	v_pk_fma_f32 v[8:9], v[4:5], v[14:15], v[12:13] op_sel_hi:[0,1,1]
	s_waitcnt lgkmcnt(0)
	v_cvt_f32_f16_sdwa v13, v16 dst_sel:DWORD dst_unused:UNUSED_PAD src0_sel:WORD_1
	v_cvt_f32_f16_e32 v12, v16
	v_mov_b32_e32 v14, v5
	v_pk_fma_f32 v[8:9], v[14:15], v[12:13], v[8:9] op_sel_hi:[0,1,1]
	global_store_dwordx2 v[10:11], v[8:9], off
	ds_read2st64_b32 v[8:9], v3 offset0:33 offset1:66
	ds_read_b32 v15, v3 offset:25344
	v_cvt_f32_f16_sdwa v13, v7 dst_sel:DWORD dst_unused:UNUSED_PAD src0_sel:WORD_1
	v_cvt_f32_f16_e32 v12, v7
	v_ashrrev_i32_e32 v3, 31, v1
	v_add_co_u32_e64 v10, s[8:9], v38, v1
	v_addc_co_u32_e64 v11, s[8:9], 0, v3, s[8:9]
	v_pk_fma_f32 v[2:3], v[2:3], v[12:13], 0 op_sel_hi:[0,1,0]
	s_waitcnt lgkmcnt(1)
	v_cvt_f32_f16_sdwa v13, v8 dst_sel:DWORD dst_unused:UNUSED_PAD src0_sel:WORD_1
	v_cvt_f32_f16_e32 v12, v8
	v_lshlrev_b64 v[10:11], 3, v[10:11]
	v_add_co_u32_e64 v10, s[8:9], s57, v10
	v_pk_fma_f32 v[2:3], v[6:7], v[12:13], v[2:3] op_sel_hi:[0,1,1]
	v_cvt_f32_f16_sdwa v7, v9 dst_sel:DWORD dst_unused:UNUSED_PAD src0_sel:WORD_1
	v_cvt_f32_f16_e32 v6, v9
	v_mov_b32_e32 v1, s51
	v_addc_co_u32_e64 v11, s[8:9], v1, v11, s[8:9]
	v_pk_fma_f32 v[2:3], v[4:5], v[6:7], v[2:3] op_sel_hi:[0,1,1]
	s_waitcnt lgkmcnt(0)
	v_cvt_f32_f16_sdwa v5, v15 dst_sel:DWORD dst_unused:UNUSED_PAD src0_sel:WORD_1
	v_cvt_f32_f16_e32 v4, v15
	v_mov_b32_e32 v1, 0
	v_pk_fma_f32 v[2:3], v[14:15], v[4:5], v[2:3] op_sel_hi:[0,1,1]
	global_store_dwordx2 v[10:11], v[2:3], off offset:512
.LBB30_131:                             ;   in Loop: Header=BB30_14 Depth=1
	s_or_b64 exec, exec, s[10:11]
	s_movk_i32 s8, 0x47
	v_cmp_gt_i32_e64 s[8:9], s8, v1
	s_mov_b64 s[10:11], -1
	s_and_saveexec_b64 s[76:77], s[8:9]
; %bb.132:                              ;   in Loop: Header=BB30_14 Depth=1
	v_cmp_eq_u32_e64 s[8:9], 0, v1
	s_orn2_b64 s[10:11], s[8:9], exec
; %bb.133:                              ;   in Loop: Header=BB30_14 Depth=1
	s_or_b64 exec, exec, s[76:77]
	s_and_b64 exec, exec, s[10:11]
	s_cbranch_execz .LBB30_161
; %bb.134:                              ;   in Loop: Header=BB30_14 Depth=1
	v_accvgpr_read_b32 v1, a45
	v_add_u32_e32 v2, s53, v1
	v_cmp_gt_i32_e64 s[8:9], s28, v2
	s_and_b64 s[8:9], s[8:9], vcc
	v_mov_b32_e32 v1, 0x47
	s_and_saveexec_b64 s[10:11], s[8:9]
	s_cbranch_execz .LBB30_136
; %bb.135:                              ;   in Loop: Header=BB30_14 Depth=1
	v_mul_lo_u32 v1, v2, s29
	v_accvgpr_read_b32 v2, a47
	v_add_lshl_u32 v1, v1, v194, 7
	v_add_u32_e32 v4, 0, v2
	v_accvgpr_read_b32 v10, a46
	ds_read2st64_b32 v[2:3], v4 offset0:2 offset1:35
	ds_read2st64_b32 v[4:5], v4 offset0:68 offset1:101
	ds_read2st64_b32 v[6:7], v10 offset1:1
	ds_read2st64_b32 v[8:9], v10 offset0:33 offset1:66
	ds_read_b32 v16, v10 offset:25344
	v_add_u32_e32 v10, v38, v1
	v_ashrrev_i32_e32 v11, 31, v10
	v_lshlrev_b64 v[10:11], 3, v[10:11]
	v_add_co_u32_e64 v10, s[8:9], s57, v10
	v_mov_b32_e32 v12, s51
	v_addc_co_u32_e64 v11, s[8:9], v12, v11, s[8:9]
	s_waitcnt lgkmcnt(2)
	v_cvt_f32_f16_sdwa v13, v6 dst_sel:DWORD dst_unused:UNUSED_PAD src0_sel:WORD_1
	v_cvt_f32_f16_e32 v12, v6
	s_waitcnt lgkmcnt(1)
	v_cvt_f32_f16_sdwa v15, v8 dst_sel:DWORD dst_unused:UNUSED_PAD src0_sel:WORD_1
	v_cvt_f32_f16_e32 v14, v8
	v_mov_b32_e32 v6, v3
	v_pk_fma_f32 v[12:13], v[2:3], v[12:13], 0 op_sel_hi:[0,1,0]
	v_accvgpr_read_b32 v3, a48
	v_pk_fma_f32 v[12:13], v[6:7], v[14:15], v[12:13] op_sel_hi:[0,1,1]
	v_cvt_f32_f16_sdwa v15, v9 dst_sel:DWORD dst_unused:UNUSED_PAD src0_sel:WORD_1
	v_cvt_f32_f16_e32 v14, v9
	v_pk_fma_f32 v[8:9], v[4:5], v[14:15], v[12:13] op_sel_hi:[0,1,1]
	s_waitcnt lgkmcnt(0)
	v_cvt_f32_f16_sdwa v13, v16 dst_sel:DWORD dst_unused:UNUSED_PAD src0_sel:WORD_1
	v_cvt_f32_f16_e32 v12, v16
	v_mov_b32_e32 v14, v5
	v_pk_fma_f32 v[8:9], v[14:15], v[12:13], v[8:9] op_sel_hi:[0,1,1]
	global_store_dwordx2 v[10:11], v[8:9], off
	ds_read2st64_b32 v[8:9], v3 offset0:33 offset1:66
	ds_read_b32 v15, v3 offset:25344
	v_cvt_f32_f16_sdwa v13, v7 dst_sel:DWORD dst_unused:UNUSED_PAD src0_sel:WORD_1
	v_cvt_f32_f16_e32 v12, v7
	v_ashrrev_i32_e32 v3, 31, v1
	v_add_co_u32_e64 v10, s[8:9], v38, v1
	v_addc_co_u32_e64 v11, s[8:9], 0, v3, s[8:9]
	v_pk_fma_f32 v[2:3], v[2:3], v[12:13], 0 op_sel_hi:[0,1,0]
	s_waitcnt lgkmcnt(1)
	v_cvt_f32_f16_sdwa v13, v8 dst_sel:DWORD dst_unused:UNUSED_PAD src0_sel:WORD_1
	v_cvt_f32_f16_e32 v12, v8
	v_lshlrev_b64 v[10:11], 3, v[10:11]
	v_add_co_u32_e64 v10, s[8:9], s57, v10
	v_pk_fma_f32 v[2:3], v[6:7], v[12:13], v[2:3] op_sel_hi:[0,1,1]
	v_cvt_f32_f16_sdwa v7, v9 dst_sel:DWORD dst_unused:UNUSED_PAD src0_sel:WORD_1
	v_cvt_f32_f16_e32 v6, v9
	v_mov_b32_e32 v1, s51
	v_addc_co_u32_e64 v11, s[8:9], v1, v11, s[8:9]
	v_pk_fma_f32 v[2:3], v[4:5], v[6:7], v[2:3] op_sel_hi:[0,1,1]
	s_waitcnt lgkmcnt(0)
	v_cvt_f32_f16_sdwa v5, v15 dst_sel:DWORD dst_unused:UNUSED_PAD src0_sel:WORD_1
	v_cvt_f32_f16_e32 v4, v15
	v_mov_b32_e32 v1, 0
	v_pk_fma_f32 v[2:3], v[14:15], v[4:5], v[2:3] op_sel_hi:[0,1,1]
	global_store_dwordx2 v[10:11], v[2:3], off offset:512
.LBB30_136:                             ;   in Loop: Header=BB30_14 Depth=1
	s_or_b64 exec, exec, s[10:11]
	s_movk_i32 s8, 0x47
	v_cmp_gt_i32_e64 s[8:9], s8, v1
	s_mov_b64 s[10:11], -1
	s_and_saveexec_b64 s[76:77], s[8:9]
; %bb.137:                              ;   in Loop: Header=BB30_14 Depth=1
	v_cmp_eq_u32_e64 s[8:9], 0, v1
	s_orn2_b64 s[10:11], s[8:9], exec
; %bb.138:                              ;   in Loop: Header=BB30_14 Depth=1
	s_or_b64 exec, exec, s[76:77]
	s_and_b64 exec, exec, s[10:11]
	s_cbranch_execz .LBB30_161
; %bb.139:                              ;   in Loop: Header=BB30_14 Depth=1
	v_accvgpr_read_b32 v1, a49
	v_add_u32_e32 v2, s53, v1
	v_accvgpr_read_b32 v1, a50
	v_or_b32_e32 v1, s6, v1
	v_cmp_gt_i32_e64 s[8:9], s28, v2
	v_cmp_gt_i32_e64 s[10:11], s33, v1
	s_and_b64 s[8:9], s[8:9], s[10:11]
	v_mov_b32_e32 v1, 0x47
	s_and_saveexec_b64 s[10:11], s[8:9]
	s_cbranch_execz .LBB30_141
; %bb.140:                              ;   in Loop: Header=BB30_14 Depth=1
	v_mul_lo_u32 v1, v2, s29
	v_accvgpr_read_b32 v2, a50
	v_add_lshl_u32 v1, v1, v2, 7
	v_accvgpr_read_b32 v2, a52
	v_add_u32_e32 v4, 0, v2
	v_accvgpr_read_b32 v10, a51
	ds_read2st64_b32 v[2:3], v4 offset0:2 offset1:35
	ds_read2st64_b32 v[4:5], v4 offset0:68 offset1:101
	ds_read2st64_b32 v[6:7], v10 offset1:1
	ds_read2st64_b32 v[8:9], v10 offset0:33 offset1:66
	ds_read_b32 v16, v10 offset:25344
	v_add_u32_e32 v10, v38, v1
	v_ashrrev_i32_e32 v11, 31, v10
	v_lshlrev_b64 v[10:11], 3, v[10:11]
	v_add_co_u32_e64 v10, s[8:9], s57, v10
	v_mov_b32_e32 v12, s51
	v_addc_co_u32_e64 v11, s[8:9], v12, v11, s[8:9]
	s_waitcnt lgkmcnt(2)
	v_cvt_f32_f16_sdwa v13, v6 dst_sel:DWORD dst_unused:UNUSED_PAD src0_sel:WORD_1
	v_cvt_f32_f16_e32 v12, v6
	s_waitcnt lgkmcnt(1)
	v_cvt_f32_f16_sdwa v15, v8 dst_sel:DWORD dst_unused:UNUSED_PAD src0_sel:WORD_1
	v_cvt_f32_f16_e32 v14, v8
	v_mov_b32_e32 v6, v3
	v_pk_fma_f32 v[12:13], v[2:3], v[12:13], 0 op_sel_hi:[0,1,0]
	v_accvgpr_read_b32 v3, a53
	v_pk_fma_f32 v[12:13], v[6:7], v[14:15], v[12:13] op_sel_hi:[0,1,1]
	v_cvt_f32_f16_sdwa v15, v9 dst_sel:DWORD dst_unused:UNUSED_PAD src0_sel:WORD_1
	v_cvt_f32_f16_e32 v14, v9
	v_pk_fma_f32 v[8:9], v[4:5], v[14:15], v[12:13] op_sel_hi:[0,1,1]
	s_waitcnt lgkmcnt(0)
	v_cvt_f32_f16_sdwa v13, v16 dst_sel:DWORD dst_unused:UNUSED_PAD src0_sel:WORD_1
	v_cvt_f32_f16_e32 v12, v16
	v_mov_b32_e32 v14, v5
	v_pk_fma_f32 v[8:9], v[14:15], v[12:13], v[8:9] op_sel_hi:[0,1,1]
	global_store_dwordx2 v[10:11], v[8:9], off
	ds_read2st64_b32 v[8:9], v3 offset0:33 offset1:66
	ds_read_b32 v15, v3 offset:25344
	v_cvt_f32_f16_sdwa v13, v7 dst_sel:DWORD dst_unused:UNUSED_PAD src0_sel:WORD_1
	v_cvt_f32_f16_e32 v12, v7
	v_ashrrev_i32_e32 v3, 31, v1
	v_add_co_u32_e64 v10, s[8:9], v38, v1
	v_addc_co_u32_e64 v11, s[8:9], 0, v3, s[8:9]
	v_pk_fma_f32 v[2:3], v[2:3], v[12:13], 0 op_sel_hi:[0,1,0]
	s_waitcnt lgkmcnt(1)
	v_cvt_f32_f16_sdwa v13, v8 dst_sel:DWORD dst_unused:UNUSED_PAD src0_sel:WORD_1
	v_cvt_f32_f16_e32 v12, v8
	v_lshlrev_b64 v[10:11], 3, v[10:11]
	v_add_co_u32_e64 v10, s[8:9], s57, v10
	v_pk_fma_f32 v[2:3], v[6:7], v[12:13], v[2:3] op_sel_hi:[0,1,1]
	v_cvt_f32_f16_sdwa v7, v9 dst_sel:DWORD dst_unused:UNUSED_PAD src0_sel:WORD_1
	v_cvt_f32_f16_e32 v6, v9
	v_mov_b32_e32 v1, s51
	v_addc_co_u32_e64 v11, s[8:9], v1, v11, s[8:9]
	v_pk_fma_f32 v[2:3], v[4:5], v[6:7], v[2:3] op_sel_hi:[0,1,1]
	s_waitcnt lgkmcnt(0)
	v_cvt_f32_f16_sdwa v5, v15 dst_sel:DWORD dst_unused:UNUSED_PAD src0_sel:WORD_1
	v_cvt_f32_f16_e32 v4, v15
	v_mov_b32_e32 v1, 0
	v_pk_fma_f32 v[2:3], v[14:15], v[4:5], v[2:3] op_sel_hi:[0,1,1]
	global_store_dwordx2 v[10:11], v[2:3], off offset:512
.LBB30_141:                             ;   in Loop: Header=BB30_14 Depth=1
	s_or_b64 exec, exec, s[10:11]
	s_movk_i32 s8, 0x47
	v_cmp_gt_i32_e64 s[8:9], s8, v1
	s_mov_b64 s[10:11], -1
	s_and_saveexec_b64 s[76:77], s[8:9]
; %bb.142:                              ;   in Loop: Header=BB30_14 Depth=1
	v_cmp_eq_u32_e64 s[8:9], 0, v1
	s_orn2_b64 s[10:11], s[8:9], exec
; %bb.143:                              ;   in Loop: Header=BB30_14 Depth=1
	s_or_b64 exec, exec, s[76:77]
	s_and_b64 exec, exec, s[10:11]
	s_cbranch_execz .LBB30_161
; %bb.144:                              ;   in Loop: Header=BB30_14 Depth=1
	v_accvgpr_read_b32 v1, a54
	v_add_u32_e32 v2, s53, v1
	v_cmp_gt_i32_e64 s[8:9], s28, v2
	s_and_b64 s[8:9], s[8:9], vcc
	v_mov_b32_e32 v1, 0x47
	s_and_saveexec_b64 s[10:11], s[8:9]
	s_cbranch_execz .LBB30_146
; %bb.145:                              ;   in Loop: Header=BB30_14 Depth=1
	v_mul_lo_u32 v1, v2, s29
	v_accvgpr_read_b32 v2, a56
	v_add_lshl_u32 v1, v1, v194, 7
	v_add_u32_e32 v4, 0, v2
	v_accvgpr_read_b32 v10, a55
	ds_read2st64_b32 v[2:3], v4 offset0:2 offset1:35
	ds_read2st64_b32 v[4:5], v4 offset0:68 offset1:101
	ds_read2st64_b32 v[6:7], v10 offset1:1
	ds_read2st64_b32 v[8:9], v10 offset0:33 offset1:66
	ds_read_b32 v16, v10 offset:25344
	v_add_u32_e32 v10, v38, v1
	v_ashrrev_i32_e32 v11, 31, v10
	v_lshlrev_b64 v[10:11], 3, v[10:11]
	v_add_co_u32_e64 v10, s[8:9], s57, v10
	v_mov_b32_e32 v12, s51
	v_addc_co_u32_e64 v11, s[8:9], v12, v11, s[8:9]
	s_waitcnt lgkmcnt(2)
	v_cvt_f32_f16_sdwa v13, v6 dst_sel:DWORD dst_unused:UNUSED_PAD src0_sel:WORD_1
	v_cvt_f32_f16_e32 v12, v6
	s_waitcnt lgkmcnt(1)
	v_cvt_f32_f16_sdwa v15, v8 dst_sel:DWORD dst_unused:UNUSED_PAD src0_sel:WORD_1
	v_cvt_f32_f16_e32 v14, v8
	v_mov_b32_e32 v6, v3
	v_pk_fma_f32 v[12:13], v[2:3], v[12:13], 0 op_sel_hi:[0,1,0]
	v_accvgpr_read_b32 v3, a57
	v_pk_fma_f32 v[12:13], v[6:7], v[14:15], v[12:13] op_sel_hi:[0,1,1]
	v_cvt_f32_f16_sdwa v15, v9 dst_sel:DWORD dst_unused:UNUSED_PAD src0_sel:WORD_1
	v_cvt_f32_f16_e32 v14, v9
	v_pk_fma_f32 v[8:9], v[4:5], v[14:15], v[12:13] op_sel_hi:[0,1,1]
	s_waitcnt lgkmcnt(0)
	v_cvt_f32_f16_sdwa v13, v16 dst_sel:DWORD dst_unused:UNUSED_PAD src0_sel:WORD_1
	v_cvt_f32_f16_e32 v12, v16
	v_mov_b32_e32 v14, v5
	v_pk_fma_f32 v[8:9], v[14:15], v[12:13], v[8:9] op_sel_hi:[0,1,1]
	global_store_dwordx2 v[10:11], v[8:9], off
	ds_read2st64_b32 v[8:9], v3 offset0:33 offset1:66
	ds_read_b32 v15, v3 offset:25344
	v_cvt_f32_f16_sdwa v13, v7 dst_sel:DWORD dst_unused:UNUSED_PAD src0_sel:WORD_1
	v_cvt_f32_f16_e32 v12, v7
	v_ashrrev_i32_e32 v3, 31, v1
	v_add_co_u32_e64 v10, s[8:9], v38, v1
	v_addc_co_u32_e64 v11, s[8:9], 0, v3, s[8:9]
	v_pk_fma_f32 v[2:3], v[2:3], v[12:13], 0 op_sel_hi:[0,1,0]
	s_waitcnt lgkmcnt(1)
	v_cvt_f32_f16_sdwa v13, v8 dst_sel:DWORD dst_unused:UNUSED_PAD src0_sel:WORD_1
	v_cvt_f32_f16_e32 v12, v8
	v_lshlrev_b64 v[10:11], 3, v[10:11]
	v_add_co_u32_e64 v10, s[8:9], s57, v10
	v_pk_fma_f32 v[2:3], v[6:7], v[12:13], v[2:3] op_sel_hi:[0,1,1]
	v_cvt_f32_f16_sdwa v7, v9 dst_sel:DWORD dst_unused:UNUSED_PAD src0_sel:WORD_1
	v_cvt_f32_f16_e32 v6, v9
	v_mov_b32_e32 v1, s51
	v_addc_co_u32_e64 v11, s[8:9], v1, v11, s[8:9]
	v_pk_fma_f32 v[2:3], v[4:5], v[6:7], v[2:3] op_sel_hi:[0,1,1]
	s_waitcnt lgkmcnt(0)
	v_cvt_f32_f16_sdwa v5, v15 dst_sel:DWORD dst_unused:UNUSED_PAD src0_sel:WORD_1
	v_cvt_f32_f16_e32 v4, v15
	v_mov_b32_e32 v1, 0
	v_pk_fma_f32 v[2:3], v[14:15], v[4:5], v[2:3] op_sel_hi:[0,1,1]
	global_store_dwordx2 v[10:11], v[2:3], off offset:512
.LBB30_146:                             ;   in Loop: Header=BB30_14 Depth=1
	s_or_b64 exec, exec, s[10:11]
	s_movk_i32 s8, 0x47
	v_cmp_gt_i32_e64 s[8:9], s8, v1
	s_mov_b64 s[10:11], -1
	s_and_saveexec_b64 s[76:77], s[8:9]
; %bb.147:                              ;   in Loop: Header=BB30_14 Depth=1
	v_cmp_eq_u32_e64 s[8:9], 0, v1
	s_orn2_b64 s[10:11], s[8:9], exec
; %bb.148:                              ;   in Loop: Header=BB30_14 Depth=1
	s_or_b64 exec, exec, s[76:77]
	s_and_b64 exec, exec, s[10:11]
	s_cbranch_execz .LBB30_161
; %bb.149:                              ;   in Loop: Header=BB30_14 Depth=1
	v_accvgpr_read_b32 v1, a58
	v_add_u32_e32 v2, s53, v1
	v_accvgpr_read_b32 v1, a59
	v_or_b32_e32 v1, s6, v1
	v_cmp_gt_i32_e64 s[8:9], s28, v2
	v_cmp_gt_i32_e64 s[10:11], s33, v1
	s_and_b64 s[8:9], s[8:9], s[10:11]
	v_mov_b32_e32 v1, 0x47
	s_and_saveexec_b64 s[10:11], s[8:9]
	s_cbranch_execz .LBB30_151
; %bb.150:                              ;   in Loop: Header=BB30_14 Depth=1
	v_mul_lo_u32 v1, v2, s29
	v_accvgpr_read_b32 v2, a59
	v_add_lshl_u32 v1, v1, v2, 7
	v_accvgpr_read_b32 v2, a61
	v_add_u32_e32 v4, 0, v2
	v_accvgpr_read_b32 v10, a60
	ds_read2st64_b32 v[2:3], v4 offset0:2 offset1:35
	ds_read2st64_b32 v[4:5], v4 offset0:68 offset1:101
	ds_read2st64_b32 v[6:7], v10 offset1:1
	ds_read2st64_b32 v[8:9], v10 offset0:33 offset1:66
	ds_read_b32 v16, v10 offset:25344
	v_add_u32_e32 v10, v38, v1
	v_ashrrev_i32_e32 v11, 31, v10
	v_lshlrev_b64 v[10:11], 3, v[10:11]
	v_add_co_u32_e64 v10, s[8:9], s57, v10
	v_mov_b32_e32 v12, s51
	v_addc_co_u32_e64 v11, s[8:9], v12, v11, s[8:9]
	s_waitcnt lgkmcnt(2)
	v_cvt_f32_f16_sdwa v13, v6 dst_sel:DWORD dst_unused:UNUSED_PAD src0_sel:WORD_1
	v_cvt_f32_f16_e32 v12, v6
	s_waitcnt lgkmcnt(1)
	v_cvt_f32_f16_sdwa v15, v8 dst_sel:DWORD dst_unused:UNUSED_PAD src0_sel:WORD_1
	v_cvt_f32_f16_e32 v14, v8
	v_mov_b32_e32 v6, v3
	v_pk_fma_f32 v[12:13], v[2:3], v[12:13], 0 op_sel_hi:[0,1,0]
	v_accvgpr_read_b32 v3, a62
	v_pk_fma_f32 v[12:13], v[6:7], v[14:15], v[12:13] op_sel_hi:[0,1,1]
	v_cvt_f32_f16_sdwa v15, v9 dst_sel:DWORD dst_unused:UNUSED_PAD src0_sel:WORD_1
	v_cvt_f32_f16_e32 v14, v9
	v_pk_fma_f32 v[8:9], v[4:5], v[14:15], v[12:13] op_sel_hi:[0,1,1]
	s_waitcnt lgkmcnt(0)
	v_cvt_f32_f16_sdwa v13, v16 dst_sel:DWORD dst_unused:UNUSED_PAD src0_sel:WORD_1
	v_cvt_f32_f16_e32 v12, v16
	v_mov_b32_e32 v14, v5
	v_pk_fma_f32 v[8:9], v[14:15], v[12:13], v[8:9] op_sel_hi:[0,1,1]
	global_store_dwordx2 v[10:11], v[8:9], off
	ds_read2st64_b32 v[8:9], v3 offset0:33 offset1:66
	ds_read_b32 v15, v3 offset:25344
	v_cvt_f32_f16_sdwa v13, v7 dst_sel:DWORD dst_unused:UNUSED_PAD src0_sel:WORD_1
	v_cvt_f32_f16_e32 v12, v7
	v_ashrrev_i32_e32 v3, 31, v1
	v_add_co_u32_e64 v10, s[8:9], v38, v1
	v_addc_co_u32_e64 v11, s[8:9], 0, v3, s[8:9]
	v_pk_fma_f32 v[2:3], v[2:3], v[12:13], 0 op_sel_hi:[0,1,0]
	s_waitcnt lgkmcnt(1)
	v_cvt_f32_f16_sdwa v13, v8 dst_sel:DWORD dst_unused:UNUSED_PAD src0_sel:WORD_1
	v_cvt_f32_f16_e32 v12, v8
	v_lshlrev_b64 v[10:11], 3, v[10:11]
	v_add_co_u32_e64 v10, s[8:9], s57, v10
	v_pk_fma_f32 v[2:3], v[6:7], v[12:13], v[2:3] op_sel_hi:[0,1,1]
	v_cvt_f32_f16_sdwa v7, v9 dst_sel:DWORD dst_unused:UNUSED_PAD src0_sel:WORD_1
	v_cvt_f32_f16_e32 v6, v9
	v_mov_b32_e32 v1, s51
	v_addc_co_u32_e64 v11, s[8:9], v1, v11, s[8:9]
	v_pk_fma_f32 v[2:3], v[4:5], v[6:7], v[2:3] op_sel_hi:[0,1,1]
	s_waitcnt lgkmcnt(0)
	v_cvt_f32_f16_sdwa v5, v15 dst_sel:DWORD dst_unused:UNUSED_PAD src0_sel:WORD_1
	v_cvt_f32_f16_e32 v4, v15
	v_mov_b32_e32 v1, 0
	v_pk_fma_f32 v[2:3], v[14:15], v[4:5], v[2:3] op_sel_hi:[0,1,1]
	global_store_dwordx2 v[10:11], v[2:3], off offset:512
.LBB30_151:                             ;   in Loop: Header=BB30_14 Depth=1
	s_or_b64 exec, exec, s[10:11]
	s_movk_i32 s8, 0x47
	v_cmp_gt_i32_e64 s[8:9], s8, v1
	s_mov_b64 s[10:11], -1
	s_and_saveexec_b64 s[76:77], s[8:9]
; %bb.152:                              ;   in Loop: Header=BB30_14 Depth=1
	v_cmp_eq_u32_e64 s[8:9], 0, v1
	s_orn2_b64 s[10:11], s[8:9], exec
; %bb.153:                              ;   in Loop: Header=BB30_14 Depth=1
	s_or_b64 exec, exec, s[76:77]
	s_and_b64 exec, exec, s[10:11]
	s_cbranch_execz .LBB30_161
; %bb.154:                              ;   in Loop: Header=BB30_14 Depth=1
	v_accvgpr_read_b32 v1, a63
	v_add_u32_e32 v2, s53, v1
	v_cmp_gt_i32_e64 s[8:9], s28, v2
	s_and_b64 s[10:11], s[8:9], vcc
	v_mov_b32_e32 v1, 0x47
	s_and_saveexec_b64 s[8:9], s[10:11]
	s_cbranch_execz .LBB30_156
; %bb.155:                              ;   in Loop: Header=BB30_14 Depth=1
	v_mul_lo_u32 v1, v2, s29
	v_accvgpr_read_b32 v2, a65
	v_add_lshl_u32 v1, v1, v194, 7
	v_add_u32_e32 v4, 0, v2
	v_accvgpr_read_b32 v10, a64
	ds_read2st64_b32 v[2:3], v4 offset0:2 offset1:35
	ds_read2st64_b32 v[4:5], v4 offset0:68 offset1:101
	ds_read2st64_b32 v[6:7], v10 offset1:1
	ds_read2st64_b32 v[8:9], v10 offset0:33 offset1:66
	ds_read_b32 v16, v10 offset:25344
	v_add_u32_e32 v10, v38, v1
	v_ashrrev_i32_e32 v11, 31, v10
	v_lshlrev_b64 v[10:11], 3, v[10:11]
	v_add_co_u32_e32 v10, vcc, s57, v10
	v_mov_b32_e32 v12, s51
	v_addc_co_u32_e32 v11, vcc, v12, v11, vcc
	s_waitcnt lgkmcnt(2)
	v_cvt_f32_f16_sdwa v13, v6 dst_sel:DWORD dst_unused:UNUSED_PAD src0_sel:WORD_1
	v_cvt_f32_f16_e32 v12, v6
	s_waitcnt lgkmcnt(1)
	v_cvt_f32_f16_sdwa v15, v8 dst_sel:DWORD dst_unused:UNUSED_PAD src0_sel:WORD_1
	v_cvt_f32_f16_e32 v14, v8
	v_mov_b32_e32 v6, v3
	v_pk_fma_f32 v[12:13], v[2:3], v[12:13], 0 op_sel_hi:[0,1,0]
	v_accvgpr_read_b32 v3, a66
	v_pk_fma_f32 v[12:13], v[6:7], v[14:15], v[12:13] op_sel_hi:[0,1,1]
	v_cvt_f32_f16_sdwa v15, v9 dst_sel:DWORD dst_unused:UNUSED_PAD src0_sel:WORD_1
	v_cvt_f32_f16_e32 v14, v9
	v_pk_fma_f32 v[8:9], v[4:5], v[14:15], v[12:13] op_sel_hi:[0,1,1]
	s_waitcnt lgkmcnt(0)
	v_cvt_f32_f16_sdwa v13, v16 dst_sel:DWORD dst_unused:UNUSED_PAD src0_sel:WORD_1
	v_cvt_f32_f16_e32 v12, v16
	v_mov_b32_e32 v14, v5
	v_pk_fma_f32 v[8:9], v[14:15], v[12:13], v[8:9] op_sel_hi:[0,1,1]
	global_store_dwordx2 v[10:11], v[8:9], off
	ds_read2st64_b32 v[8:9], v3 offset0:33 offset1:66
	ds_read_b32 v15, v3 offset:25344
	v_cvt_f32_f16_sdwa v13, v7 dst_sel:DWORD dst_unused:UNUSED_PAD src0_sel:WORD_1
	v_cvt_f32_f16_e32 v12, v7
	v_ashrrev_i32_e32 v3, 31, v1
	v_add_co_u32_e32 v10, vcc, v38, v1
	v_addc_co_u32_e32 v11, vcc, 0, v3, vcc
	v_pk_fma_f32 v[2:3], v[2:3], v[12:13], 0 op_sel_hi:[0,1,0]
	s_waitcnt lgkmcnt(1)
	v_cvt_f32_f16_sdwa v13, v8 dst_sel:DWORD dst_unused:UNUSED_PAD src0_sel:WORD_1
	v_cvt_f32_f16_e32 v12, v8
	v_lshlrev_b64 v[10:11], 3, v[10:11]
	v_add_co_u32_e32 v10, vcc, s57, v10
	v_pk_fma_f32 v[2:3], v[6:7], v[12:13], v[2:3] op_sel_hi:[0,1,1]
	v_cvt_f32_f16_sdwa v7, v9 dst_sel:DWORD dst_unused:UNUSED_PAD src0_sel:WORD_1
	v_cvt_f32_f16_e32 v6, v9
	v_mov_b32_e32 v1, s51
	v_addc_co_u32_e32 v11, vcc, v1, v11, vcc
	v_pk_fma_f32 v[2:3], v[4:5], v[6:7], v[2:3] op_sel_hi:[0,1,1]
	s_waitcnt lgkmcnt(0)
	v_cvt_f32_f16_sdwa v5, v15 dst_sel:DWORD dst_unused:UNUSED_PAD src0_sel:WORD_1
	v_cvt_f32_f16_e32 v4, v15
	v_mov_b32_e32 v1, 0
	v_pk_fma_f32 v[2:3], v[14:15], v[4:5], v[2:3] op_sel_hi:[0,1,1]
	global_store_dwordx2 v[10:11], v[2:3], off offset:512
.LBB30_156:                             ;   in Loop: Header=BB30_14 Depth=1
	s_or_b64 exec, exec, s[8:9]
	s_movk_i32 s8, 0x47
	v_cmp_gt_i32_e32 vcc, s8, v1
	s_mov_b64 s[8:9], -1
	s_and_saveexec_b64 s[10:11], vcc
; %bb.157:                              ;   in Loop: Header=BB30_14 Depth=1
	v_cmp_eq_u32_e32 vcc, 0, v1
	s_orn2_b64 s[8:9], vcc, exec
; %bb.158:                              ;   in Loop: Header=BB30_14 Depth=1
	s_or_b64 exec, exec, s[10:11]
	s_and_b64 exec, exec, s[8:9]
	s_cbranch_execz .LBB30_161
; %bb.159:                              ;   in Loop: Header=BB30_14 Depth=1
	v_accvgpr_read_b32 v1, a67
	v_accvgpr_read_b32 v2, a68
	v_add_u32_e32 v1, s53, v1
	v_or_b32_e32 v2, s6, v2
	v_cmp_gt_i32_e32 vcc, s28, v1
	v_cmp_gt_i32_e64 s[8:9], s33, v2
	s_and_b64 s[8:9], vcc, s[8:9]
	s_and_b64 exec, exec, s[8:9]
	s_cbranch_execz .LBB30_161
; %bb.160:                              ;   in Loop: Header=BB30_14 Depth=1
	v_mul_lo_u32 v1, v1, s29
	v_accvgpr_read_b32 v2, a68
	v_add_lshl_u32 v1, v1, v2, 7
	v_accvgpr_read_b32 v2, a69
	v_add_u32_e32 v4, 0, v2
	v_accvgpr_read_b32 v10, a70
	ds_read2st64_b32 v[2:3], v4 offset0:2 offset1:35
	ds_read2st64_b32 v[4:5], v4 offset0:68 offset1:101
	ds_read2st64_b32 v[6:7], v10 offset1:1
	ds_read2st64_b32 v[8:9], v10 offset0:33 offset1:66
	ds_read_b32 v16, v10 offset:25344
	v_add_u32_e32 v10, v38, v1
	v_ashrrev_i32_e32 v11, 31, v10
	v_lshlrev_b64 v[10:11], 3, v[10:11]
	v_add_co_u32_e32 v10, vcc, s57, v10
	v_mov_b32_e32 v12, s51
	v_addc_co_u32_e32 v11, vcc, v12, v11, vcc
	s_waitcnt lgkmcnt(2)
	v_cvt_f32_f16_sdwa v13, v6 dst_sel:DWORD dst_unused:UNUSED_PAD src0_sel:WORD_1
	v_cvt_f32_f16_e32 v12, v6
	s_waitcnt lgkmcnt(1)
	v_cvt_f32_f16_sdwa v15, v8 dst_sel:DWORD dst_unused:UNUSED_PAD src0_sel:WORD_1
	v_cvt_f32_f16_e32 v14, v8
	v_mov_b32_e32 v6, v3
	v_pk_fma_f32 v[12:13], v[2:3], v[12:13], 0 op_sel_hi:[0,1,0]
	v_accvgpr_read_b32 v3, a71
	v_pk_fma_f32 v[12:13], v[6:7], v[14:15], v[12:13] op_sel_hi:[0,1,1]
	v_cvt_f32_f16_sdwa v15, v9 dst_sel:DWORD dst_unused:UNUSED_PAD src0_sel:WORD_1
	v_cvt_f32_f16_e32 v14, v9
	v_pk_fma_f32 v[8:9], v[4:5], v[14:15], v[12:13] op_sel_hi:[0,1,1]
	s_waitcnt lgkmcnt(0)
	v_cvt_f32_f16_sdwa v13, v16 dst_sel:DWORD dst_unused:UNUSED_PAD src0_sel:WORD_1
	v_cvt_f32_f16_e32 v12, v16
	v_mov_b32_e32 v14, v5
	v_pk_fma_f32 v[8:9], v[14:15], v[12:13], v[8:9] op_sel_hi:[0,1,1]
	global_store_dwordx2 v[10:11], v[8:9], off
	ds_read2st64_b32 v[8:9], v3 offset0:33 offset1:66
	ds_read_b32 v15, v3 offset:25344
	v_cvt_f32_f16_sdwa v13, v7 dst_sel:DWORD dst_unused:UNUSED_PAD src0_sel:WORD_1
	v_cvt_f32_f16_e32 v12, v7
	v_ashrrev_i32_e32 v3, 31, v1
	v_add_co_u32_e32 v10, vcc, v38, v1
	v_addc_co_u32_e32 v11, vcc, 0, v3, vcc
	v_pk_fma_f32 v[2:3], v[2:3], v[12:13], 0 op_sel_hi:[0,1,0]
	s_waitcnt lgkmcnt(1)
	v_cvt_f32_f16_sdwa v13, v8 dst_sel:DWORD dst_unused:UNUSED_PAD src0_sel:WORD_1
	v_cvt_f32_f16_e32 v12, v8
	v_lshlrev_b64 v[10:11], 3, v[10:11]
	v_add_co_u32_e32 v10, vcc, s57, v10
	v_pk_fma_f32 v[2:3], v[6:7], v[12:13], v[2:3] op_sel_hi:[0,1,1]
	v_cvt_f32_f16_sdwa v7, v9 dst_sel:DWORD dst_unused:UNUSED_PAD src0_sel:WORD_1
	v_cvt_f32_f16_e32 v6, v9
	v_mov_b32_e32 v1, s51
	v_addc_co_u32_e32 v11, vcc, v1, v11, vcc
	v_pk_fma_f32 v[2:3], v[4:5], v[6:7], v[2:3] op_sel_hi:[0,1,1]
	s_waitcnt lgkmcnt(0)
	v_cvt_f32_f16_sdwa v5, v15 dst_sel:DWORD dst_unused:UNUSED_PAD src0_sel:WORD_1
	v_cvt_f32_f16_e32 v4, v15
	v_pk_fma_f32 v[2:3], v[14:15], v[4:5], v[2:3] op_sel_hi:[0,1,1]
	global_store_dwordx2 v[10:11], v[2:3], off offset:512
.LBB30_161:                             ;   in Loop: Header=BB30_14 Depth=1
	s_or_b64 exec, exec, s[74:75]
	s_barrier
	s_branch .LBB30_13
.LBB30_162:                             ;   in Loop: Header=BB30_14 Depth=1
	s_lshl_b32 s76, s52, 3
	v_add_u32_e32 v1, s76, v117
	v_cmp_gt_i32_e64 s[8:9], s33, v39
	v_cmp_le_i32_e32 vcc, s28, v1
	s_xor_b64 s[8:9], s[8:9], -1
	s_or_b64 s[10:11], vcc, s[8:9]
	s_and_saveexec_b64 s[52:53], s[10:11]
	s_xor_b64 s[10:11], exec, s[52:53]
	s_cbranch_execz .LBB30_164
; %bb.163:                              ;   in Loop: Header=BB30_14 Depth=1
	ds_write2st64_b32 v129, v239, v239 offset1:1
                                        ; implicit-def: $vgpr1
.LBB30_164:                             ;   in Loop: Header=BB30_14 Depth=1
	s_andn2_saveexec_b64 s[10:11], s[10:11]
	s_cbranch_execz .LBB30_166
; %bb.165:                              ;   in Loop: Header=BB30_14 Depth=1
	v_mul_lo_u32 v1, v1, s55
	v_add3_u32 v2, v1, v202, v38
	v_ashrrev_i32_e32 v3, 31, v2
	v_lshlrev_b64 v[2:3], 3, v[2:3]
	v_mov_b32_e32 v1, s94
	v_add_co_u32_e32 v2, vcc, s93, v2
	v_addc_co_u32_e32 v3, vcc, v1, v3, vcc
	global_load_dwordx2 v[4:5], v[2:3], off
	s_nop 0
	global_load_dwordx2 v[2:3], v[2:3], off offset:512
	s_waitcnt vmcnt(1)
	v_cvt_f16_f32_e32 v1, v4
	v_cvt_f16_f32_e32 v4, v5
	s_waitcnt vmcnt(0)
	v_cvt_f16_f32_e32 v2, v2
	v_cvt_f16_f32_e32 v3, v3
	v_pack_b32_f16 v1, v1, v4
	v_pk_mul_f16 v1, v111, v1
	v_pack_b32_f16 v2, v2, v3
	v_pk_mul_f16 v2, v111, v2
	ds_write2st64_b32 v129, v1, v2 offset1:1
.LBB30_166:                             ;   in Loop: Header=BB30_14 Depth=1
	s_or_b64 exec, exec, s[10:11]
	v_add_u32_e32 v1, s76, v198
	v_cmp_le_i32_e32 vcc, s28, v1
	s_or_b64 s[10:11], vcc, s[8:9]
	s_and_saveexec_b64 s[52:53], s[10:11]
	s_xor_b64 s[10:11], exec, s[52:53]
	s_cbranch_execz .LBB30_168
; %bb.167:                              ;   in Loop: Header=BB30_14 Depth=1
	v_add_u32_e32 v1, 64, v129
	ds_write2st64_b32 v1, v239, v239 offset0:8 offset1:9
                                        ; implicit-def: $vgpr1
.LBB30_168:                             ;   in Loop: Header=BB30_14 Depth=1
	s_andn2_saveexec_b64 s[10:11], s[10:11]
	s_cbranch_execz .LBB30_170
; %bb.169:                              ;   in Loop: Header=BB30_14 Depth=1
	v_mul_lo_u32 v1, v1, s55
	v_add3_u32 v2, v1, v202, v38
	v_ashrrev_i32_e32 v3, 31, v2
	v_lshlrev_b64 v[2:3], 3, v[2:3]
	v_mov_b32_e32 v1, s94
	v_add_co_u32_e32 v2, vcc, s93, v2
	v_addc_co_u32_e32 v3, vcc, v1, v3, vcc
	global_load_dwordx2 v[4:5], v[2:3], off
	s_nop 0
	global_load_dwordx2 v[2:3], v[2:3], off offset:512
	s_waitcnt vmcnt(1)
	v_cvt_f16_f32_e32 v1, v4
	v_cvt_f16_f32_e32 v4, v5
	s_waitcnt vmcnt(0)
	v_cvt_f16_f32_e32 v2, v2
	v_cvt_f16_f32_e32 v3, v3
	v_pack_b32_f16 v1, v1, v4
	v_pk_mul_f16 v1, v111, v1
	v_pack_b32_f16 v2, v2, v3
	v_pk_mul_f16 v2, v111, v2
	v_add_u32_e32 v3, 64, v129
	ds_write2st64_b32 v3, v1, v2 offset0:8 offset1:9
.LBB30_170:                             ;   in Loop: Header=BB30_14 Depth=1
	s_or_b64 exec, exec, s[10:11]
	v_add_u32_e32 v1, s76, v196
	v_cmp_le_i32_e32 vcc, s28, v1
	s_or_b64 s[10:11], vcc, s[8:9]
	s_and_saveexec_b64 s[52:53], s[10:11]
	s_xor_b64 s[10:11], exec, s[52:53]
	s_cbranch_execz .LBB30_172
; %bb.171:                              ;   in Loop: Header=BB30_14 Depth=1
	v_add_u32_e32 v1, 0x80, v129
	ds_write2st64_b32 v1, v239, v239 offset0:16 offset1:17
                                        ; implicit-def: $vgpr1
.LBB30_172:                             ;   in Loop: Header=BB30_14 Depth=1
	s_andn2_saveexec_b64 s[10:11], s[10:11]
	s_cbranch_execz .LBB30_174
; %bb.173:                              ;   in Loop: Header=BB30_14 Depth=1
	v_mul_lo_u32 v1, v1, s55
	v_add3_u32 v2, v1, v202, v38
	v_ashrrev_i32_e32 v3, 31, v2
	v_lshlrev_b64 v[2:3], 3, v[2:3]
	v_mov_b32_e32 v1, s94
	v_add_co_u32_e32 v2, vcc, s93, v2
	v_addc_co_u32_e32 v3, vcc, v1, v3, vcc
	global_load_dwordx2 v[4:5], v[2:3], off
	s_nop 0
	global_load_dwordx2 v[2:3], v[2:3], off offset:512
	s_waitcnt vmcnt(1)
	v_cvt_f16_f32_e32 v1, v4
	v_cvt_f16_f32_e32 v4, v5
	s_waitcnt vmcnt(0)
	v_cvt_f16_f32_e32 v2, v2
	v_cvt_f16_f32_e32 v3, v3
	v_pack_b32_f16 v1, v1, v4
	v_pk_mul_f16 v1, v111, v1
	v_pack_b32_f16 v2, v2, v3
	v_pk_mul_f16 v2, v111, v2
	v_add_u32_e32 v3, 0x80, v129
	ds_write2st64_b32 v3, v1, v2 offset0:16 offset1:17
.LBB30_174:                             ;   in Loop: Header=BB30_14 Depth=1
	;; [unrolled: 38-line block ×3, first 2 shown]
	s_or_b64 exec, exec, s[8:9]
	s_waitcnt lgkmcnt(0)
	s_barrier
	ds_read2_b64 v[30:33], v118 offset1:4
	ds_read2_b64 v[26:29], v118 offset0:8 offset1:12
	ds_read2_b64 v[22:25], v118 offset0:16 offset1:20
	;; [unrolled: 1-line block ×7, first 2 shown]
	v_add_u32_e32 v1, s76, v119
	v_mul_hi_u32 v34, s44, v1
	v_add_u32_e32 v34, v1, v34
	v_lshrrev_b32_e32 v34, s45, v34
	v_mul_lo_u32 v34, v34, s28
	s_cmp_gt_i32 s62, 1
	v_sub_u32_e32 v179, v1, v34
	s_waitcnt lgkmcnt(0)
	s_barrier
	s_cbranch_scc1 .LBB30_180
; %bb.179:                              ;   in Loop: Header=BB30_14 Depth=1
	s_mov_b64 s[8:9], 0
	s_mov_b32 s11, 0xfeffffff
	s_mov_b32 s52, 0
	s_mov_b32 s10, 0
	s_branch .LBB30_181
.LBB30_180:                             ;   in Loop: Header=BB30_14 Depth=1
	s_mov_b64 s[8:9], -1
                                        ; implicit-def: $sgpr10
                                        ; implicit-def: $sgpr52
                                        ; implicit-def: $sgpr11
.LBB30_181:                             ;   in Loop: Header=BB30_14 Depth=1
	s_andn2_b64 vcc, exec, s[8:9]
	v_mov_b32_e32 v185, s10
	v_mov_b32_e32 v35, s52
	;; [unrolled: 1-line block ×34, first 2 shown]
	s_cbranch_vccnz .LBB30_201
; %bb.182:                              ;   in Loop: Header=BB30_14 Depth=1
	v_and_b32_e32 v1, 64, v238
	v_add_u32_e32 v1, 64, v1
	v_xor_b32_e32 v34, 32, v238
	v_cmp_lt_i32_e32 vcc, v34, v1
	v_cndmask_b32_e32 v34, v238, v34, vcc
	v_lshlrev_b32_e32 v175, 2, v34
	v_xor_b32_e32 v34, 16, v238
	v_readlane_b32 s8, v255, 22
	v_cmp_lt_i32_e32 vcc, v34, v1
	v_readlane_b32 s9, v255, 23
	s_add_i32 s10, s62, -1
	v_cndmask_b32_e32 v1, v238, v34, vcc
	v_mad_i64_i32 v[34:35], s[8:9], s8, v179, v[80:81]
	v_add_co_u32_e32 v80, vcc, v144, v34
	s_add_u32 s8, s90, s91
	v_addc_co_u32_e32 v81, vcc, v142, v35, vcc
	s_addc_u32 s9, s60, s92
	v_lshlrev_b32_e32 v177, 2, v1
	v_mov_b32_e32 v1, s9
	v_add_co_u32_e32 v82, vcc, s8, v107
	v_addc_co_u32_e32 v1, vcc, v113, v1, vcc
	v_mov_b32_e32 v34, s9
	v_add_co_u32_e32 v84, vcc, s8, v208
	v_addc_co_u32_e32 v39, vcc, v209, v34, vcc
	v_add_co_u32_e32 v86, vcc, s8, v210
	v_addc_co_u32_e32 v43, vcc, v211, v34, vcc
	;; [unrolled: 2-line block ×6, first 2 shown]
	v_add_co_u32_e32 v96, vcc, s8, v220
	s_add_u32 s8, s64, s65
	v_addc_co_u32_e32 v87, vcc, v221, v34, vcc
	s_addc_u32 s9, s63, s89
	v_mov_b32_e32 v34, s9
	v_add_co_u32_e32 v98, vcc, s8, v222
	v_addc_co_u32_e32 v89, vcc, v223, v34, vcc
	v_add_co_u32_e32 v100, vcc, s8, v224
	v_addc_co_u32_e32 v91, vcc, v225, v34, vcc
	;; [unrolled: 2-line block ×7, first 2 shown]
	v_add_co_u32_e32 v112, vcc, s8, v236
	v_mov_b32_e32 v150, 0
	v_addc_co_u32_e32 v103, vcc, v237, v34, vcc
	v_mov_b32_e32 v109, 0
	v_mov_b32_e32 v139, 0xfeffffff
	s_mov_b32 s11, s10
	v_mov_b32_e32 v181, 0
	v_mov_b32_e32 v148, 0
	;; [unrolled: 1-line block ×31, first 2 shown]
.LBB30_183:                             ;   Parent Loop BB30_14 Depth=1
                                        ; =>  This Inner Loop Header: Depth=2
	global_load_dword v34, v[80:81], off
                                        ; implicit-def: $vgpr141
	s_waitcnt vmcnt(0)
	ds_write_b32 v128, v34 offset:33792
	v_add_co_u32_e32 v34, vcc, v98, v76
	v_addc_co_u32_e32 v35, vcc, 0, v89, vcc
	global_load_dwordx4 v[34:37], v[34:35], off
	s_waitcnt vmcnt(0)
	ds_write_b128 v120, v[34:37]
	v_add_co_u32_e32 v34, vcc, v100, v76
	v_addc_co_u32_e32 v35, vcc, 0, v91, vcc
	global_load_dwordx4 v[34:37], v[34:35], off
	s_waitcnt vmcnt(0)
	ds_write_b128 v240, v[34:37]
	;; [unrolled: 5-line block ×8, first 2 shown]
	s_waitcnt lgkmcnt(0)
	s_barrier
	ds_read2_b64 v[34:37], v121 offset1:4
	s_waitcnt lgkmcnt(0)
	v_mfma_f32_16x16x16f16 a[0:3], v[34:35], v[30:31], 0
	v_mfma_f32_16x16x16f16 a[0:3], v[36:37], v[32:33], a[0:3]
	ds_read2_b64 v[34:37], v121 offset0:8 offset1:12
	s_waitcnt lgkmcnt(0)
	v_mfma_f32_16x16x16f16 a[0:3], v[34:35], v[26:27], a[0:3]
	v_mfma_f32_16x16x16f16 a[0:3], v[36:37], v[28:29], a[0:3]
	ds_read2_b64 v[34:37], v121 offset0:16 offset1:20
	;; [unrolled: 4-line block ×7, first 2 shown]
	s_waitcnt lgkmcnt(0)
	s_barrier
	v_mfma_f32_16x16x16f16 a[0:3], v[34:35], v[2:3], a[0:3]
	v_mfma_f32_16x16x16f16 a[0:3], v[36:37], v[4:5], a[0:3]
	s_nop 7
	s_nop 2
	v_accvgpr_read_b32 v34, a0
	v_cmp_nlt_f32_e64 s[8:9], |v34|, s43
	s_and_saveexec_b64 s[52:53], s[8:9]
	s_xor_b64 s[8:9], exec, s[52:53]
	s_cbranch_execz .LBB30_185
; %bb.184:                              ;   in Loop: Header=BB30_183 Depth=2
	v_add_f32_e64 v34, |v34|, |v34|
	v_mul_f32_e32 v35, 0x3fb8aa3b, v34
	v_rndne_f32_e32 v36, v35
	v_sub_f32_e32 v37, v35, v36
	v_fma_f32 v35, v34, s67, -v35
	v_fmac_f32_e32 v35, 0x32a5705f, v34
	v_add_f32_e32 v35, v37, v35
	v_cvt_i32_f32_e32 v36, v36
	v_exp_f32_e32 v35, v35
	v_cmp_ngt_f32_e32 vcc, s95, v34
	v_ldexp_f32 v35, v35, v36
	v_cndmask_b32_e32 v35, 0, v35, vcc
	v_cmp_nlt_f32_e32 vcc, s56, v34
	v_cndmask_b32_e32 v34, v186, v35, vcc
	v_add_f32_e32 v34, 1.0, v34
	v_rcp_f32_e32 v34, v34
	v_fma_f32 v141, v34, -2.0, 1.0
                                        ; implicit-def: $vgpr34
.LBB30_185:                             ;   in Loop: Header=BB30_183 Depth=2
	s_andn2_saveexec_b64 s[8:9], s[8:9]
; %bb.186:                              ;   in Loop: Header=BB30_183 Depth=2
	v_mul_f32_e32 v35, v34, v34
	v_mov_b32_e32 v36, 0x3ca908c9
	v_fmac_f32_e32 v36, 0xbbbac73d, v35
	v_fma_f32 v36, v35, v36, v191
	v_fma_f32 v36, v35, v36, v192
	;; [unrolled: 1-line block ×3, first 2 shown]
	v_mul_f32_e64 v36, |v34|, v36
	v_fma_f32 v141, v35, v36, |v34|
; %bb.187:                              ;   in Loop: Header=BB30_183 Depth=2
	s_or_b64 exec, exec, s[8:9]
	v_accvgpr_read_b32 v37, a3
	v_accvgpr_read_b32 v35, a1
	;; [unrolled: 1-line block ×4, first 2 shown]
	v_cmp_nlt_f32_e64 s[8:9], |v35|, s43
                                        ; implicit-def: $vgpr143
	s_and_saveexec_b64 s[52:53], s[8:9]
	s_xor_b64 s[8:9], exec, s[52:53]
	s_cbranch_execz .LBB30_189
; %bb.188:                              ;   in Loop: Header=BB30_183 Depth=2
	v_add_f32_e64 v140, |v35|, |v35|
	v_mul_f32_e32 v143, 0x3fb8aa3b, v140
	v_rndne_f32_e32 v145, v143
	v_sub_f32_e32 v146, v143, v145
	v_fma_f32 v143, v140, s67, -v143
	v_fmac_f32_e32 v143, 0x32a5705f, v140
	v_add_f32_e32 v143, v146, v143
	v_cvt_i32_f32_e32 v145, v145
	v_exp_f32_e32 v143, v143
	v_cmp_ngt_f32_e32 vcc, s95, v140
	v_ldexp_f32 v143, v143, v145
	v_cndmask_b32_e32 v143, 0, v143, vcc
	v_cmp_nlt_f32_e32 vcc, s56, v140
	v_cndmask_b32_e32 v140, v186, v143, vcc
	v_add_f32_e32 v140, 1.0, v140
	v_rcp_f32_e32 v140, v140
	v_fma_f32 v143, v140, -2.0, 1.0
.LBB30_189:                             ;   in Loop: Header=BB30_183 Depth=2
	s_andn2_saveexec_b64 s[8:9], s[8:9]
; %bb.190:                              ;   in Loop: Header=BB30_183 Depth=2
	v_mul_f32_e32 v140, v35, v35
	v_mov_b32_e32 v143, 0x3ca908c9
	v_fmac_f32_e32 v143, 0xbbbac73d, v140
	v_fma_f32 v143, v140, v143, v191
	v_fma_f32 v143, v140, v143, v192
	;; [unrolled: 1-line block ×3, first 2 shown]
	v_mul_f32_e64 v143, |v35|, v143
	v_fma_f32 v143, v140, v143, |v35|
; %bb.191:                              ;   in Loop: Header=BB30_183 Depth=2
	s_or_b64 exec, exec, s[8:9]
	v_cmp_nlt_f32_e64 s[8:9], |v36|, s43
                                        ; implicit-def: $vgpr145
	s_and_saveexec_b64 s[52:53], s[8:9]
	s_xor_b64 s[8:9], exec, s[52:53]
	s_cbranch_execz .LBB30_193
; %bb.192:                              ;   in Loop: Header=BB30_183 Depth=2
	v_add_f32_e64 v140, |v36|, |v36|
	v_mul_f32_e32 v145, 0x3fb8aa3b, v140
	v_rndne_f32_e32 v146, v145
	v_sub_f32_e32 v147, v145, v146
	v_fma_f32 v145, v140, s67, -v145
	v_fmac_f32_e32 v145, 0x32a5705f, v140
	v_add_f32_e32 v145, v147, v145
	v_cvt_i32_f32_e32 v146, v146
	v_exp_f32_e32 v145, v145
	v_cmp_ngt_f32_e32 vcc, s95, v140
	v_ldexp_f32 v145, v145, v146
	v_cndmask_b32_e32 v145, 0, v145, vcc
	v_cmp_nlt_f32_e32 vcc, s56, v140
	v_cndmask_b32_e32 v140, v186, v145, vcc
	v_add_f32_e32 v140, 1.0, v140
	v_rcp_f32_e32 v140, v140
	v_fma_f32 v145, v140, -2.0, 1.0
.LBB30_193:                             ;   in Loop: Header=BB30_183 Depth=2
	s_andn2_saveexec_b64 s[8:9], s[8:9]
; %bb.194:                              ;   in Loop: Header=BB30_183 Depth=2
	v_mul_f32_e32 v140, v36, v36
	v_mov_b32_e32 v145, 0x3ca908c9
	v_fmac_f32_e32 v145, 0xbbbac73d, v140
	v_fma_f32 v145, v140, v145, v191
	v_fma_f32 v145, v140, v145, v192
	;; [unrolled: 1-line block ×3, first 2 shown]
	v_mul_f32_e64 v145, |v36|, v145
	v_fma_f32 v145, v140, v145, |v36|
; %bb.195:                              ;   in Loop: Header=BB30_183 Depth=2
	s_or_b64 exec, exec, s[8:9]
	v_cmp_nlt_f32_e64 s[8:9], |v37|, s43
                                        ; implicit-def: $vgpr146
	s_and_saveexec_b64 s[52:53], s[8:9]
	s_xor_b64 s[8:9], exec, s[52:53]
	s_cbranch_execz .LBB30_197
; %bb.196:                              ;   in Loop: Header=BB30_183 Depth=2
	v_add_f32_e64 v140, |v37|, |v37|
	v_mul_f32_e32 v146, 0x3fb8aa3b, v140
	v_rndne_f32_e32 v147, v146
	v_sub_f32_e32 v149, v146, v147
	v_fma_f32 v146, v140, s67, -v146
	v_fmac_f32_e32 v146, 0x32a5705f, v140
	v_add_f32_e32 v146, v149, v146
	v_cvt_i32_f32_e32 v147, v147
	v_exp_f32_e32 v146, v146
	v_cmp_ngt_f32_e32 vcc, s95, v140
	v_ldexp_f32 v146, v146, v147
	v_cndmask_b32_e32 v146, 0, v146, vcc
	v_cmp_nlt_f32_e32 vcc, s56, v140
	v_cndmask_b32_e32 v140, v186, v146, vcc
	v_add_f32_e32 v140, 1.0, v140
	v_rcp_f32_e32 v140, v140
	v_fma_f32 v146, v140, -2.0, 1.0
.LBB30_197:                             ;   in Loop: Header=BB30_183 Depth=2
	s_andn2_saveexec_b64 s[8:9], s[8:9]
; %bb.198:                              ;   in Loop: Header=BB30_183 Depth=2
	v_mul_f32_e32 v140, v37, v37
	v_mov_b32_e32 v146, 0x3ca908c9
	v_fmac_f32_e32 v146, 0xbbbac73d, v140
	v_fma_f32 v146, v140, v146, v191
	v_fma_f32 v146, v140, v146, v192
	;; [unrolled: 1-line block ×3, first 2 shown]
	v_mul_f32_e64 v146, |v37|, v146
	v_fma_f32 v146, v140, v146, |v37|
; %bb.199:                              ;   in Loop: Header=BB30_183 Depth=2
	s_or_b64 exec, exec, s[8:9]
	v_add_u32_e32 v140, 0x8400, v122
	v_bfi_b32 v37, s59, v146, v37
	ds_read2_b32 v[146:147], v140 offset1:1
	v_bfi_b32 v35, s59, v143, v35
	v_bfi_b32 v34, s59, v141, v34
	;; [unrolled: 1-line block ×3, first 2 shown]
	s_add_i32 s11, s11, -1
	s_waitcnt lgkmcnt(0)
	v_cvt_f32_f16_e32 v204, v146
	v_cvt_f32_f16_sdwa v205, v146 dst_sel:DWORD dst_unused:UNUSED_PAD src0_sel:WORD_1
	s_cmp_lg_u32 s11, 0
	v_pk_fma_f32 v[204:205], v[34:35], s[34:35], v[204:205]
	v_add_f32_e32 v34, 0x40051340, v204
	v_add_f32_e32 v35, 0x40051340, v205
	v_max3_f32 v140, v139, v34, v35
	v_cvt_f32_f16_e32 v34, v147
	v_cvt_f32_f16_sdwa v35, v147 dst_sel:DWORD dst_unused:UNUSED_PAD src0_sel:WORD_1
	v_pk_fma_f32 v[36:37], v[36:37], s[34:35], v[34:35]
	v_add_f32_e32 v34, 0x40051340, v36
	v_add_f32_e32 v35, 0x40051340, v37
	v_max3_f32 v34, v140, v34, v35
	ds_bpermute_b32 v35, v175, v34
	s_waitcnt lgkmcnt(0)
	v_max_f32_e32 v35, v35, v35
	v_max_f32_e32 v34, v34, v35
	ds_bpermute_b32 v35, v177, v34
	s_waitcnt lgkmcnt(0)
	v_max_f32_e32 v35, v35, v35
	v_max_f32_e32 v34, v34, v35
	v_pk_add_f32 v[146:147], v[204:205], v[34:35] op_sel_hi:[1,0] neg_lo:[0,1] neg_hi:[0,1]
	v_mul_f32_e32 v35, 0x3fb8aa3b, v147
	v_fma_f32 v140, v147, s67, -v35
	v_rndne_f32_e32 v141, v35
	v_fmac_f32_e32 v140, 0x32a5705f, v147
	v_sub_f32_e32 v35, v35, v141
	v_add_f32_e32 v35, v35, v140
	v_exp_f32_e32 v35, v35
	v_cvt_i32_f32_e32 v140, v141
	v_cmp_ngt_f32_e32 vcc, s95, v147
	v_ldexp_f32 v35, v35, v140
	v_cndmask_b32_e32 v35, 0, v35, vcc
	v_cmp_nlt_f32_e32 vcc, s56, v147
	v_cndmask_b32_e32 v140, v186, v35, vcc
	v_mul_f32_e32 v35, 0x3fb8aa3b, v146
	v_fma_f32 v141, v146, s67, -v35
	v_rndne_f32_e32 v143, v35
	v_fmac_f32_e32 v141, 0x32a5705f, v146
	v_sub_f32_e32 v35, v35, v143
	v_add_f32_e32 v35, v35, v141
	v_exp_f32_e32 v35, v35
	v_cvt_i32_f32_e32 v141, v143
	v_cmp_ngt_f32_e32 vcc, s95, v146
	v_ldexp_f32 v35, v35, v141
	v_cndmask_b32_e32 v35, 0, v35, vcc
	v_cmp_nlt_f32_e32 vcc, s56, v146
	v_pk_add_f32 v[36:37], v[36:37], v[34:35] op_sel_hi:[1,0] neg_lo:[0,1] neg_hi:[0,1]
	v_cndmask_b32_e32 v204, v186, v35, vcc
	v_mul_f32_e32 v35, 0x3fb8aa3b, v37
	v_fma_f32 v141, v37, s67, -v35
	v_rndne_f32_e32 v143, v35
	v_fmac_f32_e32 v141, 0x32a5705f, v37
	v_sub_f32_e32 v35, v35, v143
	v_add_f32_e32 v35, v35, v141
	v_exp_f32_e32 v35, v35
	v_cvt_i32_f32_e32 v141, v143
	v_cmp_ngt_f32_e32 vcc, s95, v37
	v_ldexp_f32 v35, v35, v141
	v_cndmask_b32_e32 v35, 0, v35, vcc
	v_cmp_nlt_f32_e32 vcc, s56, v37
	v_cndmask_b32_e32 v37, v186, v35, vcc
	v_mul_f32_e32 v35, 0x3fb8aa3b, v36
	v_fma_f32 v141, v36, s67, -v35
	v_rndne_f32_e32 v143, v35
	v_fmac_f32_e32 v141, 0x32a5705f, v36
	v_sub_f32_e32 v35, v35, v143
	v_add_f32_e32 v35, v35, v141
	v_exp_f32_e32 v35, v35
	v_cvt_i32_f32_e32 v141, v143
	v_cmp_ngt_f32_e32 vcc, s95, v36
	v_ldexp_f32 v35, v35, v141
	v_cndmask_b32_e32 v35, 0, v35, vcc
	v_cmp_nlt_f32_e32 vcc, s56, v36
	v_sub_f32_e32 v36, v139, v34
	v_mul_f32_e32 v139, 0x3fb8aa3b, v36
	v_fma_f32 v141, v36, s67, -v139
	v_rndne_f32_e32 v143, v139
	v_fmac_f32_e32 v141, 0x32a5705f, v36
	v_sub_f32_e32 v139, v139, v143
	v_add_f32_e32 v139, v139, v141
	v_exp_f32_e32 v139, v139
	v_cvt_i32_f32_e32 v141, v143
	v_cndmask_b32_e32 v205, v186, v35, vcc
	v_cmp_ngt_f32_e32 vcc, s95, v36
	v_add_f32_e32 v35, v204, v140
	v_ldexp_f32 v139, v139, v141
	v_cndmask_b32_e32 v139, 0, v139, vcc
	v_cmp_nlt_f32_e32 vcc, s56, v36
	v_add_f32_e32 v35, v205, v35
	v_cndmask_b32_e32 v139, v186, v139, vcc
	v_cmp_le_f32_e32 vcc, s66, v36
	v_add_f32_e32 v35, v37, v35
	v_cndmask_b32_e32 v36, 0, v139, vcc
	v_fmac_f32_e32 v35, v109, v36
	v_cvt_f16_f32_e32 v36, v36
	v_cvt_f16_f32_e32 v140, v140
	;; [unrolled: 1-line block ×3, first 2 shown]
	v_pk_mul_f16 v141, v36, v151 op_sel_hi:[0,1]
	v_pk_mul_f16 v151, v36, v185 op_sel_hi:[0,1]
	;; [unrolled: 1-line block ×32, first 2 shown]
	v_cvt_f16_f32_e32 v36, v204
	v_add_co_u32_e32 v180, vcc, v82, v76
	v_addc_co_u32_e32 v181, vcc, 0, v1, vcc
	v_pack_b32_f16 v36, v36, v140
	v_cvt_f16_f32_e32 v140, v205
	global_load_dwordx4 v[204:207], v[180:181], off
	v_add_co_u32_e32 v180, vcc, v84, v76
	v_addc_co_u32_e32 v181, vcc, 0, v39, vcc
	v_pack_b32_f16 v37, v140, v37
	s_waitcnt vmcnt(0)
	ds_write_b128 v120, v[204:207]
	global_load_dwordx4 v[204:207], v[180:181], off
	v_add_co_u32_e32 v180, vcc, v86, v76
	v_addc_co_u32_e32 v181, vcc, 0, v43, vcc
	s_waitcnt vmcnt(0)
	ds_write_b128 v240, v[204:207]
	global_load_dwordx4 v[204:207], v[180:181], off
	v_add_co_u32_e32 v180, vcc, v88, v76
	v_addc_co_u32_e32 v181, vcc, 0, v77, vcc
	;; [unrolled: 5-line block ×6, first 2 shown]
	v_add_co_u32_e32 v80, vcc, s88, v80
	v_addc_co_u32_e32 v81, vcc, 0, v81, vcc
	v_add_co_u32_e32 v82, vcc, s68, v82
	s_waitcnt vmcnt(0)
	ds_write_b128 v245, v[204:207]
	global_load_dwordx4 v[204:207], v[180:181], off
	s_waitcnt vmcnt(0)
	ds_write_b128 v246, v[204:207]
	s_waitcnt lgkmcnt(0)
	s_barrier
	ds_read_u16 v140, v124 offset:528
	ds_read_u16 v156, v124 offset:1056
	v_cvt_f32_f16_e32 v204, v141
	v_cvt_f32_f16_sdwa v205, v141 dst_sel:DWORD dst_unused:UNUSED_PAD src0_sel:WORD_1
	ds_read_u16 v141, v125
	ds_read_u16 v158, v125 offset:32
	v_cvt_f32_f16_e32 v206, v151
	v_cvt_f32_f16_sdwa v207, v151 dst_sel:DWORD dst_unused:UNUSED_PAD src0_sel:WORD_1
	v_accvgpr_write_b32 a0, v204
	s_waitcnt lgkmcnt(1)
	v_perm_b32 v181, v141, v156, s7
	ds_read_u16 v141, v123
	ds_read_u16 v156, v123 offset:32
	v_accvgpr_write_b32 a1, v205
	v_accvgpr_write_b32 a2, v206
	;; [unrolled: 1-line block ×3, first 2 shown]
	s_waitcnt lgkmcnt(1)
	v_perm_b32 v180, v140, v141, s7
	v_cvt_f32_f16_e32 v204, v183
	v_cvt_f32_f16_sdwa v205, v183 dst_sel:DWORD dst_unused:UNUSED_PAD src0_sel:WORD_1
	v_mfma_f32_16x16x16f16 a[0:3], v[180:181], v[36:37], a[0:3]
	v_cvt_f32_f16_e32 v206, v182
	v_cvt_f32_f16_sdwa v207, v182 dst_sel:DWORD dst_unused:UNUSED_PAD src0_sel:WORD_1
	s_nop 7
	s_nop 0
	v_accvgpr_read_b32 v140, a0
	v_accvgpr_read_b32 v141, a1
	v_cvt_f16_f32_e32 v140, v140
	v_cvt_f16_f32_e32 v141, v141
	v_accvgpr_read_b32 v151, a2
	v_cvt_f16_f32_e32 v162, v151
	v_accvgpr_read_b32 v151, a3
	v_cvt_f16_f32_e32 v169, v151
	v_pack_b32_f16 v151, v140, v141
	ds_read_u16 v140, v247 offset:528
	ds_read_u16 v141, v247 offset:1056
	v_accvgpr_write_b32 a0, v204
	v_accvgpr_write_b32 a1, v205
	v_accvgpr_write_b32 a2, v206
	s_waitcnt lgkmcnt(1)
	v_perm_b32 v180, v140, v156, s7
	s_waitcnt lgkmcnt(0)
	v_perm_b32 v181, v158, v141, s7
	v_accvgpr_write_b32 a3, v207
	v_cvt_f32_f16_e32 v204, v139
	v_cvt_f32_f16_sdwa v205, v139 dst_sel:DWORD dst_unused:UNUSED_PAD src0_sel:WORD_1
	v_mfma_f32_16x16x16f16 a[0:3], v[180:181], v[36:37], a[0:3]
	v_cvt_f32_f16_e32 v206, v178
	v_cvt_f32_f16_sdwa v207, v178 dst_sel:DWORD dst_unused:UNUSED_PAD src0_sel:WORD_1
	v_pack_b32_f16 v185, v162, v169
	s_nop 7
	v_accvgpr_read_b32 v140, a0
	v_accvgpr_read_b32 v141, a1
	v_accvgpr_read_b32 v156, a2
	v_accvgpr_read_b32 v158, a3
	v_cvt_f16_f32_e32 v140, v140
	v_cvt_f16_f32_e32 v141, v141
	v_cvt_f16_f32_e32 v156, v156
	v_cvt_f16_f32_e32 v158, v158
	v_accvgpr_write_b32 a0, v204
	v_pack_b32_f16 v183, v140, v141
	v_accvgpr_write_b32 a1, v205
	v_pack_b32_f16 v182, v156, v158
	ds_read_u16 v140, v123 offset:64
	ds_read_u16 v141, v248 offset:528
	ds_read_u16 v156, v248 offset:1056
	ds_read_u16 v158, v125 offset:64
	v_accvgpr_write_b32 a2, v206
	v_accvgpr_write_b32 a3, v207
	s_waitcnt lgkmcnt(2)
	v_perm_b32 v180, v141, v140, s7
	v_cvt_f32_f16_e32 v204, v172
	s_waitcnt lgkmcnt(0)
	v_perm_b32 v181, v158, v156, s7
	v_cvt_f32_f16_sdwa v205, v172 dst_sel:DWORD dst_unused:UNUSED_PAD src0_sel:WORD_1
	v_cvt_f32_f16_e32 v206, v170
	v_mfma_f32_16x16x16f16 a[0:3], v[180:181], v[36:37], a[0:3]
	v_cvt_f32_f16_sdwa v207, v170 dst_sel:DWORD dst_unused:UNUSED_PAD src0_sel:WORD_1
	s_nop 7
	s_nop 1
	v_accvgpr_read_b32 v139, a0
	v_accvgpr_read_b32 v140, a1
	v_accvgpr_read_b32 v141, a2
	v_accvgpr_read_b32 v156, a3
	v_cvt_f16_f32_e32 v139, v139
	v_cvt_f16_f32_e32 v140, v140
	v_cvt_f16_f32_e32 v141, v141
	v_cvt_f16_f32_e32 v156, v156
	v_accvgpr_write_b32 a0, v204
	v_pack_b32_f16 v178, v139, v140
	v_accvgpr_write_b32 a1, v205
	v_pack_b32_f16 v180, v141, v156
	ds_read_u16 v139, v123 offset:96
	ds_read_u16 v140, v249 offset:528
	ds_read_u16 v141, v249 offset:1056
	ds_read_u16 v156, v125 offset:96
	v_accvgpr_write_b32 a2, v206
	v_accvgpr_write_b32 a3, v207
	s_waitcnt lgkmcnt(2)
	v_perm_b32 v140, v140, v139, s7
	v_cvt_f32_f16_e32 v204, v109
	s_waitcnt lgkmcnt(0)
	v_perm_b32 v141, v156, v141, s7
	v_cvt_f32_f16_sdwa v205, v109 dst_sel:DWORD dst_unused:UNUSED_PAD src0_sel:WORD_1
	v_cvt_f32_f16_e32 v206, v173
	v_mfma_f32_16x16x16f16 a[0:3], v[140:141], v[36:37], a[0:3]
	v_cvt_f32_f16_sdwa v207, v173 dst_sel:DWORD dst_unused:UNUSED_PAD src0_sel:WORD_1
	s_nop 7
	;; [unrolled: 29-line block ×3, first 2 shown]
	s_nop 1
	v_accvgpr_read_b32 v109, a0
	v_accvgpr_read_b32 v139, a1
	v_accvgpr_read_b32 v140, a2
	v_accvgpr_read_b32 v141, a3
	v_cvt_f16_f32_e32 v109, v109
	v_cvt_f16_f32_e32 v139, v139
	v_cvt_f16_f32_e32 v140, v140
	v_cvt_f16_f32_e32 v141, v141
	v_accvgpr_write_b32 a0, v204
	v_pack_b32_f16 v173, v109, v139
	v_accvgpr_write_b32 a1, v205
	v_pack_b32_f16 v176, v140, v141
	ds_read_u16 v109, v123 offset:160
	ds_read_u16 v139, v251 offset:528
	ds_read_u16 v140, v251 offset:1056
	ds_read_u16 v141, v125 offset:160
	v_accvgpr_write_b32 a2, v206
	v_accvgpr_write_b32 a3, v207
	v_cvt_f32_f16_e32 v204, v171
	v_cvt_f32_f16_sdwa v205, v171 dst_sel:DWORD dst_unused:UNUSED_PAD src0_sel:WORD_1
	s_waitcnt lgkmcnt(0)
	v_perm_b32 v141, v141, v140, s7
	v_perm_b32 v140, v139, v109, s7
	v_cvt_f32_f16_e32 v206, v168
	v_cvt_f32_f16_sdwa v207, v168 dst_sel:DWORD dst_unused:UNUSED_PAD src0_sel:WORD_1
	v_mfma_f32_16x16x16f16 a[0:3], v[140:141], v[36:37], a[0:3]
	s_nop 7
	s_nop 2
	v_accvgpr_read_b32 v109, a0
	v_accvgpr_read_b32 v139, a1
	v_accvgpr_read_b32 v140, a2
	v_accvgpr_read_b32 v141, a3
	v_cvt_f16_f32_e32 v109, v109
	v_cvt_f16_f32_e32 v139, v139
	v_cvt_f16_f32_e32 v140, v140
	v_cvt_f16_f32_e32 v141, v141
	v_accvgpr_write_b32 a0, v204
	v_pack_b32_f16 v166, v109, v139
	v_accvgpr_write_b32 a1, v205
	v_pack_b32_f16 v174, v140, v141
	ds_read_u16 v109, v123 offset:192
	ds_read_u16 v139, v252 offset:528
	ds_read_u16 v140, v252 offset:1056
	ds_read_u16 v141, v125 offset:192
	v_accvgpr_write_b32 a2, v206
	v_accvgpr_write_b32 a3, v207
	v_cvt_f32_f16_e32 v204, v146
	v_cvt_f32_f16_sdwa v205, v146 dst_sel:DWORD dst_unused:UNUSED_PAD src0_sel:WORD_1
	s_waitcnt lgkmcnt(0)
	v_perm_b32 v141, v141, v140, s7
	v_perm_b32 v140, v139, v109, s7
	v_cvt_f32_f16_e32 v206, v161
	v_cvt_f32_f16_sdwa v207, v161 dst_sel:DWORD dst_unused:UNUSED_PAD src0_sel:WORD_1
	v_mfma_f32_16x16x16f16 a[0:3], v[140:141], v[36:37], a[0:3]
	s_nop 7
	;; [unrolled: 28-line block ×10, first 2 shown]
	s_nop 2
	v_accvgpr_read_b32 v109, a0
	v_accvgpr_read_b32 v139, a1
	v_cvt_f16_f32_e32 v109, v109
	v_cvt_f16_f32_e32 v139, v139
	v_accvgpr_read_b32 v140, a2
	v_accvgpr_read_b32 v141, a3
	v_cvt_f16_f32_e32 v140, v140
	v_pack_b32_f16 v148, v109, v139
	ds_read_u16 v109, v123 offset:480
	ds_read_u16 v139, v195 offset:528
	;; [unrolled: 1-line block ×4, first 2 shown]
	v_cvt_f16_f32_e32 v141, v141
	v_accvgpr_write_b32 a0, v204
	v_accvgpr_write_b32 a1, v205
	;; [unrolled: 1-line block ×3, first 2 shown]
	v_pack_b32_f16 v156, v140, v141
	s_waitcnt lgkmcnt(0)
	v_perm_b32 v141, v145, v143, s7
	v_perm_b32 v140, v139, v109, s7
	v_accvgpr_write_b32 a3, v207
	s_barrier
	s_nop 0
	v_mfma_f32_16x16x16f16 a[0:3], v[140:141], v[36:37], a[0:3]
	s_nop 7
	s_nop 2
	v_accvgpr_read_b32 v36, a0
	v_accvgpr_read_b32 v37, a1
	v_cvt_f16_f32_e32 v36, v36
	v_cvt_f16_f32_e32 v37, v37
	v_accvgpr_read_b32 v109, a2
	v_accvgpr_read_b32 v139, a3
	v_cvt_f16_f32_e32 v109, v109
	v_pack_b32_f16 v150, v36, v37
	v_mov_b32_e32 v36, s69
	v_addc_co_u32_e32 v1, vcc, v1, v36, vcc
	v_add_co_u32_e32 v84, vcc, s68, v84
	v_addc_co_u32_e32 v39, vcc, v39, v36, vcc
	v_add_co_u32_e32 v86, vcc, s68, v86
	;; [unrolled: 2-line block ×8, first 2 shown]
	v_mov_b32_e32 v36, s71
	v_addc_co_u32_e32 v89, vcc, v89, v36, vcc
	v_add_co_u32_e32 v100, vcc, s70, v100
	v_addc_co_u32_e32 v91, vcc, v91, v36, vcc
	v_add_co_u32_e32 v102, vcc, s70, v102
	;; [unrolled: 2-line block ×5, first 2 shown]
	v_cvt_f16_f32_e32 v139, v139
	v_addc_co_u32_e32 v99, vcc, v99, v36, vcc
	v_add_co_u32_e32 v110, vcc, s70, v110
	v_addc_co_u32_e32 v101, vcc, v101, v36, vcc
	v_add_co_u32_e32 v112, vcc, s70, v112
	v_pack_b32_f16 v181, v109, v139
	v_addc_co_u32_e32 v103, vcc, v103, v36, vcc
	s_cbranch_scc0 .LBB30_201
; %bb.200:                              ;   in Loop: Header=BB30_183 Depth=2
	v_mov_b32_e32 v109, v35
	v_mov_b32_e32 v139, v34
	s_branch .LBB30_183
.LBB30_201:                             ;   in Loop: Header=BB30_14 Depth=1
	v_mad_i64_i32 v[36:37], s[8:9], v179, s42, 0
	s_lshl_b32 s60, s10, 6
	s_lshl_b64 s[8:9], s[60:61], 1
	v_add_co_u32_e32 v1, vcc, s8, v187
	v_mov_b32_e32 v39, s9
	v_addc_co_u32_e32 v39, vcc, v189, v39, vcc
	v_lshlrev_b64 v[36:37], 1, v[36:37]
	v_add_co_u32_e32 v1, vcc, v1, v36
	v_addc_co_u32_e32 v37, vcc, v39, v37, vcc
	v_lshlrev_b32_e32 v36, 1, v42
	v_add_co_u32_e32 v36, vcc, v1, v36
	v_addc_co_u32_e32 v37, vcc, 0, v37, vcc
	global_load_dword v1, v[36:37], off
	s_mul_i32 s8, s41, s60
	s_mul_hi_u32 s9, s40, s60
	s_add_i32 s9, s9, s8
	s_mul_i32 s8, s40, s60
	s_lshl_b64 s[8:9], s[8:9], 2
	s_add_u32 s8, s81, s8
	s_addc_u32 s9, s78, s9
	v_mov_b32_e32 v36, s9
	s_waitcnt vmcnt(0)
	ds_write_b32 v128, v1 offset:33792
	v_add_co_u32_e32 v1, vcc, s8, v60
	v_addc_co_u32_e32 v37, vcc, v36, v61, vcc
	v_add_co_u32_e32 v36, vcc, v1, v127
	v_addc_co_u32_e32 v37, vcc, 0, v37, vcc
	global_load_dwordx4 v[80:83], v[36:37], off
	v_add_co_u32_e32 v1, vcc, s8, v62
	v_mov_b32_e32 v36, s9
	v_addc_co_u32_e32 v37, vcc, v36, v63, vcc
	v_add_co_u32_e32 v36, vcc, v1, v127
	v_addc_co_u32_e32 v37, vcc, 0, v37, vcc
	v_add_co_u32_e32 v1, vcc, s8, v64
	s_waitcnt vmcnt(0)
	ds_write_b128 v120, v[80:83]
	global_load_dwordx4 v[80:83], v[36:37], off
	v_mov_b32_e32 v36, s9
	v_addc_co_u32_e32 v37, vcc, v36, v65, vcc
	v_add_co_u32_e32 v36, vcc, v1, v127
	v_addc_co_u32_e32 v37, vcc, 0, v37, vcc
	v_add_co_u32_e32 v1, vcc, s8, v66
	s_waitcnt vmcnt(0)
	ds_write_b128 v240, v[80:83]
	global_load_dwordx4 v[80:83], v[36:37], off
	;; [unrolled: 8-line block ×6, first 2 shown]
	v_mov_b32_e32 v36, s9
	v_addc_co_u32_e32 v37, vcc, v36, v75, vcc
	v_add_co_u32_e32 v36, vcc, v1, v127
	v_addc_co_u32_e32 v37, vcc, 0, v37, vcc
                                        ; implicit-def: $vgpr1
	s_waitcnt vmcnt(0)
	ds_write_b128 v245, v[80:83]
	global_load_dwordx4 v[80:83], v[36:37], off
	s_waitcnt vmcnt(0)
	ds_write_b128 v246, v[80:83]
	s_waitcnt lgkmcnt(0)
	s_barrier
	ds_read2_b64 v[80:83], v121 offset1:4
	s_waitcnt lgkmcnt(0)
	v_mfma_f32_16x16x16f16 a[0:3], v[80:81], v[30:31], 0
	v_mfma_f32_16x16x16f16 a[0:3], v[82:83], v[32:33], a[0:3]
	ds_read2_b64 v[30:33], v121 offset0:8 offset1:12
	s_waitcnt lgkmcnt(0)
	v_mfma_f32_16x16x16f16 a[0:3], v[30:31], v[26:27], a[0:3]
	v_mfma_f32_16x16x16f16 a[0:3], v[32:33], v[28:29], a[0:3]
	ds_read2_b64 v[26:29], v121 offset0:16 offset1:20
	;; [unrolled: 4-line block ×7, first 2 shown]
	s_waitcnt lgkmcnt(0)
	s_barrier
	v_mfma_f32_16x16x16f16 a[0:3], v[6:7], v[2:3], a[0:3]
	v_mfma_f32_16x16x16f16 a[0:3], v[8:9], v[4:5], a[0:3]
	s_nop 7
	s_nop 2
	v_accvgpr_read_b32 v2, a0
	v_cmp_nlt_f32_e64 s[8:9], |v2|, s43
	s_and_saveexec_b64 s[10:11], s[8:9]
	s_xor_b64 s[8:9], exec, s[10:11]
	s_cbranch_execz .LBB30_203
; %bb.202:                              ;   in Loop: Header=BB30_14 Depth=1
	v_add_f32_e64 v1, |v2|, |v2|
	v_mul_f32_e32 v2, 0x3fb8aa3b, v1
	v_rndne_f32_e32 v3, v2
	v_sub_f32_e32 v4, v2, v3
	v_fma_f32 v2, v1, s67, -v2
	v_fmac_f32_e32 v2, 0x32a5705f, v1
	v_add_f32_e32 v2, v4, v2
	v_cvt_i32_f32_e32 v3, v3
	v_exp_f32_e32 v2, v2
	v_cmp_ngt_f32_e32 vcc, s95, v1
	v_ldexp_f32 v2, v2, v3
	v_cndmask_b32_e32 v2, 0, v2, vcc
	v_cmp_nlt_f32_e32 vcc, s56, v1
	v_cndmask_b32_e32 v1, v186, v2, vcc
	v_add_f32_e32 v1, 1.0, v1
	v_rcp_f32_e32 v1, v1
                                        ; implicit-def: $vgpr2
	v_fma_f32 v1, v1, -2.0, 1.0
.LBB30_203:                             ;   in Loop: Header=BB30_14 Depth=1
	s_andn2_saveexec_b64 s[8:9], s[8:9]
; %bb.204:                              ;   in Loop: Header=BB30_14 Depth=1
	v_mul_f32_e32 v1, v2, v2
	v_mov_b32_e32 v3, 0x3ca908c9
	v_fmac_f32_e32 v3, 0xbbbac73d, v1
	v_fma_f32 v3, v1, v3, v191
	v_fma_f32 v3, v1, v3, v192
	;; [unrolled: 1-line block ×3, first 2 shown]
	v_mul_f32_e64 v3, |v2|, v3
	v_fma_f32 v1, v1, v3, |v2|
; %bb.205:                              ;   in Loop: Header=BB30_14 Depth=1
	s_or_b64 exec, exec, s[8:9]
	v_accvgpr_read_b32 v5, a3
	v_accvgpr_read_b32 v3, a1
	;; [unrolled: 1-line block ×4, first 2 shown]
	v_cmp_nlt_f32_e64 s[8:9], |v3|, s43
                                        ; implicit-def: $vgpr6
	s_and_saveexec_b64 s[10:11], s[8:9]
	s_xor_b64 s[8:9], exec, s[10:11]
	s_cbranch_execz .LBB30_207
; %bb.206:                              ;   in Loop: Header=BB30_14 Depth=1
	v_add_f32_e64 v6, |v3|, |v3|
	v_mul_f32_e32 v7, 0x3fb8aa3b, v6
	v_rndne_f32_e32 v8, v7
	v_sub_f32_e32 v9, v7, v8
	v_fma_f32 v7, v6, s67, -v7
	v_fmac_f32_e32 v7, 0x32a5705f, v6
	v_add_f32_e32 v7, v9, v7
	v_cvt_i32_f32_e32 v8, v8
	v_exp_f32_e32 v7, v7
	v_cmp_ngt_f32_e32 vcc, s95, v6
	v_ldexp_f32 v7, v7, v8
	v_cndmask_b32_e32 v7, 0, v7, vcc
	v_cmp_nlt_f32_e32 vcc, s56, v6
	v_cndmask_b32_e32 v6, v186, v7, vcc
	v_add_f32_e32 v6, 1.0, v6
	v_rcp_f32_e32 v6, v6
	v_fma_f32 v6, v6, -2.0, 1.0
.LBB30_207:                             ;   in Loop: Header=BB30_14 Depth=1
	s_andn2_saveexec_b64 s[8:9], s[8:9]
; %bb.208:                              ;   in Loop: Header=BB30_14 Depth=1
	v_mul_f32_e32 v6, v3, v3
	v_mov_b32_e32 v7, 0x3ca908c9
	v_fmac_f32_e32 v7, 0xbbbac73d, v6
	v_fma_f32 v7, v6, v7, v191
	v_fma_f32 v7, v6, v7, v192
	;; [unrolled: 1-line block ×3, first 2 shown]
	v_mul_f32_e64 v7, |v3|, v7
	v_fma_f32 v6, v6, v7, |v3|
; %bb.209:                              ;   in Loop: Header=BB30_14 Depth=1
	s_or_b64 exec, exec, s[8:9]
	v_cmp_nlt_f32_e64 s[8:9], |v4|, s43
                                        ; implicit-def: $vgpr7
	s_and_saveexec_b64 s[10:11], s[8:9]
	s_xor_b64 s[8:9], exec, s[10:11]
	s_cbranch_execz .LBB30_211
; %bb.210:                              ;   in Loop: Header=BB30_14 Depth=1
	v_add_f32_e64 v7, |v4|, |v4|
	v_mul_f32_e32 v8, 0x3fb8aa3b, v7
	v_rndne_f32_e32 v9, v8
	v_sub_f32_e32 v10, v8, v9
	v_fma_f32 v8, v7, s67, -v8
	v_fmac_f32_e32 v8, 0x32a5705f, v7
	v_add_f32_e32 v8, v10, v8
	v_cvt_i32_f32_e32 v9, v9
	v_exp_f32_e32 v8, v8
	v_cmp_ngt_f32_e32 vcc, s95, v7
	v_ldexp_f32 v8, v8, v9
	v_cndmask_b32_e32 v8, 0, v8, vcc
	v_cmp_nlt_f32_e32 vcc, s56, v7
	v_cndmask_b32_e32 v7, v186, v8, vcc
	v_add_f32_e32 v7, 1.0, v7
	v_rcp_f32_e32 v7, v7
	v_fma_f32 v7, v7, -2.0, 1.0
.LBB30_211:                             ;   in Loop: Header=BB30_14 Depth=1
	s_andn2_saveexec_b64 s[8:9], s[8:9]
; %bb.212:                              ;   in Loop: Header=BB30_14 Depth=1
	v_mul_f32_e32 v7, v4, v4
	v_mov_b32_e32 v8, 0x3ca908c9
	v_fmac_f32_e32 v8, 0xbbbac73d, v7
	v_fma_f32 v8, v7, v8, v191
	v_fma_f32 v8, v7, v8, v192
	;; [unrolled: 1-line block ×3, first 2 shown]
	v_mul_f32_e64 v8, |v4|, v8
	v_fma_f32 v7, v7, v8, |v4|
; %bb.213:                              ;   in Loop: Header=BB30_14 Depth=1
	s_or_b64 exec, exec, s[8:9]
	v_cmp_nlt_f32_e64 s[8:9], |v5|, s43
                                        ; implicit-def: $vgpr8
	s_and_saveexec_b64 s[10:11], s[8:9]
	s_xor_b64 s[8:9], exec, s[10:11]
	s_cbranch_execz .LBB30_215
; %bb.214:                              ;   in Loop: Header=BB30_14 Depth=1
	v_add_f32_e64 v8, |v5|, |v5|
	v_mul_f32_e32 v9, 0x3fb8aa3b, v8
	v_rndne_f32_e32 v10, v9
	v_sub_f32_e32 v11, v9, v10
	v_fma_f32 v9, v8, s67, -v9
	v_fmac_f32_e32 v9, 0x32a5705f, v8
	v_add_f32_e32 v9, v11, v9
	v_cvt_i32_f32_e32 v10, v10
	v_exp_f32_e32 v9, v9
	v_cmp_ngt_f32_e32 vcc, s95, v8
	v_ldexp_f32 v9, v9, v10
	v_cndmask_b32_e32 v9, 0, v9, vcc
	v_cmp_nlt_f32_e32 vcc, s56, v8
	v_cndmask_b32_e32 v8, v186, v9, vcc
	v_add_f32_e32 v8, 1.0, v8
	v_rcp_f32_e32 v8, v8
	v_fma_f32 v8, v8, -2.0, 1.0
.LBB30_215:                             ;   in Loop: Header=BB30_14 Depth=1
	s_andn2_saveexec_b64 s[8:9], s[8:9]
; %bb.216:                              ;   in Loop: Header=BB30_14 Depth=1
	v_mul_f32_e32 v8, v5, v5
	v_mov_b32_e32 v9, 0x3ca908c9
	v_fmac_f32_e32 v9, 0xbbbac73d, v8
	v_fma_f32 v9, v8, v9, v191
	v_fma_f32 v9, v8, v9, v192
	;; [unrolled: 1-line block ×3, first 2 shown]
	v_mul_f32_e64 v9, |v5|, v9
	v_fma_f32 v8, v8, v9, |v5|
; %bb.217:                              ;   in Loop: Header=BB30_14 Depth=1
	s_or_b64 exec, exec, s[8:9]
	v_bfi_b32 v2, s59, v1, v2
	v_add_u32_e32 v1, 0x8400, v122
	v_bfi_b32 v3, s59, v6, v3
	v_bfi_b32 v4, s59, v7, v4
	ds_read2_b32 v[6:7], v1 offset1:1
	v_and_b32_e32 v1, 64, v238
	v_bfi_b32 v5, s59, v8, v5
	v_add_u32_e32 v1, 64, v1
	v_xor_b32_e32 v8, 32, v238
	v_cmp_lt_i32_e32 vcc, v8, v1
	v_cndmask_b32_e32 v8, v238, v8, vcc
	v_lshlrev_b32_e32 v36, 2, v8
	v_xor_b32_e32 v8, 16, v238
	v_cmp_lt_i32_e32 vcc, v8, v1
	v_cndmask_b32_e32 v1, v238, v8, vcc
	s_waitcnt lgkmcnt(0)
	v_cvt_f32_f16_e32 v8, v6
	v_cvt_f32_f16_sdwa v9, v6 dst_sel:DWORD dst_unused:UNUSED_PAD src0_sel:WORD_1
	v_lshlrev_b32_e32 v37, 2, v1
	s_mul_i32 s8, s60, s31
	s_mul_hi_u32 s9, s60, s30
	v_pk_fma_f32 v[8:9], v[2:3], s[34:35], v[8:9]
	v_add_f32_e32 v1, 0x40051340, v8
	v_add_f32_e32 v2, 0x40051340, v9
	v_max3_f32 v1, v34, v1, v2
	v_cvt_f32_f16_e32 v2, v7
	v_cvt_f32_f16_sdwa v3, v7 dst_sel:DWORD dst_unused:UNUSED_PAD src0_sel:WORD_1
	s_add_i32 s9, s9, s8
	s_mul_i32 s8, s60, s30
	s_lshl_b64 s[8:9], s[8:9], 2
	v_pk_fma_f32 v[4:5], v[4:5], s[34:35], v[2:3]
	v_add_f32_e32 v2, 0x40051340, v4
	v_add_f32_e32 v3, 0x40051340, v5
	v_max3_f32 v1, v1, v2, v3
	ds_bpermute_b32 v2, v36, v1
	s_add_u32 s8, s79, s8
	s_addc_u32 s9, s80, s9
	s_cmp_eq_u64 s[72:73], 0
	s_waitcnt lgkmcnt(0)
	v_max_f32_e32 v2, v2, v2
	v_max_f32_e32 v1, v1, v2
	ds_bpermute_b32 v2, v37, v1
	s_waitcnt lgkmcnt(0)
	v_max_f32_e32 v2, v2, v2
	v_max_f32_e32 v2, v1, v2
	v_pk_add_f32 v[6:7], v[8:9], v[2:3] op_sel_hi:[1,0] neg_lo:[0,1] neg_hi:[0,1]
	v_mul_f32_e32 v1, 0x3fb8aa3b, v7
	v_fma_f32 v3, v7, s67, -v1
	v_rndne_f32_e32 v8, v1
	v_fmac_f32_e32 v3, 0x32a5705f, v7
	v_sub_f32_e32 v1, v1, v8
	v_add_f32_e32 v1, v1, v3
	v_exp_f32_e32 v1, v1
	v_cvt_i32_f32_e32 v3, v8
	v_cmp_ngt_f32_e32 vcc, s95, v7
	v_ldexp_f32 v1, v1, v3
	v_cndmask_b32_e32 v1, 0, v1, vcc
	v_cmp_nlt_f32_e32 vcc, s56, v7
	v_cndmask_b32_e32 v43, v186, v1, vcc
	v_mul_f32_e32 v1, 0x3fb8aa3b, v6
	v_fma_f32 v3, v6, s67, -v1
	v_rndne_f32_e32 v7, v1
	v_fmac_f32_e32 v3, 0x32a5705f, v6
	v_sub_f32_e32 v1, v1, v7
	v_add_f32_e32 v1, v1, v3
	v_exp_f32_e32 v1, v1
	v_cvt_i32_f32_e32 v3, v7
	v_cmp_ngt_f32_e32 vcc, s95, v6
	v_ldexp_f32 v1, v1, v3
	v_cndmask_b32_e32 v1, 0, v1, vcc
	v_cmp_nlt_f32_e32 vcc, s56, v6
	v_pk_add_f32 v[4:5], v[4:5], v[2:3] op_sel_hi:[1,0] neg_lo:[0,1] neg_hi:[0,1]
	v_cndmask_b32_e32 v77, v186, v1, vcc
	v_mul_f32_e32 v1, 0x3fb8aa3b, v5
	v_fma_f32 v3, v5, s67, -v1
	v_rndne_f32_e32 v6, v1
	v_fmac_f32_e32 v3, 0x32a5705f, v5
	v_sub_f32_e32 v1, v1, v6
	v_add_f32_e32 v1, v1, v3
	v_exp_f32_e32 v1, v1
	v_cvt_i32_f32_e32 v3, v6
	v_cmp_ngt_f32_e32 vcc, s95, v5
	v_ldexp_f32 v1, v1, v3
	v_cndmask_b32_e32 v1, 0, v1, vcc
	v_cmp_nlt_f32_e32 vcc, s56, v5
	v_cndmask_b32_e32 v5, v186, v1, vcc
	v_mul_f32_e32 v1, 0x3fb8aa3b, v4
	v_fma_f32 v3, v4, s67, -v1
	v_rndne_f32_e32 v6, v1
	v_fmac_f32_e32 v3, 0x32a5705f, v4
	v_sub_f32_e32 v1, v1, v6
	v_add_f32_e32 v1, v1, v3
	v_exp_f32_e32 v1, v1
	v_cvt_i32_f32_e32 v3, v6
	v_cmp_ngt_f32_e32 vcc, s95, v4
	v_ldexp_f32 v1, v1, v3
	v_cndmask_b32_e32 v1, 0, v1, vcc
	v_cmp_nlt_f32_e32 vcc, s56, v4
	v_cndmask_b32_e32 v79, v186, v1, vcc
	v_add_f32_e32 v1, v77, v43
	v_add_f32_e32 v1, v79, v1
	;; [unrolled: 1-line block ×3, first 2 shown]
	v_sub_f32_e32 v1, v34, v2
	v_mul_f32_e32 v4, 0x3fb8aa3b, v1
	v_fma_f32 v6, v1, s67, -v4
	v_rndne_f32_e32 v7, v4
	v_fmac_f32_e32 v6, 0x32a5705f, v1
	v_sub_f32_e32 v4, v4, v7
	v_add_f32_e32 v4, v4, v6
	v_exp_f32_e32 v4, v4
	v_cvt_i32_f32_e32 v6, v7
	v_cmp_ngt_f32_e32 vcc, s95, v1
	v_cvt_f16_f32_e32 v43, v43
	v_cvt_f16_f32_e32 v5, v5
	v_ldexp_f32 v4, v4, v6
	v_cndmask_b32_e32 v4, 0, v4, vcc
	v_cmp_nlt_f32_e32 vcc, s56, v1
	v_cndmask_b32_e32 v4, v186, v4, vcc
	v_cmp_le_f32_e32 vcc, s66, v1
	v_cndmask_b32_e32 v1, 0, v4, vcc
	v_cvt_f16_f32_e32 v4, v1
	v_fmac_f32_e32 v3, v35, v1
	v_pk_mul_f16 v6, v4, v151 op_sel_hi:[0,1]
	v_pk_mul_f16 v1, v4, v185 op_sel_hi:[0,1]
	;; [unrolled: 1-line block ×32, first 2 shown]
	v_cvt_f16_f32_e32 v4, v77
	v_mov_b32_e32 v77, s9
	v_pack_b32_f16 v4, v4, v43
	v_cvt_f16_f32_e32 v43, v79
	v_pack_b32_f16 v5, v43, v5
	v_add_co_u32_e32 v43, vcc, s8, v44
	v_addc_co_u32_e32 v77, vcc, v77, v45, vcc
	v_add_co_u32_e32 v80, vcc, v43, v127
	v_addc_co_u32_e32 v81, vcc, 0, v77, vcc
	global_load_dwordx4 v[80:83], v[80:81], off
	v_add_co_u32_e32 v43, vcc, s8, v46
	v_mov_b32_e32 v77, s9
	v_addc_co_u32_e32 v77, vcc, v77, v47, vcc
	s_waitcnt vmcnt(0)
	ds_write_b128 v120, v[80:83]
	v_add_co_u32_e32 v80, vcc, v43, v127
	v_addc_co_u32_e32 v81, vcc, 0, v77, vcc
	global_load_dwordx4 v[80:83], v[80:81], off
	v_add_co_u32_e32 v43, vcc, s8, v48
	v_mov_b32_e32 v77, s9
	v_addc_co_u32_e32 v77, vcc, v77, v49, vcc
	s_waitcnt vmcnt(0)
	ds_write_b128 v240, v[80:83]
	v_add_co_u32_e32 v80, vcc, v43, v127
	v_addc_co_u32_e32 v81, vcc, 0, v77, vcc
	global_load_dwordx4 v[80:83], v[80:81], off
	v_add_co_u32_e32 v43, vcc, s8, v50
	v_mov_b32_e32 v77, s9
	v_addc_co_u32_e32 v77, vcc, v77, v51, vcc
	s_waitcnt vmcnt(0)
	ds_write_b128 v241, v[80:83]
	v_add_co_u32_e32 v80, vcc, v43, v127
	v_addc_co_u32_e32 v81, vcc, 0, v77, vcc
	global_load_dwordx4 v[80:83], v[80:81], off
	v_add_co_u32_e32 v43, vcc, s8, v52
	v_mov_b32_e32 v77, s9
	v_addc_co_u32_e32 v77, vcc, v77, v53, vcc
	s_waitcnt vmcnt(0)
	ds_write_b128 v242, v[80:83]
	v_add_co_u32_e32 v80, vcc, v43, v127
	v_addc_co_u32_e32 v81, vcc, 0, v77, vcc
	global_load_dwordx4 v[80:83], v[80:81], off
	v_add_co_u32_e32 v43, vcc, s8, v54
	v_mov_b32_e32 v77, s9
	v_addc_co_u32_e32 v77, vcc, v77, v55, vcc
	s_waitcnt vmcnt(0)
	ds_write_b128 v243, v[80:83]
	v_add_co_u32_e32 v80, vcc, v43, v127
	v_addc_co_u32_e32 v81, vcc, 0, v77, vcc
	global_load_dwordx4 v[80:83], v[80:81], off
	v_add_co_u32_e32 v43, vcc, s8, v56
	v_mov_b32_e32 v77, s9
	v_addc_co_u32_e32 v77, vcc, v77, v57, vcc
	s_waitcnt vmcnt(0)
	ds_write_b128 v244, v[80:83]
	v_add_co_u32_e32 v80, vcc, v43, v127
	v_addc_co_u32_e32 v81, vcc, 0, v77, vcc
	global_load_dwordx4 v[80:83], v[80:81], off
	v_add_co_u32_e32 v43, vcc, s8, v58
	v_mov_b32_e32 v77, s9
	v_addc_co_u32_e32 v77, vcc, v77, v59, vcc
	s_cselect_b64 s[8:9], -1, 0
	s_xor_b64 s[10:11], s[0:1], -1
	s_or_b64 s[8:9], s[10:11], s[8:9]
	s_waitcnt vmcnt(0)
	ds_write_b128 v245, v[80:83]
	v_add_co_u32_e32 v80, vcc, v43, v127
	v_addc_co_u32_e32 v81, vcc, 0, v77, vcc
	global_load_dwordx4 v[80:83], v[80:81], off
	s_waitcnt vmcnt(0)
	ds_write_b128 v246, v[80:83]
	s_waitcnt lgkmcnt(0)
	s_barrier
	ds_read_u16 v43, v124 offset:528
	ds_read_u16 v77, v124 offset:1056
	v_cvt_f32_f16_e32 v82, v1
	v_cvt_f32_f16_sdwa v83, v1 dst_sel:DWORD dst_unused:UNUSED_PAD src0_sel:WORD_1
	ds_read_u16 v1, v125
	ds_read_u16 v79, v125 offset:32
	v_cvt_f32_f16_e32 v80, v6
	v_cvt_f32_f16_sdwa v81, v6 dst_sel:DWORD dst_unused:UNUSED_PAD src0_sel:WORD_1
	s_waitcnt lgkmcnt(1)
	v_perm_b32 v85, v1, v77, s7
	ds_read_u16 v1, v123
	ds_read_u16 v77, v123 offset:32
	v_accvgpr_write_b32 a0, v80
	v_accvgpr_write_b32 a1, v81
	;; [unrolled: 1-line block ×3, first 2 shown]
	s_waitcnt lgkmcnt(1)
	v_perm_b32 v84, v43, v1, s7
	v_accvgpr_write_b32 a3, v83
	v_cvt_f32_f16_sdwa v81, v8 dst_sel:DWORD dst_unused:UNUSED_PAD src0_sel:WORD_1
	v_cvt_f32_f16_e32 v82, v7
	v_mfma_f32_16x16x16f16 a[0:3], v[84:85], v[4:5], a[0:3]
	v_cvt_f32_f16_sdwa v83, v7 dst_sel:DWORD dst_unused:UNUSED_PAD src0_sel:WORD_1
	s_nop 7
	s_nop 1
	v_accvgpr_read_b32 v1, a0
	v_accvgpr_read_b32 v6, a1
	;; [unrolled: 1-line block ×4, first 2 shown]
	v_cvt_f16_f32_e32 v1, v1
	v_cvt_f16_f32_e32 v6, v6
	;; [unrolled: 1-line block ×4, first 2 shown]
	v_pack_b32_f16 v6, v1, v6
	v_pack_b32_f16 v1, v43, v80
	ds_read_u16 v43, v247 offset:528
	ds_read_u16 v84, v247 offset:1056
	v_cvt_f32_f16_e32 v80, v8
	s_waitcnt lgkmcnt(0)
	v_perm_b32 v85, v79, v84, s7
	v_perm_b32 v84, v43, v77, s7
	v_accvgpr_write_b32 a0, v80
	v_accvgpr_write_b32 a1, v81
	;; [unrolled: 1-line block ×4, first 2 shown]
	v_cvt_f32_f16_e32 v80, v10
	v_cvt_f32_f16_sdwa v81, v10 dst_sel:DWORD dst_unused:UNUSED_PAD src0_sel:WORD_1
	v_mfma_f32_16x16x16f16 a[0:3], v[84:85], v[4:5], a[0:3]
	v_cvt_f32_f16_e32 v82, v9
	v_cvt_f32_f16_sdwa v83, v9 dst_sel:DWORD dst_unused:UNUSED_PAD src0_sel:WORD_1
	s_nop 7
	s_nop 0
	v_accvgpr_read_b32 v7, a0
	v_accvgpr_read_b32 v8, a1
	v_accvgpr_read_b32 v43, a2
	v_accvgpr_read_b32 v77, a3
	v_cvt_f16_f32_e32 v7, v7
	v_cvt_f16_f32_e32 v8, v8
	v_cvt_f16_f32_e32 v43, v43
	v_cvt_f16_f32_e32 v77, v77
	v_accvgpr_write_b32 a0, v80
	v_pack_b32_f16 v8, v7, v8
	v_accvgpr_write_b32 a1, v81
	v_pack_b32_f16 v7, v43, v77
	ds_read_u16 v43, v123 offset:64
	ds_read_u16 v77, v248 offset:528
	ds_read_u16 v79, v248 offset:1056
	ds_read_u16 v84, v125 offset:64
	v_accvgpr_write_b32 a2, v82
	v_accvgpr_write_b32 a3, v83
	v_cvt_f32_f16_e32 v80, v12
	v_cvt_f32_f16_sdwa v81, v12 dst_sel:DWORD dst_unused:UNUSED_PAD src0_sel:WORD_1
	s_waitcnt lgkmcnt(0)
	v_perm_b32 v85, v84, v79, s7
	v_perm_b32 v84, v77, v43, s7
	v_cvt_f32_f16_e32 v82, v11
	v_cvt_f32_f16_sdwa v83, v11 dst_sel:DWORD dst_unused:UNUSED_PAD src0_sel:WORD_1
	v_mfma_f32_16x16x16f16 a[0:3], v[84:85], v[4:5], a[0:3]
	s_nop 7
	s_nop 2
	v_accvgpr_read_b32 v9, a0
	v_accvgpr_read_b32 v10, a1
	v_accvgpr_read_b32 v43, a2
	v_accvgpr_read_b32 v77, a3
	v_cvt_f16_f32_e32 v9, v9
	v_cvt_f16_f32_e32 v10, v10
	v_cvt_f16_f32_e32 v43, v43
	v_cvt_f16_f32_e32 v77, v77
	v_accvgpr_write_b32 a0, v80
	v_pack_b32_f16 v10, v9, v10
	v_accvgpr_write_b32 a1, v81
	v_pack_b32_f16 v9, v43, v77
	ds_read_u16 v43, v123 offset:96
	ds_read_u16 v77, v249 offset:528
	ds_read_u16 v79, v249 offset:1056
	ds_read_u16 v84, v125 offset:96
	v_accvgpr_write_b32 a2, v82
	v_accvgpr_write_b32 a3, v83
	v_cvt_f32_f16_e32 v80, v14
	v_cvt_f32_f16_sdwa v81, v14 dst_sel:DWORD dst_unused:UNUSED_PAD src0_sel:WORD_1
	s_waitcnt lgkmcnt(0)
	v_perm_b32 v85, v84, v79, s7
	v_perm_b32 v84, v77, v43, s7
	v_cvt_f32_f16_e32 v82, v13
	v_cvt_f32_f16_sdwa v83, v13 dst_sel:DWORD dst_unused:UNUSED_PAD src0_sel:WORD_1
	v_mfma_f32_16x16x16f16 a[0:3], v[84:85], v[4:5], a[0:3]
	;; [unrolled: 28-line block ×12, first 2 shown]
	s_nop 7
	s_nop 2
	v_accvgpr_read_b32 v31, a0
	v_accvgpr_read_b32 v32, a1
	;; [unrolled: 1-line block ×4, first 2 shown]
	v_cvt_f16_f32_e32 v31, v31
	v_cvt_f16_f32_e32 v32, v32
	;; [unrolled: 1-line block ×4, first 2 shown]
	v_accvgpr_write_b32 a0, v80
	v_pack_b32_f16 v32, v31, v32
	v_accvgpr_write_b32 a1, v81
	v_pack_b32_f16 v31, v43, v77
	ds_read_u16 v43, v123 offset:448
	ds_read_u16 v77, v200 offset:528
	ds_read_u16 v79, v200 offset:1056
	ds_read_u16 v84, v125 offset:448
	v_accvgpr_write_b32 a2, v82
	v_accvgpr_write_b32 a3, v83
	v_cvt_f32_f16_e32 v82, v39
	v_cvt_f32_f16_sdwa v83, v39 dst_sel:DWORD dst_unused:UNUSED_PAD src0_sel:WORD_1
	s_waitcnt lgkmcnt(0)
	v_perm_b32 v85, v84, v79, s7
	v_perm_b32 v84, v77, v43, s7
	s_nop 1
	v_mfma_f32_16x16x16f16 a[0:3], v[84:85], v[4:5], a[0:3]
	v_cvt_f32_f16_e32 v84, v35
	v_cvt_f32_f16_sdwa v85, v35 dst_sel:DWORD dst_unused:UNUSED_PAD src0_sel:WORD_1
	s_nop 7
	s_nop 0
	v_accvgpr_read_b32 v33, a0
	v_accvgpr_read_b32 v34, a1
	;; [unrolled: 1-line block ×4, first 2 shown]
	v_cvt_f16_f32_e32 v33, v33
	v_cvt_f16_f32_e32 v34, v34
	;; [unrolled: 1-line block ×4, first 2 shown]
	v_accvgpr_write_b32 a0, v82
	v_pack_b32_f16 v34, v33, v34
	v_accvgpr_write_b32 a1, v83
	v_pack_b32_f16 v33, v43, v77
	ds_read_u16 v43, v123 offset:480
	ds_read_u16 v77, v195 offset:528
	ds_read_u16 v79, v195 offset:1056
	ds_read_u16 v80, v125 offset:480
	v_accvgpr_write_b32 a2, v84
	v_accvgpr_write_b32 a3, v85
	s_waitcnt lgkmcnt(0)
	s_barrier
	v_perm_b32 v81, v80, v79, s7
	v_perm_b32 v80, v77, v43, s7
	s_nop 1
	v_mfma_f32_16x16x16f16 a[0:3], v[80:81], v[4:5], a[0:3]
	s_nop 7
	s_nop 2
	v_accvgpr_read_b32 v4, a0
	v_accvgpr_read_b32 v5, a1
	;; [unrolled: 1-line block ×4, first 2 shown]
	v_cvt_f16_f32_e32 v4, v4
	v_cvt_f16_f32_e32 v5, v5
	;; [unrolled: 1-line block ×4, first 2 shown]
	v_pack_b32_f16 v4, v4, v5
	v_pack_b32_f16 v5, v35, v39
	ds_bpermute_b32 v35, v36, v3
	s_waitcnt lgkmcnt(0)
	v_add_f32_e32 v3, v3, v35
	ds_bpermute_b32 v35, v37, v3
	s_waitcnt lgkmcnt(0)
	v_add_f32_e32 v3, v3, v35
	s_and_saveexec_b64 s[10:11], s[8:9]
	s_xor_b64 s[8:9], exec, s[10:11]
	s_andn2_saveexec_b64 s[8:9], s[8:9]
	s_cbranch_execz .LBB30_219
; %bb.218:                              ;   in Loop: Header=BB30_14 Depth=1
	v_lshlrev_b32_e32 v35, 2, v78
	global_load_dword v35, v35, s[72:73]
	v_max_f32_e32 v39, v2, v2
	s_waitcnt vmcnt(0)
	v_max_f32_e32 v43, v35, v35
	v_max_f32_e32 v80, v39, v43
	v_sub_f32_e32 v2, v2, v80
	v_sub_f32_e32 v35, v35, v80
	v_mul_f32_e32 v39, 0x3fb8aa3b, v2
	v_mul_f32_e32 v43, 0x3fb8aa3b, v35
	v_fma_f32 v77, v2, s67, -v39
	v_rndne_f32_e32 v79, v39
	v_fma_f32 v81, v35, s67, -v43
	v_rndne_f32_e32 v82, v43
	v_fmac_f32_e32 v77, 0x32a5705f, v2
	v_sub_f32_e32 v39, v39, v79
	v_fmac_f32_e32 v81, 0x32a5705f, v35
	v_sub_f32_e32 v43, v43, v82
	v_add_f32_e32 v39, v39, v77
	v_cvt_i32_f32_e32 v79, v79
	v_add_f32_e32 v43, v43, v81
	v_exp_f32_e32 v39, v39
	v_cvt_i32_f32_e32 v82, v82
	v_exp_f32_e32 v43, v43
	v_cmp_ngt_f32_e32 vcc, s95, v2
	v_ldexp_f32 v39, v39, v79
	v_cndmask_b32_e32 v39, 0, v39, vcc
	v_ldexp_f32 v43, v43, v82
	v_cmp_ngt_f32_e32 vcc, s95, v35
	v_cndmask_b32_e32 v43, 0, v43, vcc
	v_cmp_nlt_f32_e32 vcc, s56, v2
	v_cndmask_b32_e32 v39, v186, v39, vcc
	v_cmp_le_f32_e32 vcc, s66, v2
	v_cndmask_b32_e32 v2, 0, v39, vcc
	v_cvt_f16_f32_e32 v39, v2
	v_cmp_nlt_f32_e32 vcc, s56, v35
	v_cndmask_b32_e32 v81, v186, v43, vcc
	v_fmac_f32_e32 v81, v3, v2
	v_pk_mul_f16 v6, v39, v6 op_sel_hi:[0,1]
	v_pk_mul_f16 v1, v39, v1 op_sel_hi:[0,1]
	;; [unrolled: 1-line block ×32, first 2 shown]
	v_pk_mov_b32 v[2:3], v[80:81], v[80:81] op_sel:[0,1]
.LBB30_219:                             ;   in Loop: Header=BB30_14 Depth=1
	s_or_b64 exec, exec, s[8:9]
	s_and_saveexec_b64 s[8:9], s[4:5]
	s_cbranch_execz .LBB30_221
; %bb.220:                              ;   in Loop: Header=BB30_14 Depth=1
	v_add_u32_e32 v35, 0, v130
	ds_write2_b32 v35, v2, v3 offset0:128 offset1:129
.LBB30_221:                             ;   in Loop: Header=BB30_14 Depth=1
	s_or_b64 exec, exec, s[8:9]
	s_waitcnt lgkmcnt(0)
	s_barrier
	s_and_saveexec_b64 s[8:9], s[2:3]
	s_xor_b64 s[8:9], exec, s[8:9]
	s_cbranch_execz .LBB30_223
; %bb.222:                              ;   in Loop: Header=BB30_14 Depth=1
	s_barrier
	s_waitcnt lgkmcnt(0)
                                        ; implicit-def: $vgpr36
                                        ; implicit-def: $vgpr37
.LBB30_223:                             ;   in Loop: Header=BB30_14 Depth=1
	s_andn2_saveexec_b64 s[8:9], s[8:9]
	s_cbranch_execz .LBB30_225
; %bb.224:                              ;   in Loop: Header=BB30_14 Depth=1
	v_add_u32_e32 v35, 0, v131
	ds_read_b64 v[2:3], v35 offset:512
	s_waitcnt lgkmcnt(0)
	s_barrier
	ds_bpermute_b32 v39, v36, v2
	v_max_f32_e32 v43, v2, v2
	s_waitcnt lgkmcnt(0)
	v_max_f32_e32 v39, v39, v39
	v_max_f32_e32 v39, v43, v39
	ds_bpermute_b32 v43, v37, v39
	s_waitcnt lgkmcnt(0)
	v_max_f32_e32 v43, v43, v43
	v_max_f32_e32 v39, v39, v43
	v_sub_f32_e32 v2, v2, v39
	v_mul_f32_e32 v39, 0x3fb8aa3b, v2
	v_fma_f32 v43, v2, s67, -v39
	v_rndne_f32_e32 v77, v39
	v_fmac_f32_e32 v43, 0x32a5705f, v2
	v_sub_f32_e32 v39, v39, v77
	v_add_f32_e32 v39, v39, v43
	v_cvt_i32_f32_e32 v77, v77
	v_exp_f32_e32 v39, v39
	v_cmp_ngt_f32_e32 vcc, s95, v2
	v_ldexp_f32 v39, v39, v77
	v_cndmask_b32_e32 v39, 0, v39, vcc
	v_cmp_nlt_f32_e32 vcc, s56, v2
	v_cndmask_b32_e32 v2, v186, v39, vcc
	v_mul_f32_e32 v39, v3, v2
	ds_bpermute_b32 v36, v36, v39
	s_waitcnt lgkmcnt(0)
	v_fmac_f32_e32 v36, v3, v2
	ds_bpermute_b32 v3, v37, v36
	s_waitcnt lgkmcnt(0)
	v_add_f32_e32 v3, v36, v3
	ds_write_b64 v35, v[2:3] offset:512
.LBB30_225:                             ;   in Loop: Header=BB30_14 Depth=1
	s_or_b64 exec, exec, s[8:9]
	ds_write2_b32 v132, v6, v1 offset1:1
	ds_write2_b32 v132, v8, v7 offset0:8 offset1:9
	ds_write2_b32 v132, v10, v9 offset0:16 offset1:17
	;; [unrolled: 1-line block ×15, first 2 shown]
	s_waitcnt lgkmcnt(0)
	s_barrier
	s_and_saveexec_b64 s[72:73], s[0:1]
	s_cbranch_execz .LBB30_12
; %bb.226:                              ;   in Loop: Header=BB30_14 Depth=1
	v_add_u32_e32 v4, s76, v190
	v_or_b32_e32 v1, s6, v194
	v_cmp_gt_i32_e32 vcc, s28, v4
	v_cmp_gt_i32_e64 s[8:9], s33, v1
	s_and_b64 s[52:53], vcc, s[8:9]
	v_mov_b32_e32 v1, 0x47
	s_and_saveexec_b64 s[10:11], s[52:53]
	s_cbranch_execz .LBB30_228
; %bb.227:                              ;   in Loop: Header=BB30_14 Depth=1
	v_mul_lo_u32 v4, v4, s29
	v_add_lshl_u32 v5, v4, v194, 7
	v_add_u32_e32 v1, 0, v134
	v_add_u32_e32 v12, v38, v5
	ds_read2_b32 v[2:3], v1 offset0:128 offset1:129
	ds_read2st64_b32 v[6:7], v1 offset0:35 offset1:68
	ds_read_b32 v4, v1 offset:25856
	ds_read2st64_b32 v[8:9], v133 offset1:1
	ds_read2st64_b32 v[10:11], v133 offset0:33 offset1:66
	ds_read_b32 v1, v133 offset:25344
	v_ashrrev_i32_e32 v13, 31, v12
	v_lshlrev_b64 v[12:13], 3, v[12:13]
	v_add_co_u32_e32 v12, vcc, s57, v12
	v_mov_b32_e32 v14, s51
	v_addc_co_u32_e32 v13, vcc, v14, v13, vcc
	s_waitcnt lgkmcnt(2)
	v_cvt_f32_f16_sdwa v15, v8 dst_sel:DWORD dst_unused:UNUSED_PAD src0_sel:WORD_1
	v_cvt_f32_f16_e32 v14, v8
	s_waitcnt lgkmcnt(1)
	v_cvt_f32_f16_sdwa v17, v10 dst_sel:DWORD dst_unused:UNUSED_PAD src0_sel:WORD_1
	v_cvt_f32_f16_e32 v16, v10
	v_mov_b32_e32 v8, v7
	v_pk_fma_f32 v[14:15], v[2:3], v[14:15], 0 op_sel_hi:[0,1,0]
	v_pk_fma_f32 v[14:15], v[6:7], v[16:17], v[14:15] op_sel_hi:[0,1,1]
	v_cvt_f32_f16_sdwa v17, v11 dst_sel:DWORD dst_unused:UNUSED_PAD src0_sel:WORD_1
	v_cvt_f32_f16_e32 v16, v11
	v_pk_fma_f32 v[10:11], v[8:9], v[16:17], v[14:15] op_sel_hi:[0,1,1]
	s_waitcnt lgkmcnt(0)
	v_cvt_f32_f16_sdwa v15, v1 dst_sel:DWORD dst_unused:UNUSED_PAD src0_sel:WORD_1
	v_cvt_f32_f16_e32 v14, v1
	v_pk_fma_f32 v[10:11], v[4:5], v[14:15], v[10:11] op_sel_hi:[0,1,1]
	v_div_scale_f32 v1, s[52:53], v3, v3, v11
	v_rcp_f32_e32 v7, v1
	v_fma_f32 v14, -v1, v7, 1.0
	v_fmac_f32_e32 v7, v14, v7
	v_div_scale_f32 v14, vcc, v11, v3, v11
	v_mul_f32_e32 v15, v14, v7
	v_fma_f32 v16, -v1, v15, v14
	v_fmac_f32_e32 v15, v16, v7
	v_fma_f32 v1, -v1, v15, v14
	v_div_fmas_f32 v1, v1, v7, v15
	v_div_fixup_f32 v11, v1, v3, v11
	v_div_scale_f32 v1, s[52:53], v3, v3, v10
	v_rcp_f32_e32 v7, v1
	v_fma_f32 v14, -v1, v7, 1.0
	v_fmac_f32_e32 v7, v14, v7
	v_div_scale_f32 v14, vcc, v10, v3, v10
	v_mul_f32_e32 v15, v14, v7
	v_fma_f32 v16, -v1, v15, v14
	v_fmac_f32_e32 v15, v16, v7
	v_fma_f32 v1, -v1, v15, v14
	v_div_fmas_f32 v1, v1, v7, v15
	v_div_fixup_f32 v10, v1, v3, v10
	global_store_dwordx2 v[12:13], v[10:11], off
	ds_read2st64_b32 v[10:11], v135 offset0:33 offset1:66
	ds_read_b32 v1, v135 offset:25344
	v_cvt_f32_f16_sdwa v15, v9 dst_sel:DWORD dst_unused:UNUSED_PAD src0_sel:WORD_1
	v_cvt_f32_f16_e32 v14, v9
	v_ashrrev_i32_e32 v7, 31, v5
	s_waitcnt lgkmcnt(1)
	v_cvt_f32_f16_sdwa v17, v10 dst_sel:DWORD dst_unused:UNUSED_PAD src0_sel:WORD_1
	v_cvt_f32_f16_e32 v16, v10
	v_add_co_u32_e32 v12, vcc, v38, v5
	v_pk_fma_f32 v[14:15], v[2:3], v[14:15], 0 op_sel_hi:[0,1,0]
	v_addc_co_u32_e32 v13, vcc, 0, v7, vcc
	v_pk_fma_f32 v[6:7], v[6:7], v[16:17], v[14:15] op_sel_hi:[0,1,1]
	v_cvt_f32_f16_sdwa v15, v11 dst_sel:DWORD dst_unused:UNUSED_PAD src0_sel:WORD_1
	v_cvt_f32_f16_e32 v14, v11
	v_lshlrev_b64 v[12:13], 3, v[12:13]
	v_add_co_u32_e32 v12, vcc, s57, v12
	v_pk_fma_f32 v[6:7], v[8:9], v[14:15], v[6:7] op_sel_hi:[0,1,1]
	s_waitcnt lgkmcnt(0)
	v_cvt_f32_f16_sdwa v9, v1 dst_sel:DWORD dst_unused:UNUSED_PAD src0_sel:WORD_1
	v_cvt_f32_f16_e32 v8, v1
	v_mov_b32_e32 v5, s51
	v_addc_co_u32_e32 v13, vcc, v5, v13, vcc
	v_pk_fma_f32 v[4:5], v[4:5], v[8:9], v[6:7] op_sel_hi:[0,1,1]
	v_div_scale_f32 v1, s[52:53], v3, v3, v5
	v_rcp_f32_e32 v2, v1
	v_fma_f32 v6, -v1, v2, 1.0
	v_fmac_f32_e32 v2, v6, v2
	v_div_scale_f32 v6, vcc, v5, v3, v5
	v_mul_f32_e32 v7, v6, v2
	v_fma_f32 v8, -v1, v7, v6
	v_fmac_f32_e32 v7, v8, v2
	v_fma_f32 v1, -v1, v7, v6
	v_div_fmas_f32 v1, v1, v2, v7
	v_div_fixup_f32 v5, v1, v3, v5
	v_div_scale_f32 v1, s[52:53], v3, v3, v4
	v_rcp_f32_e32 v2, v1
	v_fma_f32 v6, -v1, v2, 1.0
	v_fmac_f32_e32 v2, v6, v2
	v_div_scale_f32 v6, vcc, v4, v3, v4
	v_mul_f32_e32 v7, v6, v2
	v_fma_f32 v8, -v1, v7, v6
	v_fmac_f32_e32 v7, v8, v2
	v_fma_f32 v1, -v1, v7, v6
	v_div_fmas_f32 v1, v1, v2, v7
	v_div_fixup_f32 v4, v1, v3, v4
	v_mov_b32_e32 v1, 0
	global_store_dwordx2 v[12:13], v[4:5], off offset:512
.LBB30_228:                             ;   in Loop: Header=BB30_14 Depth=1
	s_or_b64 exec, exec, s[10:11]
	s_movk_i32 s10, 0x47
	v_cmp_gt_i32_e32 vcc, s10, v1
	s_mov_b64 s[10:11], -1
	s_and_saveexec_b64 s[74:75], vcc
; %bb.229:                              ;   in Loop: Header=BB30_14 Depth=1
	v_cmp_eq_u32_e32 vcc, 0, v1
	s_orn2_b64 s[10:11], vcc, exec
; %bb.230:                              ;   in Loop: Header=BB30_14 Depth=1
	s_or_b64 exec, exec, s[74:75]
	s_and_b64 exec, exec, s[10:11]
	s_cbranch_execz .LBB30_12
; %bb.231:                              ;   in Loop: Header=BB30_14 Depth=1
	v_add_u32_e32 v4, s76, v136
	v_or_b32_e32 v1, s6, v137
	v_cmp_gt_i32_e32 vcc, s28, v4
	v_cmp_gt_i32_e64 s[10:11], s33, v1
	s_and_b64 s[52:53], vcc, s[10:11]
	v_mov_b32_e32 v1, 0x47
	s_and_saveexec_b64 s[10:11], s[52:53]
	s_cbranch_execz .LBB30_233
; %bb.232:                              ;   in Loop: Header=BB30_14 Depth=1
	v_mul_lo_u32 v4, v4, s29
	v_accvgpr_read_b32 v1, a8
	v_add_lshl_u32 v5, v4, v137, 7
	v_add_u32_e32 v1, 0, v1
	v_add_u32_e32 v12, v38, v5
	ds_read2_b32 v[2:3], v1 offset0:128 offset1:129
	ds_read2st64_b32 v[6:7], v1 offset0:35 offset1:68
	ds_read_b32 v4, v1 offset:25856
	ds_read2st64_b32 v[8:9], v138 offset1:1
	ds_read2st64_b32 v[10:11], v138 offset0:33 offset1:66
	ds_read_b32 v1, v138 offset:25344
	v_ashrrev_i32_e32 v13, 31, v12
	v_lshlrev_b64 v[12:13], 3, v[12:13]
	v_add_co_u32_e32 v12, vcc, s57, v12
	v_mov_b32_e32 v14, s51
	v_addc_co_u32_e32 v13, vcc, v14, v13, vcc
	s_waitcnt lgkmcnt(2)
	v_cvt_f32_f16_sdwa v15, v8 dst_sel:DWORD dst_unused:UNUSED_PAD src0_sel:WORD_1
	v_cvt_f32_f16_e32 v14, v8
	s_waitcnt lgkmcnt(1)
	v_cvt_f32_f16_sdwa v17, v10 dst_sel:DWORD dst_unused:UNUSED_PAD src0_sel:WORD_1
	v_cvt_f32_f16_e32 v16, v10
	v_mov_b32_e32 v8, v7
	v_pk_fma_f32 v[14:15], v[2:3], v[14:15], 0 op_sel_hi:[0,1,0]
	v_pk_fma_f32 v[14:15], v[6:7], v[16:17], v[14:15] op_sel_hi:[0,1,1]
	v_cvt_f32_f16_sdwa v17, v11 dst_sel:DWORD dst_unused:UNUSED_PAD src0_sel:WORD_1
	v_cvt_f32_f16_e32 v16, v11
	v_pk_fma_f32 v[10:11], v[8:9], v[16:17], v[14:15] op_sel_hi:[0,1,1]
	s_waitcnt lgkmcnt(0)
	v_cvt_f32_f16_sdwa v15, v1 dst_sel:DWORD dst_unused:UNUSED_PAD src0_sel:WORD_1
	v_cvt_f32_f16_e32 v14, v1
	v_pk_fma_f32 v[10:11], v[4:5], v[14:15], v[10:11] op_sel_hi:[0,1,1]
	v_div_scale_f32 v1, s[52:53], v3, v3, v11
	v_rcp_f32_e32 v7, v1
	v_fma_f32 v14, -v1, v7, 1.0
	v_fmac_f32_e32 v7, v14, v7
	v_div_scale_f32 v14, vcc, v11, v3, v11
	v_mul_f32_e32 v15, v14, v7
	v_fma_f32 v16, -v1, v15, v14
	v_fmac_f32_e32 v15, v16, v7
	v_fma_f32 v1, -v1, v15, v14
	v_div_fmas_f32 v1, v1, v7, v15
	v_div_fixup_f32 v11, v1, v3, v11
	v_div_scale_f32 v1, s[52:53], v3, v3, v10
	v_rcp_f32_e32 v7, v1
	v_fma_f32 v14, -v1, v7, 1.0
	v_fmac_f32_e32 v7, v14, v7
	v_div_scale_f32 v14, vcc, v10, v3, v10
	v_mul_f32_e32 v15, v14, v7
	v_fma_f32 v16, -v1, v15, v14
	v_fmac_f32_e32 v15, v16, v7
	v_fma_f32 v1, -v1, v15, v14
	v_div_fmas_f32 v1, v1, v7, v15
	v_div_fixup_f32 v10, v1, v3, v10
	global_store_dwordx2 v[12:13], v[10:11], off
	ds_read2st64_b32 v[10:11], v115 offset0:33 offset1:66
	ds_read_b32 v1, v115 offset:25344
	v_cvt_f32_f16_sdwa v15, v9 dst_sel:DWORD dst_unused:UNUSED_PAD src0_sel:WORD_1
	v_cvt_f32_f16_e32 v14, v9
	v_ashrrev_i32_e32 v7, 31, v5
	s_waitcnt lgkmcnt(1)
	v_cvt_f32_f16_sdwa v17, v10 dst_sel:DWORD dst_unused:UNUSED_PAD src0_sel:WORD_1
	v_cvt_f32_f16_e32 v16, v10
	v_add_co_u32_e32 v12, vcc, v38, v5
	v_pk_fma_f32 v[14:15], v[2:3], v[14:15], 0 op_sel_hi:[0,1,0]
	v_addc_co_u32_e32 v13, vcc, 0, v7, vcc
	v_pk_fma_f32 v[6:7], v[6:7], v[16:17], v[14:15] op_sel_hi:[0,1,1]
	v_cvt_f32_f16_sdwa v15, v11 dst_sel:DWORD dst_unused:UNUSED_PAD src0_sel:WORD_1
	v_cvt_f32_f16_e32 v14, v11
	v_lshlrev_b64 v[12:13], 3, v[12:13]
	v_add_co_u32_e32 v12, vcc, s57, v12
	v_pk_fma_f32 v[6:7], v[8:9], v[14:15], v[6:7] op_sel_hi:[0,1,1]
	s_waitcnt lgkmcnt(0)
	v_cvt_f32_f16_sdwa v9, v1 dst_sel:DWORD dst_unused:UNUSED_PAD src0_sel:WORD_1
	v_cvt_f32_f16_e32 v8, v1
	v_mov_b32_e32 v5, s51
	v_addc_co_u32_e32 v13, vcc, v5, v13, vcc
	v_pk_fma_f32 v[4:5], v[4:5], v[8:9], v[6:7] op_sel_hi:[0,1,1]
	v_div_scale_f32 v1, s[52:53], v3, v3, v5
	v_rcp_f32_e32 v2, v1
	v_fma_f32 v6, -v1, v2, 1.0
	v_fmac_f32_e32 v2, v6, v2
	v_div_scale_f32 v6, vcc, v5, v3, v5
	v_mul_f32_e32 v7, v6, v2
	v_fma_f32 v8, -v1, v7, v6
	v_fmac_f32_e32 v7, v8, v2
	v_fma_f32 v1, -v1, v7, v6
	v_div_fmas_f32 v1, v1, v2, v7
	v_div_fixup_f32 v5, v1, v3, v5
	v_div_scale_f32 v1, s[52:53], v3, v3, v4
	v_rcp_f32_e32 v2, v1
	v_fma_f32 v6, -v1, v2, 1.0
	v_fmac_f32_e32 v2, v6, v2
	v_div_scale_f32 v6, vcc, v4, v3, v4
	v_mul_f32_e32 v7, v6, v2
	v_fma_f32 v8, -v1, v7, v6
	v_fmac_f32_e32 v7, v8, v2
	v_fma_f32 v1, -v1, v7, v6
	v_div_fmas_f32 v1, v1, v2, v7
	v_div_fixup_f32 v4, v1, v3, v4
	v_mov_b32_e32 v1, 0
	global_store_dwordx2 v[12:13], v[4:5], off offset:512
.LBB30_233:                             ;   in Loop: Header=BB30_14 Depth=1
	s_or_b64 exec, exec, s[10:11]
	s_movk_i32 s10, 0x47
	v_cmp_gt_i32_e32 vcc, s10, v1
	s_mov_b64 s[10:11], -1
	s_and_saveexec_b64 s[74:75], vcc
; %bb.234:                              ;   in Loop: Header=BB30_14 Depth=1
	v_cmp_eq_u32_e32 vcc, 0, v1
	s_orn2_b64 s[10:11], vcc, exec
; %bb.235:                              ;   in Loop: Header=BB30_14 Depth=1
	s_or_b64 exec, exec, s[74:75]
	s_and_b64 exec, exec, s[10:11]
	s_cbranch_execz .LBB30_12
; %bb.236:                              ;   in Loop: Header=BB30_14 Depth=1
	v_accvgpr_read_b32 v1, a9
	v_add_u32_e32 v4, s76, v1
	v_cmp_gt_i32_e32 vcc, s28, v4
	s_and_b64 s[52:53], vcc, s[8:9]
	v_mov_b32_e32 v1, 0x47
	s_and_saveexec_b64 s[10:11], s[52:53]
	s_cbranch_execz .LBB30_238
; %bb.237:                              ;   in Loop: Header=BB30_14 Depth=1
	v_accvgpr_read_b32 v1, a11
	v_mul_lo_u32 v4, v4, s29
	v_add_u32_e32 v1, 0, v1
	v_add_lshl_u32 v5, v4, v194, 7
	ds_read2_b32 v[2:3], v1 offset0:128 offset1:129
	ds_read2st64_b32 v[6:7], v1 offset0:35 offset1:68
	ds_read_b32 v4, v1 offset:25856
	v_accvgpr_read_b32 v1, a10
	v_add_u32_e32 v12, v38, v5
	ds_read2st64_b32 v[8:9], v1 offset1:1
	ds_read2st64_b32 v[10:11], v1 offset0:33 offset1:66
	ds_read_b32 v1, v1 offset:25344
	v_ashrrev_i32_e32 v13, 31, v12
	v_lshlrev_b64 v[12:13], 3, v[12:13]
	v_add_co_u32_e32 v12, vcc, s57, v12
	v_mov_b32_e32 v14, s51
	v_addc_co_u32_e32 v13, vcc, v14, v13, vcc
	s_waitcnt lgkmcnt(2)
	v_cvt_f32_f16_sdwa v15, v8 dst_sel:DWORD dst_unused:UNUSED_PAD src0_sel:WORD_1
	v_cvt_f32_f16_e32 v14, v8
	s_waitcnt lgkmcnt(1)
	v_cvt_f32_f16_sdwa v17, v10 dst_sel:DWORD dst_unused:UNUSED_PAD src0_sel:WORD_1
	v_cvt_f32_f16_e32 v16, v10
	v_mov_b32_e32 v8, v7
	v_pk_fma_f32 v[14:15], v[2:3], v[14:15], 0 op_sel_hi:[0,1,0]
	v_pk_fma_f32 v[14:15], v[6:7], v[16:17], v[14:15] op_sel_hi:[0,1,1]
	v_cvt_f32_f16_sdwa v17, v11 dst_sel:DWORD dst_unused:UNUSED_PAD src0_sel:WORD_1
	v_cvt_f32_f16_e32 v16, v11
	v_pk_fma_f32 v[10:11], v[8:9], v[16:17], v[14:15] op_sel_hi:[0,1,1]
	s_waitcnt lgkmcnt(0)
	v_cvt_f32_f16_sdwa v15, v1 dst_sel:DWORD dst_unused:UNUSED_PAD src0_sel:WORD_1
	v_cvt_f32_f16_e32 v14, v1
	v_pk_fma_f32 v[10:11], v[4:5], v[14:15], v[10:11] op_sel_hi:[0,1,1]
	v_div_scale_f32 v1, s[52:53], v3, v3, v11
	v_rcp_f32_e32 v7, v1
	v_fma_f32 v14, -v1, v7, 1.0
	v_fmac_f32_e32 v7, v14, v7
	v_div_scale_f32 v14, vcc, v11, v3, v11
	v_mul_f32_e32 v15, v14, v7
	v_fma_f32 v16, -v1, v15, v14
	v_fmac_f32_e32 v15, v16, v7
	v_fma_f32 v1, -v1, v15, v14
	v_div_fmas_f32 v1, v1, v7, v15
	v_div_fixup_f32 v11, v1, v3, v11
	v_div_scale_f32 v1, s[52:53], v3, v3, v10
	v_rcp_f32_e32 v7, v1
	v_fma_f32 v14, -v1, v7, 1.0
	v_fmac_f32_e32 v7, v14, v7
	v_div_scale_f32 v14, vcc, v10, v3, v10
	v_mul_f32_e32 v15, v14, v7
	v_fma_f32 v16, -v1, v15, v14
	v_fmac_f32_e32 v15, v16, v7
	v_fma_f32 v1, -v1, v15, v14
	v_div_fmas_f32 v1, v1, v7, v15
	v_div_fixup_f32 v10, v1, v3, v10
	global_store_dwordx2 v[12:13], v[10:11], off
	v_accvgpr_read_b32 v1, a12
	ds_read2st64_b32 v[10:11], v1 offset0:33 offset1:66
	ds_read_b32 v1, v1 offset:25344
	v_cvt_f32_f16_sdwa v15, v9 dst_sel:DWORD dst_unused:UNUSED_PAD src0_sel:WORD_1
	v_cvt_f32_f16_e32 v14, v9
	v_ashrrev_i32_e32 v7, 31, v5
	s_waitcnt lgkmcnt(1)
	v_cvt_f32_f16_sdwa v17, v10 dst_sel:DWORD dst_unused:UNUSED_PAD src0_sel:WORD_1
	v_cvt_f32_f16_e32 v16, v10
	v_add_co_u32_e32 v12, vcc, v38, v5
	v_pk_fma_f32 v[14:15], v[2:3], v[14:15], 0 op_sel_hi:[0,1,0]
	v_addc_co_u32_e32 v13, vcc, 0, v7, vcc
	v_pk_fma_f32 v[6:7], v[6:7], v[16:17], v[14:15] op_sel_hi:[0,1,1]
	v_cvt_f32_f16_sdwa v15, v11 dst_sel:DWORD dst_unused:UNUSED_PAD src0_sel:WORD_1
	v_cvt_f32_f16_e32 v14, v11
	v_lshlrev_b64 v[12:13], 3, v[12:13]
	v_add_co_u32_e32 v12, vcc, s57, v12
	v_pk_fma_f32 v[6:7], v[8:9], v[14:15], v[6:7] op_sel_hi:[0,1,1]
	s_waitcnt lgkmcnt(0)
	v_cvt_f32_f16_sdwa v9, v1 dst_sel:DWORD dst_unused:UNUSED_PAD src0_sel:WORD_1
	v_cvt_f32_f16_e32 v8, v1
	v_mov_b32_e32 v5, s51
	v_addc_co_u32_e32 v13, vcc, v5, v13, vcc
	v_pk_fma_f32 v[4:5], v[4:5], v[8:9], v[6:7] op_sel_hi:[0,1,1]
	v_div_scale_f32 v1, s[52:53], v3, v3, v5
	v_rcp_f32_e32 v2, v1
	v_fma_f32 v6, -v1, v2, 1.0
	v_fmac_f32_e32 v2, v6, v2
	v_div_scale_f32 v6, vcc, v5, v3, v5
	v_mul_f32_e32 v7, v6, v2
	v_fma_f32 v8, -v1, v7, v6
	v_fmac_f32_e32 v7, v8, v2
	v_fma_f32 v1, -v1, v7, v6
	v_div_fmas_f32 v1, v1, v2, v7
	v_div_fixup_f32 v5, v1, v3, v5
	v_div_scale_f32 v1, s[52:53], v3, v3, v4
	v_rcp_f32_e32 v2, v1
	v_fma_f32 v6, -v1, v2, 1.0
	v_fmac_f32_e32 v2, v6, v2
	v_div_scale_f32 v6, vcc, v4, v3, v4
	v_mul_f32_e32 v7, v6, v2
	v_fma_f32 v8, -v1, v7, v6
	v_fmac_f32_e32 v7, v8, v2
	v_fma_f32 v1, -v1, v7, v6
	v_div_fmas_f32 v1, v1, v2, v7
	v_div_fixup_f32 v4, v1, v3, v4
	v_mov_b32_e32 v1, 0
	global_store_dwordx2 v[12:13], v[4:5], off offset:512
.LBB30_238:                             ;   in Loop: Header=BB30_14 Depth=1
	s_or_b64 exec, exec, s[10:11]
	s_movk_i32 s10, 0x47
	v_cmp_gt_i32_e32 vcc, s10, v1
	s_mov_b64 s[10:11], -1
	s_and_saveexec_b64 s[74:75], vcc
; %bb.239:                              ;   in Loop: Header=BB30_14 Depth=1
	v_cmp_eq_u32_e32 vcc, 0, v1
	s_orn2_b64 s[10:11], vcc, exec
; %bb.240:                              ;   in Loop: Header=BB30_14 Depth=1
	s_or_b64 exec, exec, s[74:75]
	s_and_b64 exec, exec, s[10:11]
	s_cbranch_execz .LBB30_12
; %bb.241:                              ;   in Loop: Header=BB30_14 Depth=1
	v_accvgpr_read_b32 v1, a13
	v_add_u32_e32 v4, s76, v1
	v_accvgpr_read_b32 v1, a14
	v_or_b32_e32 v1, s6, v1
	v_cmp_gt_i32_e32 vcc, s28, v4
	v_cmp_gt_i32_e64 s[10:11], s33, v1
	s_and_b64 s[52:53], vcc, s[10:11]
	v_mov_b32_e32 v1, 0x47
	s_and_saveexec_b64 s[10:11], s[52:53]
	s_cbranch_execz .LBB30_243
; %bb.242:                              ;   in Loop: Header=BB30_14 Depth=1
	v_accvgpr_read_b32 v1, a16
	v_mul_lo_u32 v4, v4, s29
	v_accvgpr_read_b32 v5, a14
	v_add_u32_e32 v1, 0, v1
	v_add_lshl_u32 v5, v4, v5, 7
	ds_read2_b32 v[2:3], v1 offset0:128 offset1:129
	ds_read2st64_b32 v[6:7], v1 offset0:35 offset1:68
	ds_read_b32 v4, v1 offset:25856
	v_accvgpr_read_b32 v1, a15
	v_add_u32_e32 v12, v38, v5
	ds_read2st64_b32 v[8:9], v1 offset1:1
	ds_read2st64_b32 v[10:11], v1 offset0:33 offset1:66
	ds_read_b32 v1, v1 offset:25344
	v_ashrrev_i32_e32 v13, 31, v12
	v_lshlrev_b64 v[12:13], 3, v[12:13]
	v_add_co_u32_e32 v12, vcc, s57, v12
	v_mov_b32_e32 v14, s51
	v_addc_co_u32_e32 v13, vcc, v14, v13, vcc
	s_waitcnt lgkmcnt(2)
	v_cvt_f32_f16_sdwa v15, v8 dst_sel:DWORD dst_unused:UNUSED_PAD src0_sel:WORD_1
	v_cvt_f32_f16_e32 v14, v8
	s_waitcnt lgkmcnt(1)
	v_cvt_f32_f16_sdwa v17, v10 dst_sel:DWORD dst_unused:UNUSED_PAD src0_sel:WORD_1
	v_cvt_f32_f16_e32 v16, v10
	v_mov_b32_e32 v8, v7
	v_pk_fma_f32 v[14:15], v[2:3], v[14:15], 0 op_sel_hi:[0,1,0]
	v_pk_fma_f32 v[14:15], v[6:7], v[16:17], v[14:15] op_sel_hi:[0,1,1]
	v_cvt_f32_f16_sdwa v17, v11 dst_sel:DWORD dst_unused:UNUSED_PAD src0_sel:WORD_1
	v_cvt_f32_f16_e32 v16, v11
	v_pk_fma_f32 v[10:11], v[8:9], v[16:17], v[14:15] op_sel_hi:[0,1,1]
	s_waitcnt lgkmcnt(0)
	v_cvt_f32_f16_sdwa v15, v1 dst_sel:DWORD dst_unused:UNUSED_PAD src0_sel:WORD_1
	v_cvt_f32_f16_e32 v14, v1
	v_pk_fma_f32 v[10:11], v[4:5], v[14:15], v[10:11] op_sel_hi:[0,1,1]
	v_div_scale_f32 v1, s[52:53], v3, v3, v11
	v_rcp_f32_e32 v7, v1
	v_fma_f32 v14, -v1, v7, 1.0
	v_fmac_f32_e32 v7, v14, v7
	v_div_scale_f32 v14, vcc, v11, v3, v11
	v_mul_f32_e32 v15, v14, v7
	v_fma_f32 v16, -v1, v15, v14
	v_fmac_f32_e32 v15, v16, v7
	v_fma_f32 v1, -v1, v15, v14
	v_div_fmas_f32 v1, v1, v7, v15
	v_div_fixup_f32 v11, v1, v3, v11
	v_div_scale_f32 v1, s[52:53], v3, v3, v10
	v_rcp_f32_e32 v7, v1
	v_fma_f32 v14, -v1, v7, 1.0
	v_fmac_f32_e32 v7, v14, v7
	v_div_scale_f32 v14, vcc, v10, v3, v10
	v_mul_f32_e32 v15, v14, v7
	v_fma_f32 v16, -v1, v15, v14
	v_fmac_f32_e32 v15, v16, v7
	v_fma_f32 v1, -v1, v15, v14
	v_div_fmas_f32 v1, v1, v7, v15
	v_div_fixup_f32 v10, v1, v3, v10
	global_store_dwordx2 v[12:13], v[10:11], off
	v_accvgpr_read_b32 v1, a17
	ds_read2st64_b32 v[10:11], v1 offset0:33 offset1:66
	ds_read_b32 v1, v1 offset:25344
	v_cvt_f32_f16_sdwa v15, v9 dst_sel:DWORD dst_unused:UNUSED_PAD src0_sel:WORD_1
	v_cvt_f32_f16_e32 v14, v9
	v_ashrrev_i32_e32 v7, 31, v5
	s_waitcnt lgkmcnt(1)
	v_cvt_f32_f16_sdwa v17, v10 dst_sel:DWORD dst_unused:UNUSED_PAD src0_sel:WORD_1
	v_cvt_f32_f16_e32 v16, v10
	v_add_co_u32_e32 v12, vcc, v38, v5
	v_pk_fma_f32 v[14:15], v[2:3], v[14:15], 0 op_sel_hi:[0,1,0]
	v_addc_co_u32_e32 v13, vcc, 0, v7, vcc
	v_pk_fma_f32 v[6:7], v[6:7], v[16:17], v[14:15] op_sel_hi:[0,1,1]
	v_cvt_f32_f16_sdwa v15, v11 dst_sel:DWORD dst_unused:UNUSED_PAD src0_sel:WORD_1
	v_cvt_f32_f16_e32 v14, v11
	v_lshlrev_b64 v[12:13], 3, v[12:13]
	v_add_co_u32_e32 v12, vcc, s57, v12
	v_pk_fma_f32 v[6:7], v[8:9], v[14:15], v[6:7] op_sel_hi:[0,1,1]
	s_waitcnt lgkmcnt(0)
	v_cvt_f32_f16_sdwa v9, v1 dst_sel:DWORD dst_unused:UNUSED_PAD src0_sel:WORD_1
	v_cvt_f32_f16_e32 v8, v1
	v_mov_b32_e32 v5, s51
	v_addc_co_u32_e32 v13, vcc, v5, v13, vcc
	v_pk_fma_f32 v[4:5], v[4:5], v[8:9], v[6:7] op_sel_hi:[0,1,1]
	v_div_scale_f32 v1, s[52:53], v3, v3, v5
	v_rcp_f32_e32 v2, v1
	v_fma_f32 v6, -v1, v2, 1.0
	v_fmac_f32_e32 v2, v6, v2
	v_div_scale_f32 v6, vcc, v5, v3, v5
	v_mul_f32_e32 v7, v6, v2
	v_fma_f32 v8, -v1, v7, v6
	v_fmac_f32_e32 v7, v8, v2
	v_fma_f32 v1, -v1, v7, v6
	v_div_fmas_f32 v1, v1, v2, v7
	v_div_fixup_f32 v5, v1, v3, v5
	v_div_scale_f32 v1, s[52:53], v3, v3, v4
	v_rcp_f32_e32 v2, v1
	v_fma_f32 v6, -v1, v2, 1.0
	v_fmac_f32_e32 v2, v6, v2
	v_div_scale_f32 v6, vcc, v4, v3, v4
	v_mul_f32_e32 v7, v6, v2
	v_fma_f32 v8, -v1, v7, v6
	v_fmac_f32_e32 v7, v8, v2
	v_fma_f32 v1, -v1, v7, v6
	v_div_fmas_f32 v1, v1, v2, v7
	v_div_fixup_f32 v4, v1, v3, v4
	v_mov_b32_e32 v1, 0
	global_store_dwordx2 v[12:13], v[4:5], off offset:512
.LBB30_243:                             ;   in Loop: Header=BB30_14 Depth=1
	s_or_b64 exec, exec, s[10:11]
	s_movk_i32 s10, 0x47
	v_cmp_gt_i32_e32 vcc, s10, v1
	s_mov_b64 s[10:11], -1
	s_and_saveexec_b64 s[74:75], vcc
; %bb.244:                              ;   in Loop: Header=BB30_14 Depth=1
	v_cmp_eq_u32_e32 vcc, 0, v1
	s_orn2_b64 s[10:11], vcc, exec
; %bb.245:                              ;   in Loop: Header=BB30_14 Depth=1
	s_or_b64 exec, exec, s[74:75]
	s_and_b64 exec, exec, s[10:11]
	s_cbranch_execz .LBB30_12
; %bb.246:                              ;   in Loop: Header=BB30_14 Depth=1
	v_accvgpr_read_b32 v1, a18
	v_add_u32_e32 v4, s76, v1
	v_cmp_gt_i32_e32 vcc, s28, v4
	s_and_b64 s[52:53], vcc, s[8:9]
	v_mov_b32_e32 v1, 0x47
	s_and_saveexec_b64 s[10:11], s[52:53]
	s_cbranch_execz .LBB30_248
; %bb.247:                              ;   in Loop: Header=BB30_14 Depth=1
	v_accvgpr_read_b32 v1, a20
	v_mul_lo_u32 v4, v4, s29
	v_add_u32_e32 v1, 0, v1
	v_add_lshl_u32 v5, v4, v194, 7
	ds_read2_b32 v[2:3], v1 offset0:128 offset1:129
	ds_read2st64_b32 v[6:7], v1 offset0:35 offset1:68
	ds_read_b32 v4, v1 offset:25856
	v_accvgpr_read_b32 v1, a19
	v_add_u32_e32 v12, v38, v5
	ds_read2st64_b32 v[8:9], v1 offset1:1
	ds_read2st64_b32 v[10:11], v1 offset0:33 offset1:66
	ds_read_b32 v1, v1 offset:25344
	v_ashrrev_i32_e32 v13, 31, v12
	v_lshlrev_b64 v[12:13], 3, v[12:13]
	v_add_co_u32_e32 v12, vcc, s57, v12
	v_mov_b32_e32 v14, s51
	v_addc_co_u32_e32 v13, vcc, v14, v13, vcc
	s_waitcnt lgkmcnt(2)
	v_cvt_f32_f16_sdwa v15, v8 dst_sel:DWORD dst_unused:UNUSED_PAD src0_sel:WORD_1
	v_cvt_f32_f16_e32 v14, v8
	s_waitcnt lgkmcnt(1)
	v_cvt_f32_f16_sdwa v17, v10 dst_sel:DWORD dst_unused:UNUSED_PAD src0_sel:WORD_1
	v_cvt_f32_f16_e32 v16, v10
	v_mov_b32_e32 v8, v7
	v_pk_fma_f32 v[14:15], v[2:3], v[14:15], 0 op_sel_hi:[0,1,0]
	v_pk_fma_f32 v[14:15], v[6:7], v[16:17], v[14:15] op_sel_hi:[0,1,1]
	v_cvt_f32_f16_sdwa v17, v11 dst_sel:DWORD dst_unused:UNUSED_PAD src0_sel:WORD_1
	v_cvt_f32_f16_e32 v16, v11
	v_pk_fma_f32 v[10:11], v[8:9], v[16:17], v[14:15] op_sel_hi:[0,1,1]
	s_waitcnt lgkmcnt(0)
	v_cvt_f32_f16_sdwa v15, v1 dst_sel:DWORD dst_unused:UNUSED_PAD src0_sel:WORD_1
	v_cvt_f32_f16_e32 v14, v1
	v_pk_fma_f32 v[10:11], v[4:5], v[14:15], v[10:11] op_sel_hi:[0,1,1]
	v_div_scale_f32 v1, s[52:53], v3, v3, v11
	v_rcp_f32_e32 v7, v1
	v_fma_f32 v14, -v1, v7, 1.0
	v_fmac_f32_e32 v7, v14, v7
	v_div_scale_f32 v14, vcc, v11, v3, v11
	v_mul_f32_e32 v15, v14, v7
	v_fma_f32 v16, -v1, v15, v14
	v_fmac_f32_e32 v15, v16, v7
	v_fma_f32 v1, -v1, v15, v14
	v_div_fmas_f32 v1, v1, v7, v15
	v_div_fixup_f32 v11, v1, v3, v11
	v_div_scale_f32 v1, s[52:53], v3, v3, v10
	v_rcp_f32_e32 v7, v1
	v_fma_f32 v14, -v1, v7, 1.0
	v_fmac_f32_e32 v7, v14, v7
	v_div_scale_f32 v14, vcc, v10, v3, v10
	v_mul_f32_e32 v15, v14, v7
	v_fma_f32 v16, -v1, v15, v14
	v_fmac_f32_e32 v15, v16, v7
	v_fma_f32 v1, -v1, v15, v14
	v_div_fmas_f32 v1, v1, v7, v15
	v_div_fixup_f32 v10, v1, v3, v10
	global_store_dwordx2 v[12:13], v[10:11], off
	v_accvgpr_read_b32 v1, a21
	ds_read2st64_b32 v[10:11], v1 offset0:33 offset1:66
	ds_read_b32 v1, v1 offset:25344
	v_cvt_f32_f16_sdwa v15, v9 dst_sel:DWORD dst_unused:UNUSED_PAD src0_sel:WORD_1
	v_cvt_f32_f16_e32 v14, v9
	v_ashrrev_i32_e32 v7, 31, v5
	s_waitcnt lgkmcnt(1)
	v_cvt_f32_f16_sdwa v17, v10 dst_sel:DWORD dst_unused:UNUSED_PAD src0_sel:WORD_1
	v_cvt_f32_f16_e32 v16, v10
	v_add_co_u32_e32 v12, vcc, v38, v5
	v_pk_fma_f32 v[14:15], v[2:3], v[14:15], 0 op_sel_hi:[0,1,0]
	v_addc_co_u32_e32 v13, vcc, 0, v7, vcc
	v_pk_fma_f32 v[6:7], v[6:7], v[16:17], v[14:15] op_sel_hi:[0,1,1]
	v_cvt_f32_f16_sdwa v15, v11 dst_sel:DWORD dst_unused:UNUSED_PAD src0_sel:WORD_1
	v_cvt_f32_f16_e32 v14, v11
	v_lshlrev_b64 v[12:13], 3, v[12:13]
	v_add_co_u32_e32 v12, vcc, s57, v12
	v_pk_fma_f32 v[6:7], v[8:9], v[14:15], v[6:7] op_sel_hi:[0,1,1]
	s_waitcnt lgkmcnt(0)
	v_cvt_f32_f16_sdwa v9, v1 dst_sel:DWORD dst_unused:UNUSED_PAD src0_sel:WORD_1
	v_cvt_f32_f16_e32 v8, v1
	v_mov_b32_e32 v5, s51
	v_addc_co_u32_e32 v13, vcc, v5, v13, vcc
	v_pk_fma_f32 v[4:5], v[4:5], v[8:9], v[6:7] op_sel_hi:[0,1,1]
	v_div_scale_f32 v1, s[52:53], v3, v3, v5
	v_rcp_f32_e32 v2, v1
	v_fma_f32 v6, -v1, v2, 1.0
	v_fmac_f32_e32 v2, v6, v2
	v_div_scale_f32 v6, vcc, v5, v3, v5
	v_mul_f32_e32 v7, v6, v2
	v_fma_f32 v8, -v1, v7, v6
	v_fmac_f32_e32 v7, v8, v2
	v_fma_f32 v1, -v1, v7, v6
	v_div_fmas_f32 v1, v1, v2, v7
	v_div_fixup_f32 v5, v1, v3, v5
	v_div_scale_f32 v1, s[52:53], v3, v3, v4
	v_rcp_f32_e32 v2, v1
	v_fma_f32 v6, -v1, v2, 1.0
	v_fmac_f32_e32 v2, v6, v2
	v_div_scale_f32 v6, vcc, v4, v3, v4
	v_mul_f32_e32 v7, v6, v2
	v_fma_f32 v8, -v1, v7, v6
	v_fmac_f32_e32 v7, v8, v2
	v_fma_f32 v1, -v1, v7, v6
	v_div_fmas_f32 v1, v1, v2, v7
	v_div_fixup_f32 v4, v1, v3, v4
	v_mov_b32_e32 v1, 0
	global_store_dwordx2 v[12:13], v[4:5], off offset:512
.LBB30_248:                             ;   in Loop: Header=BB30_14 Depth=1
	s_or_b64 exec, exec, s[10:11]
	s_movk_i32 s10, 0x47
	v_cmp_gt_i32_e32 vcc, s10, v1
	s_mov_b64 s[10:11], -1
	s_and_saveexec_b64 s[74:75], vcc
; %bb.249:                              ;   in Loop: Header=BB30_14 Depth=1
	v_cmp_eq_u32_e32 vcc, 0, v1
	s_orn2_b64 s[10:11], vcc, exec
; %bb.250:                              ;   in Loop: Header=BB30_14 Depth=1
	s_or_b64 exec, exec, s[74:75]
	s_and_b64 exec, exec, s[10:11]
	s_cbranch_execz .LBB30_12
; %bb.251:                              ;   in Loop: Header=BB30_14 Depth=1
	v_accvgpr_read_b32 v1, a22
	v_add_u32_e32 v4, s76, v1
	v_accvgpr_read_b32 v1, a23
	v_or_b32_e32 v1, s6, v1
	v_cmp_gt_i32_e32 vcc, s28, v4
	v_cmp_gt_i32_e64 s[10:11], s33, v1
	s_and_b64 s[52:53], vcc, s[10:11]
	v_mov_b32_e32 v1, 0x47
	s_and_saveexec_b64 s[10:11], s[52:53]
	s_cbranch_execz .LBB30_253
; %bb.252:                              ;   in Loop: Header=BB30_14 Depth=1
	v_accvgpr_read_b32 v1, a25
	v_mul_lo_u32 v4, v4, s29
	v_accvgpr_read_b32 v5, a23
	v_add_u32_e32 v1, 0, v1
	v_add_lshl_u32 v5, v4, v5, 7
	ds_read2_b32 v[2:3], v1 offset0:128 offset1:129
	ds_read2st64_b32 v[6:7], v1 offset0:35 offset1:68
	ds_read_b32 v4, v1 offset:25856
	v_accvgpr_read_b32 v1, a24
	v_add_u32_e32 v12, v38, v5
	ds_read2st64_b32 v[8:9], v1 offset1:1
	ds_read2st64_b32 v[10:11], v1 offset0:33 offset1:66
	ds_read_b32 v1, v1 offset:25344
	v_ashrrev_i32_e32 v13, 31, v12
	v_lshlrev_b64 v[12:13], 3, v[12:13]
	v_add_co_u32_e32 v12, vcc, s57, v12
	v_mov_b32_e32 v14, s51
	v_addc_co_u32_e32 v13, vcc, v14, v13, vcc
	s_waitcnt lgkmcnt(2)
	v_cvt_f32_f16_sdwa v15, v8 dst_sel:DWORD dst_unused:UNUSED_PAD src0_sel:WORD_1
	v_cvt_f32_f16_e32 v14, v8
	s_waitcnt lgkmcnt(1)
	v_cvt_f32_f16_sdwa v17, v10 dst_sel:DWORD dst_unused:UNUSED_PAD src0_sel:WORD_1
	v_cvt_f32_f16_e32 v16, v10
	v_mov_b32_e32 v8, v7
	v_pk_fma_f32 v[14:15], v[2:3], v[14:15], 0 op_sel_hi:[0,1,0]
	v_pk_fma_f32 v[14:15], v[6:7], v[16:17], v[14:15] op_sel_hi:[0,1,1]
	v_cvt_f32_f16_sdwa v17, v11 dst_sel:DWORD dst_unused:UNUSED_PAD src0_sel:WORD_1
	v_cvt_f32_f16_e32 v16, v11
	v_pk_fma_f32 v[10:11], v[8:9], v[16:17], v[14:15] op_sel_hi:[0,1,1]
	s_waitcnt lgkmcnt(0)
	v_cvt_f32_f16_sdwa v15, v1 dst_sel:DWORD dst_unused:UNUSED_PAD src0_sel:WORD_1
	v_cvt_f32_f16_e32 v14, v1
	v_pk_fma_f32 v[10:11], v[4:5], v[14:15], v[10:11] op_sel_hi:[0,1,1]
	v_div_scale_f32 v1, s[52:53], v3, v3, v11
	v_rcp_f32_e32 v7, v1
	v_fma_f32 v14, -v1, v7, 1.0
	v_fmac_f32_e32 v7, v14, v7
	v_div_scale_f32 v14, vcc, v11, v3, v11
	v_mul_f32_e32 v15, v14, v7
	v_fma_f32 v16, -v1, v15, v14
	v_fmac_f32_e32 v15, v16, v7
	v_fma_f32 v1, -v1, v15, v14
	v_div_fmas_f32 v1, v1, v7, v15
	v_div_fixup_f32 v11, v1, v3, v11
	v_div_scale_f32 v1, s[52:53], v3, v3, v10
	v_rcp_f32_e32 v7, v1
	v_fma_f32 v14, -v1, v7, 1.0
	v_fmac_f32_e32 v7, v14, v7
	v_div_scale_f32 v14, vcc, v10, v3, v10
	v_mul_f32_e32 v15, v14, v7
	v_fma_f32 v16, -v1, v15, v14
	v_fmac_f32_e32 v15, v16, v7
	v_fma_f32 v1, -v1, v15, v14
	v_div_fmas_f32 v1, v1, v7, v15
	v_div_fixup_f32 v10, v1, v3, v10
	global_store_dwordx2 v[12:13], v[10:11], off
	v_accvgpr_read_b32 v1, a26
	ds_read2st64_b32 v[10:11], v1 offset0:33 offset1:66
	ds_read_b32 v1, v1 offset:25344
	v_cvt_f32_f16_sdwa v15, v9 dst_sel:DWORD dst_unused:UNUSED_PAD src0_sel:WORD_1
	v_cvt_f32_f16_e32 v14, v9
	v_ashrrev_i32_e32 v7, 31, v5
	s_waitcnt lgkmcnt(1)
	v_cvt_f32_f16_sdwa v17, v10 dst_sel:DWORD dst_unused:UNUSED_PAD src0_sel:WORD_1
	v_cvt_f32_f16_e32 v16, v10
	v_add_co_u32_e32 v12, vcc, v38, v5
	v_pk_fma_f32 v[14:15], v[2:3], v[14:15], 0 op_sel_hi:[0,1,0]
	v_addc_co_u32_e32 v13, vcc, 0, v7, vcc
	v_pk_fma_f32 v[6:7], v[6:7], v[16:17], v[14:15] op_sel_hi:[0,1,1]
	v_cvt_f32_f16_sdwa v15, v11 dst_sel:DWORD dst_unused:UNUSED_PAD src0_sel:WORD_1
	v_cvt_f32_f16_e32 v14, v11
	v_lshlrev_b64 v[12:13], 3, v[12:13]
	v_add_co_u32_e32 v12, vcc, s57, v12
	v_pk_fma_f32 v[6:7], v[8:9], v[14:15], v[6:7] op_sel_hi:[0,1,1]
	s_waitcnt lgkmcnt(0)
	v_cvt_f32_f16_sdwa v9, v1 dst_sel:DWORD dst_unused:UNUSED_PAD src0_sel:WORD_1
	v_cvt_f32_f16_e32 v8, v1
	v_mov_b32_e32 v5, s51
	v_addc_co_u32_e32 v13, vcc, v5, v13, vcc
	v_pk_fma_f32 v[4:5], v[4:5], v[8:9], v[6:7] op_sel_hi:[0,1,1]
	v_div_scale_f32 v1, s[52:53], v3, v3, v5
	v_rcp_f32_e32 v2, v1
	v_fma_f32 v6, -v1, v2, 1.0
	v_fmac_f32_e32 v2, v6, v2
	v_div_scale_f32 v6, vcc, v5, v3, v5
	v_mul_f32_e32 v7, v6, v2
	v_fma_f32 v8, -v1, v7, v6
	v_fmac_f32_e32 v7, v8, v2
	v_fma_f32 v1, -v1, v7, v6
	v_div_fmas_f32 v1, v1, v2, v7
	v_div_fixup_f32 v5, v1, v3, v5
	v_div_scale_f32 v1, s[52:53], v3, v3, v4
	v_rcp_f32_e32 v2, v1
	v_fma_f32 v6, -v1, v2, 1.0
	v_fmac_f32_e32 v2, v6, v2
	v_div_scale_f32 v6, vcc, v4, v3, v4
	v_mul_f32_e32 v7, v6, v2
	v_fma_f32 v8, -v1, v7, v6
	v_fmac_f32_e32 v7, v8, v2
	v_fma_f32 v1, -v1, v7, v6
	v_div_fmas_f32 v1, v1, v2, v7
	v_div_fixup_f32 v4, v1, v3, v4
	v_mov_b32_e32 v1, 0
	global_store_dwordx2 v[12:13], v[4:5], off offset:512
.LBB30_253:                             ;   in Loop: Header=BB30_14 Depth=1
	s_or_b64 exec, exec, s[10:11]
	s_movk_i32 s10, 0x47
	v_cmp_gt_i32_e32 vcc, s10, v1
	s_mov_b64 s[10:11], -1
	s_and_saveexec_b64 s[74:75], vcc
; %bb.254:                              ;   in Loop: Header=BB30_14 Depth=1
	v_cmp_eq_u32_e32 vcc, 0, v1
	s_orn2_b64 s[10:11], vcc, exec
; %bb.255:                              ;   in Loop: Header=BB30_14 Depth=1
	s_or_b64 exec, exec, s[74:75]
	s_and_b64 exec, exec, s[10:11]
	s_cbranch_execz .LBB30_12
; %bb.256:                              ;   in Loop: Header=BB30_14 Depth=1
	v_accvgpr_read_b32 v1, a27
	v_add_u32_e32 v4, s76, v1
	v_cmp_gt_i32_e32 vcc, s28, v4
	s_and_b64 s[52:53], vcc, s[8:9]
	v_mov_b32_e32 v1, 0x47
	s_and_saveexec_b64 s[10:11], s[52:53]
	s_cbranch_execz .LBB30_258
; %bb.257:                              ;   in Loop: Header=BB30_14 Depth=1
	v_accvgpr_read_b32 v1, a29
	v_mul_lo_u32 v4, v4, s29
	v_add_u32_e32 v1, 0, v1
	v_add_lshl_u32 v5, v4, v194, 7
	ds_read2_b32 v[2:3], v1 offset0:128 offset1:129
	ds_read2st64_b32 v[6:7], v1 offset0:35 offset1:68
	ds_read_b32 v4, v1 offset:25856
	v_accvgpr_read_b32 v1, a28
	v_add_u32_e32 v12, v38, v5
	ds_read2st64_b32 v[8:9], v1 offset1:1
	ds_read2st64_b32 v[10:11], v1 offset0:33 offset1:66
	ds_read_b32 v1, v1 offset:25344
	v_ashrrev_i32_e32 v13, 31, v12
	v_lshlrev_b64 v[12:13], 3, v[12:13]
	v_add_co_u32_e32 v12, vcc, s57, v12
	v_mov_b32_e32 v14, s51
	v_addc_co_u32_e32 v13, vcc, v14, v13, vcc
	s_waitcnt lgkmcnt(2)
	v_cvt_f32_f16_sdwa v15, v8 dst_sel:DWORD dst_unused:UNUSED_PAD src0_sel:WORD_1
	v_cvt_f32_f16_e32 v14, v8
	s_waitcnt lgkmcnt(1)
	v_cvt_f32_f16_sdwa v17, v10 dst_sel:DWORD dst_unused:UNUSED_PAD src0_sel:WORD_1
	v_cvt_f32_f16_e32 v16, v10
	v_mov_b32_e32 v8, v7
	v_pk_fma_f32 v[14:15], v[2:3], v[14:15], 0 op_sel_hi:[0,1,0]
	v_pk_fma_f32 v[14:15], v[6:7], v[16:17], v[14:15] op_sel_hi:[0,1,1]
	v_cvt_f32_f16_sdwa v17, v11 dst_sel:DWORD dst_unused:UNUSED_PAD src0_sel:WORD_1
	v_cvt_f32_f16_e32 v16, v11
	v_pk_fma_f32 v[10:11], v[8:9], v[16:17], v[14:15] op_sel_hi:[0,1,1]
	s_waitcnt lgkmcnt(0)
	v_cvt_f32_f16_sdwa v15, v1 dst_sel:DWORD dst_unused:UNUSED_PAD src0_sel:WORD_1
	v_cvt_f32_f16_e32 v14, v1
	v_pk_fma_f32 v[10:11], v[4:5], v[14:15], v[10:11] op_sel_hi:[0,1,1]
	v_div_scale_f32 v1, s[52:53], v3, v3, v11
	v_rcp_f32_e32 v7, v1
	v_fma_f32 v14, -v1, v7, 1.0
	v_fmac_f32_e32 v7, v14, v7
	v_div_scale_f32 v14, vcc, v11, v3, v11
	v_mul_f32_e32 v15, v14, v7
	v_fma_f32 v16, -v1, v15, v14
	v_fmac_f32_e32 v15, v16, v7
	v_fma_f32 v1, -v1, v15, v14
	v_div_fmas_f32 v1, v1, v7, v15
	v_div_fixup_f32 v11, v1, v3, v11
	v_div_scale_f32 v1, s[52:53], v3, v3, v10
	v_rcp_f32_e32 v7, v1
	v_fma_f32 v14, -v1, v7, 1.0
	v_fmac_f32_e32 v7, v14, v7
	v_div_scale_f32 v14, vcc, v10, v3, v10
	v_mul_f32_e32 v15, v14, v7
	v_fma_f32 v16, -v1, v15, v14
	v_fmac_f32_e32 v15, v16, v7
	v_fma_f32 v1, -v1, v15, v14
	v_div_fmas_f32 v1, v1, v7, v15
	v_div_fixup_f32 v10, v1, v3, v10
	global_store_dwordx2 v[12:13], v[10:11], off
	v_accvgpr_read_b32 v1, a30
	ds_read2st64_b32 v[10:11], v1 offset0:33 offset1:66
	ds_read_b32 v1, v1 offset:25344
	v_cvt_f32_f16_sdwa v15, v9 dst_sel:DWORD dst_unused:UNUSED_PAD src0_sel:WORD_1
	v_cvt_f32_f16_e32 v14, v9
	v_ashrrev_i32_e32 v7, 31, v5
	s_waitcnt lgkmcnt(1)
	v_cvt_f32_f16_sdwa v17, v10 dst_sel:DWORD dst_unused:UNUSED_PAD src0_sel:WORD_1
	v_cvt_f32_f16_e32 v16, v10
	v_add_co_u32_e32 v12, vcc, v38, v5
	v_pk_fma_f32 v[14:15], v[2:3], v[14:15], 0 op_sel_hi:[0,1,0]
	v_addc_co_u32_e32 v13, vcc, 0, v7, vcc
	v_pk_fma_f32 v[6:7], v[6:7], v[16:17], v[14:15] op_sel_hi:[0,1,1]
	v_cvt_f32_f16_sdwa v15, v11 dst_sel:DWORD dst_unused:UNUSED_PAD src0_sel:WORD_1
	v_cvt_f32_f16_e32 v14, v11
	v_lshlrev_b64 v[12:13], 3, v[12:13]
	v_add_co_u32_e32 v12, vcc, s57, v12
	v_pk_fma_f32 v[6:7], v[8:9], v[14:15], v[6:7] op_sel_hi:[0,1,1]
	s_waitcnt lgkmcnt(0)
	v_cvt_f32_f16_sdwa v9, v1 dst_sel:DWORD dst_unused:UNUSED_PAD src0_sel:WORD_1
	v_cvt_f32_f16_e32 v8, v1
	v_mov_b32_e32 v5, s51
	v_addc_co_u32_e32 v13, vcc, v5, v13, vcc
	v_pk_fma_f32 v[4:5], v[4:5], v[8:9], v[6:7] op_sel_hi:[0,1,1]
	v_div_scale_f32 v1, s[52:53], v3, v3, v5
	v_rcp_f32_e32 v2, v1
	v_fma_f32 v6, -v1, v2, 1.0
	v_fmac_f32_e32 v2, v6, v2
	v_div_scale_f32 v6, vcc, v5, v3, v5
	v_mul_f32_e32 v7, v6, v2
	v_fma_f32 v8, -v1, v7, v6
	v_fmac_f32_e32 v7, v8, v2
	v_fma_f32 v1, -v1, v7, v6
	v_div_fmas_f32 v1, v1, v2, v7
	v_div_fixup_f32 v5, v1, v3, v5
	v_div_scale_f32 v1, s[52:53], v3, v3, v4
	v_rcp_f32_e32 v2, v1
	v_fma_f32 v6, -v1, v2, 1.0
	v_fmac_f32_e32 v2, v6, v2
	v_div_scale_f32 v6, vcc, v4, v3, v4
	v_mul_f32_e32 v7, v6, v2
	v_fma_f32 v8, -v1, v7, v6
	v_fmac_f32_e32 v7, v8, v2
	v_fma_f32 v1, -v1, v7, v6
	v_div_fmas_f32 v1, v1, v2, v7
	v_div_fixup_f32 v4, v1, v3, v4
	v_mov_b32_e32 v1, 0
	global_store_dwordx2 v[12:13], v[4:5], off offset:512
.LBB30_258:                             ;   in Loop: Header=BB30_14 Depth=1
	s_or_b64 exec, exec, s[10:11]
	s_movk_i32 s10, 0x47
	v_cmp_gt_i32_e32 vcc, s10, v1
	s_mov_b64 s[10:11], -1
	s_and_saveexec_b64 s[74:75], vcc
; %bb.259:                              ;   in Loop: Header=BB30_14 Depth=1
	v_cmp_eq_u32_e32 vcc, 0, v1
	s_orn2_b64 s[10:11], vcc, exec
; %bb.260:                              ;   in Loop: Header=BB30_14 Depth=1
	s_or_b64 exec, exec, s[74:75]
	s_and_b64 exec, exec, s[10:11]
	s_cbranch_execz .LBB30_12
; %bb.261:                              ;   in Loop: Header=BB30_14 Depth=1
	v_accvgpr_read_b32 v1, a31
	v_add_u32_e32 v4, s76, v1
	v_accvgpr_read_b32 v1, a32
	v_or_b32_e32 v1, s6, v1
	v_cmp_gt_i32_e32 vcc, s28, v4
	v_cmp_gt_i32_e64 s[10:11], s33, v1
	s_and_b64 s[52:53], vcc, s[10:11]
	v_mov_b32_e32 v1, 0x47
	s_and_saveexec_b64 s[10:11], s[52:53]
	s_cbranch_execz .LBB30_263
; %bb.262:                              ;   in Loop: Header=BB30_14 Depth=1
	v_accvgpr_read_b32 v1, a34
	v_mul_lo_u32 v4, v4, s29
	v_accvgpr_read_b32 v5, a32
	v_add_u32_e32 v1, 0, v1
	v_add_lshl_u32 v5, v4, v5, 7
	ds_read2_b32 v[2:3], v1 offset0:128 offset1:129
	ds_read2st64_b32 v[6:7], v1 offset0:35 offset1:68
	ds_read_b32 v4, v1 offset:25856
	v_accvgpr_read_b32 v1, a33
	v_add_u32_e32 v12, v38, v5
	ds_read2st64_b32 v[8:9], v1 offset1:1
	ds_read2st64_b32 v[10:11], v1 offset0:33 offset1:66
	ds_read_b32 v1, v1 offset:25344
	v_ashrrev_i32_e32 v13, 31, v12
	v_lshlrev_b64 v[12:13], 3, v[12:13]
	v_add_co_u32_e32 v12, vcc, s57, v12
	v_mov_b32_e32 v14, s51
	v_addc_co_u32_e32 v13, vcc, v14, v13, vcc
	s_waitcnt lgkmcnt(2)
	v_cvt_f32_f16_sdwa v15, v8 dst_sel:DWORD dst_unused:UNUSED_PAD src0_sel:WORD_1
	v_cvt_f32_f16_e32 v14, v8
	s_waitcnt lgkmcnt(1)
	v_cvt_f32_f16_sdwa v17, v10 dst_sel:DWORD dst_unused:UNUSED_PAD src0_sel:WORD_1
	v_cvt_f32_f16_e32 v16, v10
	v_mov_b32_e32 v8, v7
	v_pk_fma_f32 v[14:15], v[2:3], v[14:15], 0 op_sel_hi:[0,1,0]
	v_pk_fma_f32 v[14:15], v[6:7], v[16:17], v[14:15] op_sel_hi:[0,1,1]
	v_cvt_f32_f16_sdwa v17, v11 dst_sel:DWORD dst_unused:UNUSED_PAD src0_sel:WORD_1
	v_cvt_f32_f16_e32 v16, v11
	v_pk_fma_f32 v[10:11], v[8:9], v[16:17], v[14:15] op_sel_hi:[0,1,1]
	s_waitcnt lgkmcnt(0)
	v_cvt_f32_f16_sdwa v15, v1 dst_sel:DWORD dst_unused:UNUSED_PAD src0_sel:WORD_1
	v_cvt_f32_f16_e32 v14, v1
	v_pk_fma_f32 v[10:11], v[4:5], v[14:15], v[10:11] op_sel_hi:[0,1,1]
	v_div_scale_f32 v1, s[52:53], v3, v3, v11
	v_rcp_f32_e32 v7, v1
	v_fma_f32 v14, -v1, v7, 1.0
	v_fmac_f32_e32 v7, v14, v7
	v_div_scale_f32 v14, vcc, v11, v3, v11
	v_mul_f32_e32 v15, v14, v7
	v_fma_f32 v16, -v1, v15, v14
	v_fmac_f32_e32 v15, v16, v7
	v_fma_f32 v1, -v1, v15, v14
	v_div_fmas_f32 v1, v1, v7, v15
	v_div_fixup_f32 v11, v1, v3, v11
	v_div_scale_f32 v1, s[52:53], v3, v3, v10
	v_rcp_f32_e32 v7, v1
	v_fma_f32 v14, -v1, v7, 1.0
	v_fmac_f32_e32 v7, v14, v7
	v_div_scale_f32 v14, vcc, v10, v3, v10
	v_mul_f32_e32 v15, v14, v7
	v_fma_f32 v16, -v1, v15, v14
	v_fmac_f32_e32 v15, v16, v7
	v_fma_f32 v1, -v1, v15, v14
	v_div_fmas_f32 v1, v1, v7, v15
	v_div_fixup_f32 v10, v1, v3, v10
	global_store_dwordx2 v[12:13], v[10:11], off
	v_accvgpr_read_b32 v1, a35
	ds_read2st64_b32 v[10:11], v1 offset0:33 offset1:66
	ds_read_b32 v1, v1 offset:25344
	v_cvt_f32_f16_sdwa v15, v9 dst_sel:DWORD dst_unused:UNUSED_PAD src0_sel:WORD_1
	v_cvt_f32_f16_e32 v14, v9
	v_ashrrev_i32_e32 v7, 31, v5
	s_waitcnt lgkmcnt(1)
	v_cvt_f32_f16_sdwa v17, v10 dst_sel:DWORD dst_unused:UNUSED_PAD src0_sel:WORD_1
	v_cvt_f32_f16_e32 v16, v10
	v_add_co_u32_e32 v12, vcc, v38, v5
	v_pk_fma_f32 v[14:15], v[2:3], v[14:15], 0 op_sel_hi:[0,1,0]
	v_addc_co_u32_e32 v13, vcc, 0, v7, vcc
	v_pk_fma_f32 v[6:7], v[6:7], v[16:17], v[14:15] op_sel_hi:[0,1,1]
	v_cvt_f32_f16_sdwa v15, v11 dst_sel:DWORD dst_unused:UNUSED_PAD src0_sel:WORD_1
	v_cvt_f32_f16_e32 v14, v11
	v_lshlrev_b64 v[12:13], 3, v[12:13]
	v_add_co_u32_e32 v12, vcc, s57, v12
	v_pk_fma_f32 v[6:7], v[8:9], v[14:15], v[6:7] op_sel_hi:[0,1,1]
	s_waitcnt lgkmcnt(0)
	v_cvt_f32_f16_sdwa v9, v1 dst_sel:DWORD dst_unused:UNUSED_PAD src0_sel:WORD_1
	v_cvt_f32_f16_e32 v8, v1
	v_mov_b32_e32 v5, s51
	v_addc_co_u32_e32 v13, vcc, v5, v13, vcc
	v_pk_fma_f32 v[4:5], v[4:5], v[8:9], v[6:7] op_sel_hi:[0,1,1]
	v_div_scale_f32 v1, s[52:53], v3, v3, v5
	v_rcp_f32_e32 v2, v1
	v_fma_f32 v6, -v1, v2, 1.0
	v_fmac_f32_e32 v2, v6, v2
	v_div_scale_f32 v6, vcc, v5, v3, v5
	v_mul_f32_e32 v7, v6, v2
	v_fma_f32 v8, -v1, v7, v6
	v_fmac_f32_e32 v7, v8, v2
	v_fma_f32 v1, -v1, v7, v6
	v_div_fmas_f32 v1, v1, v2, v7
	v_div_fixup_f32 v5, v1, v3, v5
	v_div_scale_f32 v1, s[52:53], v3, v3, v4
	v_rcp_f32_e32 v2, v1
	v_fma_f32 v6, -v1, v2, 1.0
	v_fmac_f32_e32 v2, v6, v2
	v_div_scale_f32 v6, vcc, v4, v3, v4
	v_mul_f32_e32 v7, v6, v2
	v_fma_f32 v8, -v1, v7, v6
	v_fmac_f32_e32 v7, v8, v2
	v_fma_f32 v1, -v1, v7, v6
	v_div_fmas_f32 v1, v1, v2, v7
	v_div_fixup_f32 v4, v1, v3, v4
	v_mov_b32_e32 v1, 0
	global_store_dwordx2 v[12:13], v[4:5], off offset:512
.LBB30_263:                             ;   in Loop: Header=BB30_14 Depth=1
	s_or_b64 exec, exec, s[10:11]
	s_movk_i32 s10, 0x47
	v_cmp_gt_i32_e32 vcc, s10, v1
	s_mov_b64 s[10:11], -1
	s_and_saveexec_b64 s[74:75], vcc
; %bb.264:                              ;   in Loop: Header=BB30_14 Depth=1
	v_cmp_eq_u32_e32 vcc, 0, v1
	s_orn2_b64 s[10:11], vcc, exec
; %bb.265:                              ;   in Loop: Header=BB30_14 Depth=1
	s_or_b64 exec, exec, s[74:75]
	s_and_b64 exec, exec, s[10:11]
	s_cbranch_execz .LBB30_12
; %bb.266:                              ;   in Loop: Header=BB30_14 Depth=1
	v_accvgpr_read_b32 v1, a36
	v_add_u32_e32 v4, s76, v1
	v_cmp_gt_i32_e32 vcc, s28, v4
	s_and_b64 s[52:53], vcc, s[8:9]
	v_mov_b32_e32 v1, 0x47
	s_and_saveexec_b64 s[10:11], s[52:53]
	s_cbranch_execz .LBB30_268
; %bb.267:                              ;   in Loop: Header=BB30_14 Depth=1
	v_accvgpr_read_b32 v1, a38
	v_mul_lo_u32 v4, v4, s29
	v_add_u32_e32 v1, 0, v1
	v_add_lshl_u32 v5, v4, v194, 7
	ds_read2_b32 v[2:3], v1 offset0:128 offset1:129
	ds_read2st64_b32 v[6:7], v1 offset0:35 offset1:68
	ds_read_b32 v4, v1 offset:25856
	v_accvgpr_read_b32 v1, a37
	v_add_u32_e32 v12, v38, v5
	ds_read2st64_b32 v[8:9], v1 offset1:1
	ds_read2st64_b32 v[10:11], v1 offset0:33 offset1:66
	ds_read_b32 v1, v1 offset:25344
	v_ashrrev_i32_e32 v13, 31, v12
	v_lshlrev_b64 v[12:13], 3, v[12:13]
	v_add_co_u32_e32 v12, vcc, s57, v12
	v_mov_b32_e32 v14, s51
	v_addc_co_u32_e32 v13, vcc, v14, v13, vcc
	s_waitcnt lgkmcnt(2)
	v_cvt_f32_f16_sdwa v15, v8 dst_sel:DWORD dst_unused:UNUSED_PAD src0_sel:WORD_1
	v_cvt_f32_f16_e32 v14, v8
	s_waitcnt lgkmcnt(1)
	v_cvt_f32_f16_sdwa v17, v10 dst_sel:DWORD dst_unused:UNUSED_PAD src0_sel:WORD_1
	v_cvt_f32_f16_e32 v16, v10
	v_mov_b32_e32 v8, v7
	v_pk_fma_f32 v[14:15], v[2:3], v[14:15], 0 op_sel_hi:[0,1,0]
	v_pk_fma_f32 v[14:15], v[6:7], v[16:17], v[14:15] op_sel_hi:[0,1,1]
	v_cvt_f32_f16_sdwa v17, v11 dst_sel:DWORD dst_unused:UNUSED_PAD src0_sel:WORD_1
	v_cvt_f32_f16_e32 v16, v11
	v_pk_fma_f32 v[10:11], v[8:9], v[16:17], v[14:15] op_sel_hi:[0,1,1]
	s_waitcnt lgkmcnt(0)
	v_cvt_f32_f16_sdwa v15, v1 dst_sel:DWORD dst_unused:UNUSED_PAD src0_sel:WORD_1
	v_cvt_f32_f16_e32 v14, v1
	v_pk_fma_f32 v[10:11], v[4:5], v[14:15], v[10:11] op_sel_hi:[0,1,1]
	v_div_scale_f32 v1, s[52:53], v3, v3, v11
	v_rcp_f32_e32 v7, v1
	v_fma_f32 v14, -v1, v7, 1.0
	v_fmac_f32_e32 v7, v14, v7
	v_div_scale_f32 v14, vcc, v11, v3, v11
	v_mul_f32_e32 v15, v14, v7
	v_fma_f32 v16, -v1, v15, v14
	v_fmac_f32_e32 v15, v16, v7
	v_fma_f32 v1, -v1, v15, v14
	v_div_fmas_f32 v1, v1, v7, v15
	v_div_fixup_f32 v11, v1, v3, v11
	v_div_scale_f32 v1, s[52:53], v3, v3, v10
	v_rcp_f32_e32 v7, v1
	v_fma_f32 v14, -v1, v7, 1.0
	v_fmac_f32_e32 v7, v14, v7
	v_div_scale_f32 v14, vcc, v10, v3, v10
	v_mul_f32_e32 v15, v14, v7
	v_fma_f32 v16, -v1, v15, v14
	v_fmac_f32_e32 v15, v16, v7
	v_fma_f32 v1, -v1, v15, v14
	v_div_fmas_f32 v1, v1, v7, v15
	v_div_fixup_f32 v10, v1, v3, v10
	global_store_dwordx2 v[12:13], v[10:11], off
	v_accvgpr_read_b32 v1, a39
	ds_read2st64_b32 v[10:11], v1 offset0:33 offset1:66
	ds_read_b32 v1, v1 offset:25344
	v_cvt_f32_f16_sdwa v15, v9 dst_sel:DWORD dst_unused:UNUSED_PAD src0_sel:WORD_1
	v_cvt_f32_f16_e32 v14, v9
	v_ashrrev_i32_e32 v7, 31, v5
	s_waitcnt lgkmcnt(1)
	v_cvt_f32_f16_sdwa v17, v10 dst_sel:DWORD dst_unused:UNUSED_PAD src0_sel:WORD_1
	v_cvt_f32_f16_e32 v16, v10
	v_add_co_u32_e32 v12, vcc, v38, v5
	v_pk_fma_f32 v[14:15], v[2:3], v[14:15], 0 op_sel_hi:[0,1,0]
	v_addc_co_u32_e32 v13, vcc, 0, v7, vcc
	v_pk_fma_f32 v[6:7], v[6:7], v[16:17], v[14:15] op_sel_hi:[0,1,1]
	v_cvt_f32_f16_sdwa v15, v11 dst_sel:DWORD dst_unused:UNUSED_PAD src0_sel:WORD_1
	v_cvt_f32_f16_e32 v14, v11
	v_lshlrev_b64 v[12:13], 3, v[12:13]
	v_add_co_u32_e32 v12, vcc, s57, v12
	v_pk_fma_f32 v[6:7], v[8:9], v[14:15], v[6:7] op_sel_hi:[0,1,1]
	s_waitcnt lgkmcnt(0)
	v_cvt_f32_f16_sdwa v9, v1 dst_sel:DWORD dst_unused:UNUSED_PAD src0_sel:WORD_1
	v_cvt_f32_f16_e32 v8, v1
	v_mov_b32_e32 v5, s51
	v_addc_co_u32_e32 v13, vcc, v5, v13, vcc
	v_pk_fma_f32 v[4:5], v[4:5], v[8:9], v[6:7] op_sel_hi:[0,1,1]
	v_div_scale_f32 v1, s[52:53], v3, v3, v5
	v_rcp_f32_e32 v2, v1
	v_fma_f32 v6, -v1, v2, 1.0
	v_fmac_f32_e32 v2, v6, v2
	v_div_scale_f32 v6, vcc, v5, v3, v5
	v_mul_f32_e32 v7, v6, v2
	v_fma_f32 v8, -v1, v7, v6
	v_fmac_f32_e32 v7, v8, v2
	v_fma_f32 v1, -v1, v7, v6
	v_div_fmas_f32 v1, v1, v2, v7
	v_div_fixup_f32 v5, v1, v3, v5
	v_div_scale_f32 v1, s[52:53], v3, v3, v4
	v_rcp_f32_e32 v2, v1
	v_fma_f32 v6, -v1, v2, 1.0
	v_fmac_f32_e32 v2, v6, v2
	v_div_scale_f32 v6, vcc, v4, v3, v4
	v_mul_f32_e32 v7, v6, v2
	v_fma_f32 v8, -v1, v7, v6
	v_fmac_f32_e32 v7, v8, v2
	v_fma_f32 v1, -v1, v7, v6
	v_div_fmas_f32 v1, v1, v2, v7
	v_div_fixup_f32 v4, v1, v3, v4
	v_mov_b32_e32 v1, 0
	global_store_dwordx2 v[12:13], v[4:5], off offset:512
.LBB30_268:                             ;   in Loop: Header=BB30_14 Depth=1
	s_or_b64 exec, exec, s[10:11]
	s_movk_i32 s10, 0x47
	v_cmp_gt_i32_e32 vcc, s10, v1
	s_mov_b64 s[10:11], -1
	s_and_saveexec_b64 s[74:75], vcc
; %bb.269:                              ;   in Loop: Header=BB30_14 Depth=1
	v_cmp_eq_u32_e32 vcc, 0, v1
	s_orn2_b64 s[10:11], vcc, exec
; %bb.270:                              ;   in Loop: Header=BB30_14 Depth=1
	s_or_b64 exec, exec, s[74:75]
	s_and_b64 exec, exec, s[10:11]
	s_cbranch_execz .LBB30_12
; %bb.271:                              ;   in Loop: Header=BB30_14 Depth=1
	v_accvgpr_read_b32 v1, a40
	v_add_u32_e32 v4, s76, v1
	v_accvgpr_read_b32 v1, a41
	v_or_b32_e32 v1, s6, v1
	v_cmp_gt_i32_e32 vcc, s28, v4
	v_cmp_gt_i32_e64 s[10:11], s33, v1
	s_and_b64 s[52:53], vcc, s[10:11]
	v_mov_b32_e32 v1, 0x47
	s_and_saveexec_b64 s[10:11], s[52:53]
	s_cbranch_execz .LBB30_273
; %bb.272:                              ;   in Loop: Header=BB30_14 Depth=1
	v_accvgpr_read_b32 v1, a43
	v_mul_lo_u32 v4, v4, s29
	v_accvgpr_read_b32 v5, a41
	v_add_u32_e32 v1, 0, v1
	v_add_lshl_u32 v5, v4, v5, 7
	ds_read2_b32 v[2:3], v1 offset0:128 offset1:129
	ds_read2st64_b32 v[6:7], v1 offset0:35 offset1:68
	ds_read_b32 v4, v1 offset:25856
	v_accvgpr_read_b32 v1, a42
	v_add_u32_e32 v12, v38, v5
	ds_read2st64_b32 v[8:9], v1 offset1:1
	ds_read2st64_b32 v[10:11], v1 offset0:33 offset1:66
	ds_read_b32 v1, v1 offset:25344
	v_ashrrev_i32_e32 v13, 31, v12
	v_lshlrev_b64 v[12:13], 3, v[12:13]
	v_add_co_u32_e32 v12, vcc, s57, v12
	v_mov_b32_e32 v14, s51
	v_addc_co_u32_e32 v13, vcc, v14, v13, vcc
	s_waitcnt lgkmcnt(2)
	v_cvt_f32_f16_sdwa v15, v8 dst_sel:DWORD dst_unused:UNUSED_PAD src0_sel:WORD_1
	v_cvt_f32_f16_e32 v14, v8
	s_waitcnt lgkmcnt(1)
	v_cvt_f32_f16_sdwa v17, v10 dst_sel:DWORD dst_unused:UNUSED_PAD src0_sel:WORD_1
	v_cvt_f32_f16_e32 v16, v10
	v_mov_b32_e32 v8, v7
	v_pk_fma_f32 v[14:15], v[2:3], v[14:15], 0 op_sel_hi:[0,1,0]
	v_pk_fma_f32 v[14:15], v[6:7], v[16:17], v[14:15] op_sel_hi:[0,1,1]
	v_cvt_f32_f16_sdwa v17, v11 dst_sel:DWORD dst_unused:UNUSED_PAD src0_sel:WORD_1
	v_cvt_f32_f16_e32 v16, v11
	v_pk_fma_f32 v[10:11], v[8:9], v[16:17], v[14:15] op_sel_hi:[0,1,1]
	s_waitcnt lgkmcnt(0)
	v_cvt_f32_f16_sdwa v15, v1 dst_sel:DWORD dst_unused:UNUSED_PAD src0_sel:WORD_1
	v_cvt_f32_f16_e32 v14, v1
	v_pk_fma_f32 v[10:11], v[4:5], v[14:15], v[10:11] op_sel_hi:[0,1,1]
	v_div_scale_f32 v1, s[52:53], v3, v3, v11
	v_rcp_f32_e32 v7, v1
	v_fma_f32 v14, -v1, v7, 1.0
	v_fmac_f32_e32 v7, v14, v7
	v_div_scale_f32 v14, vcc, v11, v3, v11
	v_mul_f32_e32 v15, v14, v7
	v_fma_f32 v16, -v1, v15, v14
	v_fmac_f32_e32 v15, v16, v7
	v_fma_f32 v1, -v1, v15, v14
	v_div_fmas_f32 v1, v1, v7, v15
	v_div_fixup_f32 v11, v1, v3, v11
	v_div_scale_f32 v1, s[52:53], v3, v3, v10
	v_rcp_f32_e32 v7, v1
	v_fma_f32 v14, -v1, v7, 1.0
	v_fmac_f32_e32 v7, v14, v7
	v_div_scale_f32 v14, vcc, v10, v3, v10
	v_mul_f32_e32 v15, v14, v7
	v_fma_f32 v16, -v1, v15, v14
	v_fmac_f32_e32 v15, v16, v7
	v_fma_f32 v1, -v1, v15, v14
	v_div_fmas_f32 v1, v1, v7, v15
	v_div_fixup_f32 v10, v1, v3, v10
	global_store_dwordx2 v[12:13], v[10:11], off
	v_accvgpr_read_b32 v1, a44
	ds_read2st64_b32 v[10:11], v1 offset0:33 offset1:66
	ds_read_b32 v1, v1 offset:25344
	v_cvt_f32_f16_sdwa v15, v9 dst_sel:DWORD dst_unused:UNUSED_PAD src0_sel:WORD_1
	v_cvt_f32_f16_e32 v14, v9
	v_ashrrev_i32_e32 v7, 31, v5
	s_waitcnt lgkmcnt(1)
	v_cvt_f32_f16_sdwa v17, v10 dst_sel:DWORD dst_unused:UNUSED_PAD src0_sel:WORD_1
	v_cvt_f32_f16_e32 v16, v10
	v_add_co_u32_e32 v12, vcc, v38, v5
	v_pk_fma_f32 v[14:15], v[2:3], v[14:15], 0 op_sel_hi:[0,1,0]
	v_addc_co_u32_e32 v13, vcc, 0, v7, vcc
	v_pk_fma_f32 v[6:7], v[6:7], v[16:17], v[14:15] op_sel_hi:[0,1,1]
	v_cvt_f32_f16_sdwa v15, v11 dst_sel:DWORD dst_unused:UNUSED_PAD src0_sel:WORD_1
	v_cvt_f32_f16_e32 v14, v11
	v_lshlrev_b64 v[12:13], 3, v[12:13]
	v_add_co_u32_e32 v12, vcc, s57, v12
	v_pk_fma_f32 v[6:7], v[8:9], v[14:15], v[6:7] op_sel_hi:[0,1,1]
	s_waitcnt lgkmcnt(0)
	v_cvt_f32_f16_sdwa v9, v1 dst_sel:DWORD dst_unused:UNUSED_PAD src0_sel:WORD_1
	v_cvt_f32_f16_e32 v8, v1
	v_mov_b32_e32 v5, s51
	v_addc_co_u32_e32 v13, vcc, v5, v13, vcc
	v_pk_fma_f32 v[4:5], v[4:5], v[8:9], v[6:7] op_sel_hi:[0,1,1]
	v_div_scale_f32 v1, s[52:53], v3, v3, v5
	v_rcp_f32_e32 v2, v1
	v_fma_f32 v6, -v1, v2, 1.0
	v_fmac_f32_e32 v2, v6, v2
	v_div_scale_f32 v6, vcc, v5, v3, v5
	v_mul_f32_e32 v7, v6, v2
	v_fma_f32 v8, -v1, v7, v6
	v_fmac_f32_e32 v7, v8, v2
	v_fma_f32 v1, -v1, v7, v6
	v_div_fmas_f32 v1, v1, v2, v7
	v_div_fixup_f32 v5, v1, v3, v5
	v_div_scale_f32 v1, s[52:53], v3, v3, v4
	v_rcp_f32_e32 v2, v1
	v_fma_f32 v6, -v1, v2, 1.0
	v_fmac_f32_e32 v2, v6, v2
	v_div_scale_f32 v6, vcc, v4, v3, v4
	v_mul_f32_e32 v7, v6, v2
	v_fma_f32 v8, -v1, v7, v6
	v_fmac_f32_e32 v7, v8, v2
	v_fma_f32 v1, -v1, v7, v6
	v_div_fmas_f32 v1, v1, v2, v7
	v_div_fixup_f32 v4, v1, v3, v4
	v_mov_b32_e32 v1, 0
	global_store_dwordx2 v[12:13], v[4:5], off offset:512
.LBB30_273:                             ;   in Loop: Header=BB30_14 Depth=1
	s_or_b64 exec, exec, s[10:11]
	s_movk_i32 s10, 0x47
	v_cmp_gt_i32_e32 vcc, s10, v1
	s_mov_b64 s[10:11], -1
	s_and_saveexec_b64 s[74:75], vcc
; %bb.274:                              ;   in Loop: Header=BB30_14 Depth=1
	v_cmp_eq_u32_e32 vcc, 0, v1
	s_orn2_b64 s[10:11], vcc, exec
; %bb.275:                              ;   in Loop: Header=BB30_14 Depth=1
	s_or_b64 exec, exec, s[74:75]
	s_and_b64 exec, exec, s[10:11]
	s_cbranch_execz .LBB30_12
; %bb.276:                              ;   in Loop: Header=BB30_14 Depth=1
	v_accvgpr_read_b32 v1, a45
	v_add_u32_e32 v4, s76, v1
	v_cmp_gt_i32_e32 vcc, s28, v4
	s_and_b64 s[52:53], vcc, s[8:9]
	v_mov_b32_e32 v1, 0x47
	s_and_saveexec_b64 s[10:11], s[52:53]
	s_cbranch_execz .LBB30_278
; %bb.277:                              ;   in Loop: Header=BB30_14 Depth=1
	v_accvgpr_read_b32 v1, a47
	v_mul_lo_u32 v4, v4, s29
	v_add_u32_e32 v1, 0, v1
	v_add_lshl_u32 v5, v4, v194, 7
	ds_read2_b32 v[2:3], v1 offset0:128 offset1:129
	ds_read2st64_b32 v[6:7], v1 offset0:35 offset1:68
	ds_read_b32 v4, v1 offset:25856
	v_accvgpr_read_b32 v1, a46
	v_add_u32_e32 v12, v38, v5
	ds_read2st64_b32 v[8:9], v1 offset1:1
	ds_read2st64_b32 v[10:11], v1 offset0:33 offset1:66
	ds_read_b32 v1, v1 offset:25344
	v_ashrrev_i32_e32 v13, 31, v12
	v_lshlrev_b64 v[12:13], 3, v[12:13]
	v_add_co_u32_e32 v12, vcc, s57, v12
	v_mov_b32_e32 v14, s51
	v_addc_co_u32_e32 v13, vcc, v14, v13, vcc
	s_waitcnt lgkmcnt(2)
	v_cvt_f32_f16_sdwa v15, v8 dst_sel:DWORD dst_unused:UNUSED_PAD src0_sel:WORD_1
	v_cvt_f32_f16_e32 v14, v8
	s_waitcnt lgkmcnt(1)
	v_cvt_f32_f16_sdwa v17, v10 dst_sel:DWORD dst_unused:UNUSED_PAD src0_sel:WORD_1
	v_cvt_f32_f16_e32 v16, v10
	v_mov_b32_e32 v8, v7
	v_pk_fma_f32 v[14:15], v[2:3], v[14:15], 0 op_sel_hi:[0,1,0]
	v_pk_fma_f32 v[14:15], v[6:7], v[16:17], v[14:15] op_sel_hi:[0,1,1]
	v_cvt_f32_f16_sdwa v17, v11 dst_sel:DWORD dst_unused:UNUSED_PAD src0_sel:WORD_1
	v_cvt_f32_f16_e32 v16, v11
	v_pk_fma_f32 v[10:11], v[8:9], v[16:17], v[14:15] op_sel_hi:[0,1,1]
	s_waitcnt lgkmcnt(0)
	v_cvt_f32_f16_sdwa v15, v1 dst_sel:DWORD dst_unused:UNUSED_PAD src0_sel:WORD_1
	v_cvt_f32_f16_e32 v14, v1
	v_pk_fma_f32 v[10:11], v[4:5], v[14:15], v[10:11] op_sel_hi:[0,1,1]
	v_div_scale_f32 v1, s[52:53], v3, v3, v11
	v_rcp_f32_e32 v7, v1
	v_fma_f32 v14, -v1, v7, 1.0
	v_fmac_f32_e32 v7, v14, v7
	v_div_scale_f32 v14, vcc, v11, v3, v11
	v_mul_f32_e32 v15, v14, v7
	v_fma_f32 v16, -v1, v15, v14
	v_fmac_f32_e32 v15, v16, v7
	v_fma_f32 v1, -v1, v15, v14
	v_div_fmas_f32 v1, v1, v7, v15
	v_div_fixup_f32 v11, v1, v3, v11
	v_div_scale_f32 v1, s[52:53], v3, v3, v10
	v_rcp_f32_e32 v7, v1
	v_fma_f32 v14, -v1, v7, 1.0
	v_fmac_f32_e32 v7, v14, v7
	v_div_scale_f32 v14, vcc, v10, v3, v10
	v_mul_f32_e32 v15, v14, v7
	v_fma_f32 v16, -v1, v15, v14
	v_fmac_f32_e32 v15, v16, v7
	v_fma_f32 v1, -v1, v15, v14
	v_div_fmas_f32 v1, v1, v7, v15
	v_div_fixup_f32 v10, v1, v3, v10
	global_store_dwordx2 v[12:13], v[10:11], off
	v_accvgpr_read_b32 v1, a48
	ds_read2st64_b32 v[10:11], v1 offset0:33 offset1:66
	ds_read_b32 v1, v1 offset:25344
	v_cvt_f32_f16_sdwa v15, v9 dst_sel:DWORD dst_unused:UNUSED_PAD src0_sel:WORD_1
	v_cvt_f32_f16_e32 v14, v9
	v_ashrrev_i32_e32 v7, 31, v5
	s_waitcnt lgkmcnt(1)
	v_cvt_f32_f16_sdwa v17, v10 dst_sel:DWORD dst_unused:UNUSED_PAD src0_sel:WORD_1
	v_cvt_f32_f16_e32 v16, v10
	v_add_co_u32_e32 v12, vcc, v38, v5
	v_pk_fma_f32 v[14:15], v[2:3], v[14:15], 0 op_sel_hi:[0,1,0]
	v_addc_co_u32_e32 v13, vcc, 0, v7, vcc
	v_pk_fma_f32 v[6:7], v[6:7], v[16:17], v[14:15] op_sel_hi:[0,1,1]
	v_cvt_f32_f16_sdwa v15, v11 dst_sel:DWORD dst_unused:UNUSED_PAD src0_sel:WORD_1
	v_cvt_f32_f16_e32 v14, v11
	v_lshlrev_b64 v[12:13], 3, v[12:13]
	v_add_co_u32_e32 v12, vcc, s57, v12
	v_pk_fma_f32 v[6:7], v[8:9], v[14:15], v[6:7] op_sel_hi:[0,1,1]
	s_waitcnt lgkmcnt(0)
	v_cvt_f32_f16_sdwa v9, v1 dst_sel:DWORD dst_unused:UNUSED_PAD src0_sel:WORD_1
	v_cvt_f32_f16_e32 v8, v1
	v_mov_b32_e32 v5, s51
	v_addc_co_u32_e32 v13, vcc, v5, v13, vcc
	v_pk_fma_f32 v[4:5], v[4:5], v[8:9], v[6:7] op_sel_hi:[0,1,1]
	v_div_scale_f32 v1, s[52:53], v3, v3, v5
	v_rcp_f32_e32 v2, v1
	v_fma_f32 v6, -v1, v2, 1.0
	v_fmac_f32_e32 v2, v6, v2
	v_div_scale_f32 v6, vcc, v5, v3, v5
	v_mul_f32_e32 v7, v6, v2
	v_fma_f32 v8, -v1, v7, v6
	v_fmac_f32_e32 v7, v8, v2
	v_fma_f32 v1, -v1, v7, v6
	v_div_fmas_f32 v1, v1, v2, v7
	v_div_fixup_f32 v5, v1, v3, v5
	v_div_scale_f32 v1, s[52:53], v3, v3, v4
	v_rcp_f32_e32 v2, v1
	v_fma_f32 v6, -v1, v2, 1.0
	v_fmac_f32_e32 v2, v6, v2
	v_div_scale_f32 v6, vcc, v4, v3, v4
	v_mul_f32_e32 v7, v6, v2
	v_fma_f32 v8, -v1, v7, v6
	v_fmac_f32_e32 v7, v8, v2
	v_fma_f32 v1, -v1, v7, v6
	v_div_fmas_f32 v1, v1, v2, v7
	v_div_fixup_f32 v4, v1, v3, v4
	v_mov_b32_e32 v1, 0
	global_store_dwordx2 v[12:13], v[4:5], off offset:512
.LBB30_278:                             ;   in Loop: Header=BB30_14 Depth=1
	s_or_b64 exec, exec, s[10:11]
	s_movk_i32 s10, 0x47
	v_cmp_gt_i32_e32 vcc, s10, v1
	s_mov_b64 s[10:11], -1
	s_and_saveexec_b64 s[74:75], vcc
; %bb.279:                              ;   in Loop: Header=BB30_14 Depth=1
	v_cmp_eq_u32_e32 vcc, 0, v1
	s_orn2_b64 s[10:11], vcc, exec
; %bb.280:                              ;   in Loop: Header=BB30_14 Depth=1
	s_or_b64 exec, exec, s[74:75]
	s_and_b64 exec, exec, s[10:11]
	s_cbranch_execz .LBB30_12
; %bb.281:                              ;   in Loop: Header=BB30_14 Depth=1
	v_accvgpr_read_b32 v1, a49
	v_add_u32_e32 v4, s76, v1
	v_accvgpr_read_b32 v1, a50
	v_or_b32_e32 v1, s6, v1
	v_cmp_gt_i32_e32 vcc, s28, v4
	v_cmp_gt_i32_e64 s[10:11], s33, v1
	s_and_b64 s[52:53], vcc, s[10:11]
	v_mov_b32_e32 v1, 0x47
	s_and_saveexec_b64 s[10:11], s[52:53]
	s_cbranch_execz .LBB30_283
; %bb.282:                              ;   in Loop: Header=BB30_14 Depth=1
	v_accvgpr_read_b32 v1, a52
	v_mul_lo_u32 v4, v4, s29
	v_accvgpr_read_b32 v5, a50
	v_add_u32_e32 v1, 0, v1
	v_add_lshl_u32 v5, v4, v5, 7
	ds_read2_b32 v[2:3], v1 offset0:128 offset1:129
	ds_read2st64_b32 v[6:7], v1 offset0:35 offset1:68
	ds_read_b32 v4, v1 offset:25856
	v_accvgpr_read_b32 v1, a51
	v_add_u32_e32 v12, v38, v5
	ds_read2st64_b32 v[8:9], v1 offset1:1
	ds_read2st64_b32 v[10:11], v1 offset0:33 offset1:66
	ds_read_b32 v1, v1 offset:25344
	v_ashrrev_i32_e32 v13, 31, v12
	v_lshlrev_b64 v[12:13], 3, v[12:13]
	v_add_co_u32_e32 v12, vcc, s57, v12
	v_mov_b32_e32 v14, s51
	v_addc_co_u32_e32 v13, vcc, v14, v13, vcc
	s_waitcnt lgkmcnt(2)
	v_cvt_f32_f16_sdwa v15, v8 dst_sel:DWORD dst_unused:UNUSED_PAD src0_sel:WORD_1
	v_cvt_f32_f16_e32 v14, v8
	s_waitcnt lgkmcnt(1)
	v_cvt_f32_f16_sdwa v17, v10 dst_sel:DWORD dst_unused:UNUSED_PAD src0_sel:WORD_1
	v_cvt_f32_f16_e32 v16, v10
	v_mov_b32_e32 v8, v7
	v_pk_fma_f32 v[14:15], v[2:3], v[14:15], 0 op_sel_hi:[0,1,0]
	v_pk_fma_f32 v[14:15], v[6:7], v[16:17], v[14:15] op_sel_hi:[0,1,1]
	v_cvt_f32_f16_sdwa v17, v11 dst_sel:DWORD dst_unused:UNUSED_PAD src0_sel:WORD_1
	v_cvt_f32_f16_e32 v16, v11
	v_pk_fma_f32 v[10:11], v[8:9], v[16:17], v[14:15] op_sel_hi:[0,1,1]
	s_waitcnt lgkmcnt(0)
	v_cvt_f32_f16_sdwa v15, v1 dst_sel:DWORD dst_unused:UNUSED_PAD src0_sel:WORD_1
	v_cvt_f32_f16_e32 v14, v1
	v_pk_fma_f32 v[10:11], v[4:5], v[14:15], v[10:11] op_sel_hi:[0,1,1]
	v_div_scale_f32 v1, s[52:53], v3, v3, v11
	v_rcp_f32_e32 v7, v1
	v_fma_f32 v14, -v1, v7, 1.0
	v_fmac_f32_e32 v7, v14, v7
	v_div_scale_f32 v14, vcc, v11, v3, v11
	v_mul_f32_e32 v15, v14, v7
	v_fma_f32 v16, -v1, v15, v14
	v_fmac_f32_e32 v15, v16, v7
	v_fma_f32 v1, -v1, v15, v14
	v_div_fmas_f32 v1, v1, v7, v15
	v_div_fixup_f32 v11, v1, v3, v11
	v_div_scale_f32 v1, s[52:53], v3, v3, v10
	v_rcp_f32_e32 v7, v1
	v_fma_f32 v14, -v1, v7, 1.0
	v_fmac_f32_e32 v7, v14, v7
	v_div_scale_f32 v14, vcc, v10, v3, v10
	v_mul_f32_e32 v15, v14, v7
	v_fma_f32 v16, -v1, v15, v14
	v_fmac_f32_e32 v15, v16, v7
	v_fma_f32 v1, -v1, v15, v14
	v_div_fmas_f32 v1, v1, v7, v15
	v_div_fixup_f32 v10, v1, v3, v10
	global_store_dwordx2 v[12:13], v[10:11], off
	v_accvgpr_read_b32 v1, a53
	ds_read2st64_b32 v[10:11], v1 offset0:33 offset1:66
	ds_read_b32 v1, v1 offset:25344
	v_cvt_f32_f16_sdwa v15, v9 dst_sel:DWORD dst_unused:UNUSED_PAD src0_sel:WORD_1
	v_cvt_f32_f16_e32 v14, v9
	v_ashrrev_i32_e32 v7, 31, v5
	s_waitcnt lgkmcnt(1)
	v_cvt_f32_f16_sdwa v17, v10 dst_sel:DWORD dst_unused:UNUSED_PAD src0_sel:WORD_1
	v_cvt_f32_f16_e32 v16, v10
	v_add_co_u32_e32 v12, vcc, v38, v5
	v_pk_fma_f32 v[14:15], v[2:3], v[14:15], 0 op_sel_hi:[0,1,0]
	v_addc_co_u32_e32 v13, vcc, 0, v7, vcc
	v_pk_fma_f32 v[6:7], v[6:7], v[16:17], v[14:15] op_sel_hi:[0,1,1]
	v_cvt_f32_f16_sdwa v15, v11 dst_sel:DWORD dst_unused:UNUSED_PAD src0_sel:WORD_1
	v_cvt_f32_f16_e32 v14, v11
	v_lshlrev_b64 v[12:13], 3, v[12:13]
	v_add_co_u32_e32 v12, vcc, s57, v12
	v_pk_fma_f32 v[6:7], v[8:9], v[14:15], v[6:7] op_sel_hi:[0,1,1]
	s_waitcnt lgkmcnt(0)
	v_cvt_f32_f16_sdwa v9, v1 dst_sel:DWORD dst_unused:UNUSED_PAD src0_sel:WORD_1
	v_cvt_f32_f16_e32 v8, v1
	v_mov_b32_e32 v5, s51
	v_addc_co_u32_e32 v13, vcc, v5, v13, vcc
	v_pk_fma_f32 v[4:5], v[4:5], v[8:9], v[6:7] op_sel_hi:[0,1,1]
	v_div_scale_f32 v1, s[52:53], v3, v3, v5
	v_rcp_f32_e32 v2, v1
	v_fma_f32 v6, -v1, v2, 1.0
	v_fmac_f32_e32 v2, v6, v2
	v_div_scale_f32 v6, vcc, v5, v3, v5
	v_mul_f32_e32 v7, v6, v2
	v_fma_f32 v8, -v1, v7, v6
	v_fmac_f32_e32 v7, v8, v2
	v_fma_f32 v1, -v1, v7, v6
	v_div_fmas_f32 v1, v1, v2, v7
	v_div_fixup_f32 v5, v1, v3, v5
	v_div_scale_f32 v1, s[52:53], v3, v3, v4
	v_rcp_f32_e32 v2, v1
	v_fma_f32 v6, -v1, v2, 1.0
	v_fmac_f32_e32 v2, v6, v2
	v_div_scale_f32 v6, vcc, v4, v3, v4
	v_mul_f32_e32 v7, v6, v2
	v_fma_f32 v8, -v1, v7, v6
	v_fmac_f32_e32 v7, v8, v2
	v_fma_f32 v1, -v1, v7, v6
	v_div_fmas_f32 v1, v1, v2, v7
	v_div_fixup_f32 v4, v1, v3, v4
	v_mov_b32_e32 v1, 0
	global_store_dwordx2 v[12:13], v[4:5], off offset:512
.LBB30_283:                             ;   in Loop: Header=BB30_14 Depth=1
	s_or_b64 exec, exec, s[10:11]
	s_movk_i32 s10, 0x47
	v_cmp_gt_i32_e32 vcc, s10, v1
	s_mov_b64 s[10:11], -1
	s_and_saveexec_b64 s[74:75], vcc
; %bb.284:                              ;   in Loop: Header=BB30_14 Depth=1
	v_cmp_eq_u32_e32 vcc, 0, v1
	s_orn2_b64 s[10:11], vcc, exec
; %bb.285:                              ;   in Loop: Header=BB30_14 Depth=1
	s_or_b64 exec, exec, s[74:75]
	s_and_b64 exec, exec, s[10:11]
	s_cbranch_execz .LBB30_12
; %bb.286:                              ;   in Loop: Header=BB30_14 Depth=1
	v_accvgpr_read_b32 v1, a54
	v_add_u32_e32 v4, s76, v1
	v_cmp_gt_i32_e32 vcc, s28, v4
	s_and_b64 s[52:53], vcc, s[8:9]
	v_mov_b32_e32 v1, 0x47
	s_and_saveexec_b64 s[10:11], s[52:53]
	s_cbranch_execz .LBB30_288
; %bb.287:                              ;   in Loop: Header=BB30_14 Depth=1
	v_accvgpr_read_b32 v1, a56
	v_mul_lo_u32 v4, v4, s29
	v_add_u32_e32 v1, 0, v1
	v_add_lshl_u32 v5, v4, v194, 7
	ds_read2_b32 v[2:3], v1 offset0:128 offset1:129
	ds_read2st64_b32 v[6:7], v1 offset0:35 offset1:68
	ds_read_b32 v4, v1 offset:25856
	v_accvgpr_read_b32 v1, a55
	v_add_u32_e32 v12, v38, v5
	ds_read2st64_b32 v[8:9], v1 offset1:1
	ds_read2st64_b32 v[10:11], v1 offset0:33 offset1:66
	ds_read_b32 v1, v1 offset:25344
	v_ashrrev_i32_e32 v13, 31, v12
	v_lshlrev_b64 v[12:13], 3, v[12:13]
	v_add_co_u32_e32 v12, vcc, s57, v12
	v_mov_b32_e32 v14, s51
	v_addc_co_u32_e32 v13, vcc, v14, v13, vcc
	s_waitcnt lgkmcnt(2)
	v_cvt_f32_f16_sdwa v15, v8 dst_sel:DWORD dst_unused:UNUSED_PAD src0_sel:WORD_1
	v_cvt_f32_f16_e32 v14, v8
	s_waitcnt lgkmcnt(1)
	v_cvt_f32_f16_sdwa v17, v10 dst_sel:DWORD dst_unused:UNUSED_PAD src0_sel:WORD_1
	v_cvt_f32_f16_e32 v16, v10
	v_mov_b32_e32 v8, v7
	v_pk_fma_f32 v[14:15], v[2:3], v[14:15], 0 op_sel_hi:[0,1,0]
	v_pk_fma_f32 v[14:15], v[6:7], v[16:17], v[14:15] op_sel_hi:[0,1,1]
	v_cvt_f32_f16_sdwa v17, v11 dst_sel:DWORD dst_unused:UNUSED_PAD src0_sel:WORD_1
	v_cvt_f32_f16_e32 v16, v11
	v_pk_fma_f32 v[10:11], v[8:9], v[16:17], v[14:15] op_sel_hi:[0,1,1]
	s_waitcnt lgkmcnt(0)
	v_cvt_f32_f16_sdwa v15, v1 dst_sel:DWORD dst_unused:UNUSED_PAD src0_sel:WORD_1
	v_cvt_f32_f16_e32 v14, v1
	v_pk_fma_f32 v[10:11], v[4:5], v[14:15], v[10:11] op_sel_hi:[0,1,1]
	v_div_scale_f32 v1, s[52:53], v3, v3, v11
	v_rcp_f32_e32 v7, v1
	v_fma_f32 v14, -v1, v7, 1.0
	v_fmac_f32_e32 v7, v14, v7
	v_div_scale_f32 v14, vcc, v11, v3, v11
	v_mul_f32_e32 v15, v14, v7
	v_fma_f32 v16, -v1, v15, v14
	v_fmac_f32_e32 v15, v16, v7
	v_fma_f32 v1, -v1, v15, v14
	v_div_fmas_f32 v1, v1, v7, v15
	v_div_fixup_f32 v11, v1, v3, v11
	v_div_scale_f32 v1, s[52:53], v3, v3, v10
	v_rcp_f32_e32 v7, v1
	v_fma_f32 v14, -v1, v7, 1.0
	v_fmac_f32_e32 v7, v14, v7
	v_div_scale_f32 v14, vcc, v10, v3, v10
	v_mul_f32_e32 v15, v14, v7
	v_fma_f32 v16, -v1, v15, v14
	v_fmac_f32_e32 v15, v16, v7
	v_fma_f32 v1, -v1, v15, v14
	v_div_fmas_f32 v1, v1, v7, v15
	v_div_fixup_f32 v10, v1, v3, v10
	global_store_dwordx2 v[12:13], v[10:11], off
	v_accvgpr_read_b32 v1, a57
	ds_read2st64_b32 v[10:11], v1 offset0:33 offset1:66
	ds_read_b32 v1, v1 offset:25344
	v_cvt_f32_f16_sdwa v15, v9 dst_sel:DWORD dst_unused:UNUSED_PAD src0_sel:WORD_1
	v_cvt_f32_f16_e32 v14, v9
	v_ashrrev_i32_e32 v7, 31, v5
	s_waitcnt lgkmcnt(1)
	v_cvt_f32_f16_sdwa v17, v10 dst_sel:DWORD dst_unused:UNUSED_PAD src0_sel:WORD_1
	v_cvt_f32_f16_e32 v16, v10
	v_add_co_u32_e32 v12, vcc, v38, v5
	v_pk_fma_f32 v[14:15], v[2:3], v[14:15], 0 op_sel_hi:[0,1,0]
	v_addc_co_u32_e32 v13, vcc, 0, v7, vcc
	v_pk_fma_f32 v[6:7], v[6:7], v[16:17], v[14:15] op_sel_hi:[0,1,1]
	v_cvt_f32_f16_sdwa v15, v11 dst_sel:DWORD dst_unused:UNUSED_PAD src0_sel:WORD_1
	v_cvt_f32_f16_e32 v14, v11
	v_lshlrev_b64 v[12:13], 3, v[12:13]
	v_add_co_u32_e32 v12, vcc, s57, v12
	v_pk_fma_f32 v[6:7], v[8:9], v[14:15], v[6:7] op_sel_hi:[0,1,1]
	s_waitcnt lgkmcnt(0)
	v_cvt_f32_f16_sdwa v9, v1 dst_sel:DWORD dst_unused:UNUSED_PAD src0_sel:WORD_1
	v_cvt_f32_f16_e32 v8, v1
	v_mov_b32_e32 v5, s51
	v_addc_co_u32_e32 v13, vcc, v5, v13, vcc
	v_pk_fma_f32 v[4:5], v[4:5], v[8:9], v[6:7] op_sel_hi:[0,1,1]
	v_div_scale_f32 v1, s[52:53], v3, v3, v5
	v_rcp_f32_e32 v2, v1
	v_fma_f32 v6, -v1, v2, 1.0
	v_fmac_f32_e32 v2, v6, v2
	v_div_scale_f32 v6, vcc, v5, v3, v5
	v_mul_f32_e32 v7, v6, v2
	v_fma_f32 v8, -v1, v7, v6
	v_fmac_f32_e32 v7, v8, v2
	v_fma_f32 v1, -v1, v7, v6
	v_div_fmas_f32 v1, v1, v2, v7
	v_div_fixup_f32 v5, v1, v3, v5
	v_div_scale_f32 v1, s[52:53], v3, v3, v4
	v_rcp_f32_e32 v2, v1
	v_fma_f32 v6, -v1, v2, 1.0
	v_fmac_f32_e32 v2, v6, v2
	v_div_scale_f32 v6, vcc, v4, v3, v4
	v_mul_f32_e32 v7, v6, v2
	v_fma_f32 v8, -v1, v7, v6
	v_fmac_f32_e32 v7, v8, v2
	v_fma_f32 v1, -v1, v7, v6
	v_div_fmas_f32 v1, v1, v2, v7
	v_div_fixup_f32 v4, v1, v3, v4
	v_mov_b32_e32 v1, 0
	global_store_dwordx2 v[12:13], v[4:5], off offset:512
.LBB30_288:                             ;   in Loop: Header=BB30_14 Depth=1
	s_or_b64 exec, exec, s[10:11]
	s_movk_i32 s10, 0x47
	v_cmp_gt_i32_e32 vcc, s10, v1
	s_mov_b64 s[10:11], -1
	s_and_saveexec_b64 s[74:75], vcc
; %bb.289:                              ;   in Loop: Header=BB30_14 Depth=1
	v_cmp_eq_u32_e32 vcc, 0, v1
	s_orn2_b64 s[10:11], vcc, exec
; %bb.290:                              ;   in Loop: Header=BB30_14 Depth=1
	s_or_b64 exec, exec, s[74:75]
	s_and_b64 exec, exec, s[10:11]
	s_cbranch_execz .LBB30_12
; %bb.291:                              ;   in Loop: Header=BB30_14 Depth=1
	v_accvgpr_read_b32 v1, a58
	v_add_u32_e32 v4, s76, v1
	v_accvgpr_read_b32 v1, a59
	v_or_b32_e32 v1, s6, v1
	v_cmp_gt_i32_e32 vcc, s28, v4
	v_cmp_gt_i32_e64 s[10:11], s33, v1
	s_and_b64 s[52:53], vcc, s[10:11]
	v_mov_b32_e32 v1, 0x47
	s_and_saveexec_b64 s[10:11], s[52:53]
	s_cbranch_execz .LBB30_293
; %bb.292:                              ;   in Loop: Header=BB30_14 Depth=1
	v_accvgpr_read_b32 v1, a61
	v_mul_lo_u32 v4, v4, s29
	v_accvgpr_read_b32 v5, a59
	v_add_u32_e32 v1, 0, v1
	v_add_lshl_u32 v5, v4, v5, 7
	ds_read2_b32 v[2:3], v1 offset0:128 offset1:129
	ds_read2st64_b32 v[6:7], v1 offset0:35 offset1:68
	ds_read_b32 v4, v1 offset:25856
	v_accvgpr_read_b32 v1, a60
	v_add_u32_e32 v12, v38, v5
	ds_read2st64_b32 v[8:9], v1 offset1:1
	ds_read2st64_b32 v[10:11], v1 offset0:33 offset1:66
	ds_read_b32 v1, v1 offset:25344
	v_ashrrev_i32_e32 v13, 31, v12
	v_lshlrev_b64 v[12:13], 3, v[12:13]
	v_add_co_u32_e32 v12, vcc, s57, v12
	v_mov_b32_e32 v14, s51
	v_addc_co_u32_e32 v13, vcc, v14, v13, vcc
	s_waitcnt lgkmcnt(2)
	v_cvt_f32_f16_sdwa v15, v8 dst_sel:DWORD dst_unused:UNUSED_PAD src0_sel:WORD_1
	v_cvt_f32_f16_e32 v14, v8
	s_waitcnt lgkmcnt(1)
	v_cvt_f32_f16_sdwa v17, v10 dst_sel:DWORD dst_unused:UNUSED_PAD src0_sel:WORD_1
	v_cvt_f32_f16_e32 v16, v10
	v_mov_b32_e32 v8, v7
	v_pk_fma_f32 v[14:15], v[2:3], v[14:15], 0 op_sel_hi:[0,1,0]
	v_pk_fma_f32 v[14:15], v[6:7], v[16:17], v[14:15] op_sel_hi:[0,1,1]
	v_cvt_f32_f16_sdwa v17, v11 dst_sel:DWORD dst_unused:UNUSED_PAD src0_sel:WORD_1
	v_cvt_f32_f16_e32 v16, v11
	v_pk_fma_f32 v[10:11], v[8:9], v[16:17], v[14:15] op_sel_hi:[0,1,1]
	s_waitcnt lgkmcnt(0)
	v_cvt_f32_f16_sdwa v15, v1 dst_sel:DWORD dst_unused:UNUSED_PAD src0_sel:WORD_1
	v_cvt_f32_f16_e32 v14, v1
	v_pk_fma_f32 v[10:11], v[4:5], v[14:15], v[10:11] op_sel_hi:[0,1,1]
	v_div_scale_f32 v1, s[52:53], v3, v3, v11
	v_rcp_f32_e32 v7, v1
	v_fma_f32 v14, -v1, v7, 1.0
	v_fmac_f32_e32 v7, v14, v7
	v_div_scale_f32 v14, vcc, v11, v3, v11
	v_mul_f32_e32 v15, v14, v7
	v_fma_f32 v16, -v1, v15, v14
	v_fmac_f32_e32 v15, v16, v7
	v_fma_f32 v1, -v1, v15, v14
	v_div_fmas_f32 v1, v1, v7, v15
	v_div_fixup_f32 v11, v1, v3, v11
	v_div_scale_f32 v1, s[52:53], v3, v3, v10
	v_rcp_f32_e32 v7, v1
	v_fma_f32 v14, -v1, v7, 1.0
	v_fmac_f32_e32 v7, v14, v7
	v_div_scale_f32 v14, vcc, v10, v3, v10
	v_mul_f32_e32 v15, v14, v7
	v_fma_f32 v16, -v1, v15, v14
	v_fmac_f32_e32 v15, v16, v7
	v_fma_f32 v1, -v1, v15, v14
	v_div_fmas_f32 v1, v1, v7, v15
	v_div_fixup_f32 v10, v1, v3, v10
	global_store_dwordx2 v[12:13], v[10:11], off
	v_accvgpr_read_b32 v1, a62
	ds_read2st64_b32 v[10:11], v1 offset0:33 offset1:66
	ds_read_b32 v1, v1 offset:25344
	v_cvt_f32_f16_sdwa v15, v9 dst_sel:DWORD dst_unused:UNUSED_PAD src0_sel:WORD_1
	v_cvt_f32_f16_e32 v14, v9
	v_ashrrev_i32_e32 v7, 31, v5
	s_waitcnt lgkmcnt(1)
	v_cvt_f32_f16_sdwa v17, v10 dst_sel:DWORD dst_unused:UNUSED_PAD src0_sel:WORD_1
	v_cvt_f32_f16_e32 v16, v10
	v_add_co_u32_e32 v12, vcc, v38, v5
	v_pk_fma_f32 v[14:15], v[2:3], v[14:15], 0 op_sel_hi:[0,1,0]
	v_addc_co_u32_e32 v13, vcc, 0, v7, vcc
	v_pk_fma_f32 v[6:7], v[6:7], v[16:17], v[14:15] op_sel_hi:[0,1,1]
	v_cvt_f32_f16_sdwa v15, v11 dst_sel:DWORD dst_unused:UNUSED_PAD src0_sel:WORD_1
	v_cvt_f32_f16_e32 v14, v11
	v_lshlrev_b64 v[12:13], 3, v[12:13]
	v_add_co_u32_e32 v12, vcc, s57, v12
	v_pk_fma_f32 v[6:7], v[8:9], v[14:15], v[6:7] op_sel_hi:[0,1,1]
	s_waitcnt lgkmcnt(0)
	v_cvt_f32_f16_sdwa v9, v1 dst_sel:DWORD dst_unused:UNUSED_PAD src0_sel:WORD_1
	v_cvt_f32_f16_e32 v8, v1
	v_mov_b32_e32 v5, s51
	v_addc_co_u32_e32 v13, vcc, v5, v13, vcc
	v_pk_fma_f32 v[4:5], v[4:5], v[8:9], v[6:7] op_sel_hi:[0,1,1]
	v_div_scale_f32 v1, s[52:53], v3, v3, v5
	v_rcp_f32_e32 v2, v1
	v_fma_f32 v6, -v1, v2, 1.0
	v_fmac_f32_e32 v2, v6, v2
	v_div_scale_f32 v6, vcc, v5, v3, v5
	v_mul_f32_e32 v7, v6, v2
	v_fma_f32 v8, -v1, v7, v6
	v_fmac_f32_e32 v7, v8, v2
	v_fma_f32 v1, -v1, v7, v6
	v_div_fmas_f32 v1, v1, v2, v7
	v_div_fixup_f32 v5, v1, v3, v5
	v_div_scale_f32 v1, s[52:53], v3, v3, v4
	v_rcp_f32_e32 v2, v1
	v_fma_f32 v6, -v1, v2, 1.0
	v_fmac_f32_e32 v2, v6, v2
	v_div_scale_f32 v6, vcc, v4, v3, v4
	v_mul_f32_e32 v7, v6, v2
	v_fma_f32 v8, -v1, v7, v6
	v_fmac_f32_e32 v7, v8, v2
	v_fma_f32 v1, -v1, v7, v6
	v_div_fmas_f32 v1, v1, v2, v7
	v_div_fixup_f32 v4, v1, v3, v4
	v_mov_b32_e32 v1, 0
	global_store_dwordx2 v[12:13], v[4:5], off offset:512
.LBB30_293:                             ;   in Loop: Header=BB30_14 Depth=1
	s_or_b64 exec, exec, s[10:11]
	s_movk_i32 s10, 0x47
	v_cmp_gt_i32_e32 vcc, s10, v1
	s_mov_b64 s[10:11], -1
	s_and_saveexec_b64 s[74:75], vcc
; %bb.294:                              ;   in Loop: Header=BB30_14 Depth=1
	v_cmp_eq_u32_e32 vcc, 0, v1
	s_orn2_b64 s[10:11], vcc, exec
; %bb.295:                              ;   in Loop: Header=BB30_14 Depth=1
	s_or_b64 exec, exec, s[74:75]
	s_and_b64 exec, exec, s[10:11]
	s_cbranch_execz .LBB30_12
; %bb.296:                              ;   in Loop: Header=BB30_14 Depth=1
	v_accvgpr_read_b32 v1, a63
	v_add_u32_e32 v2, s76, v1
	v_cmp_gt_i32_e32 vcc, s28, v2
	s_and_b64 s[10:11], vcc, s[8:9]
	v_mov_b32_e32 v1, 0x47
	s_and_saveexec_b64 s[8:9], s[10:11]
	s_cbranch_execz .LBB30_298
; %bb.297:                              ;   in Loop: Header=BB30_14 Depth=1
	v_accvgpr_read_b32 v1, a65
	v_add_u32_e32 v1, 0, v1
	v_mul_lo_u32 v2, v2, s29
	v_accvgpr_read_b32 v10, a64
	v_add_lshl_u32 v5, v2, v194, 7
	ds_read2st64_b32 v[2:3], v1 offset0:35 offset1:68
	ds_read_b32 v4, v1 offset:25856
	ds_read2st64_b32 v[6:7], v10 offset0:33 offset1:66
	ds_read2st64_b32 v[8:9], v10 offset1:1
	ds_read_b32 v20, v10 offset:25344
	ds_read2_b32 v[12:13], v1 offset0:128 offset1:129
	v_add_u32_e32 v10, v38, v5
	s_waitcnt lgkmcnt(3)
	v_cvt_f32_f16_sdwa v17, v6 dst_sel:DWORD dst_unused:UNUSED_PAD src0_sel:WORD_1
	s_waitcnt lgkmcnt(2)
	v_cvt_f32_f16_sdwa v15, v8 dst_sel:DWORD dst_unused:UNUSED_PAD src0_sel:WORD_1
	v_cvt_f32_f16_e32 v14, v8
	v_cvt_f32_f16_e32 v16, v6
	v_cvt_f32_f16_sdwa v19, v7 dst_sel:DWORD dst_unused:UNUSED_PAD src0_sel:WORD_1
	v_cvt_f32_f16_e32 v18, v7
	s_waitcnt lgkmcnt(1)
	v_cvt_f32_f16_sdwa v7, v20 dst_sel:DWORD dst_unused:UNUSED_PAD src0_sel:WORD_1
	v_cvt_f32_f16_e32 v6, v20
	s_waitcnt lgkmcnt(0)
	v_pk_fma_f32 v[14:15], v[12:13], v[14:15], 0 op_sel_hi:[0,1,0]
	v_pk_fma_f32 v[14:15], v[2:3], v[16:17], v[14:15] op_sel_hi:[0,1,1]
	v_mov_b32_e32 v8, v3
	v_pk_fma_f32 v[14:15], v[8:9], v[18:19], v[14:15] op_sel_hi:[0,1,1]
	v_pk_fma_f32 v[6:7], v[4:5], v[6:7], v[14:15] op_sel_hi:[0,1,1]
	v_div_scale_f32 v3, s[10:11], v13, v13, v7
	v_rcp_f32_e32 v14, v3
	v_ashrrev_i32_e32 v11, 31, v10
	v_lshlrev_b64 v[10:11], 3, v[10:11]
	v_mov_b32_e32 v21, s51
	v_add_co_u32_e32 v10, vcc, s57, v10
	v_addc_co_u32_e32 v11, vcc, v21, v11, vcc
	v_fma_f32 v15, -v3, v14, 1.0
	v_fmac_f32_e32 v14, v15, v14
	v_div_scale_f32 v15, vcc, v7, v13, v7
	v_mul_f32_e32 v16, v15, v14
	v_fma_f32 v17, -v3, v16, v15
	v_fmac_f32_e32 v16, v17, v14
	v_fma_f32 v3, -v3, v16, v15
	v_div_scale_f32 v15, s[10:11], v13, v13, v6
	v_rcp_f32_e32 v17, v15
	v_div_fmas_f32 v3, v3, v14, v16
	v_div_fixup_f32 v7, v3, v13, v7
	v_accvgpr_read_b32 v22, a66
	v_fma_f32 v3, -v15, v17, 1.0
	v_fmac_f32_e32 v17, v3, v17
	v_div_scale_f32 v3, vcc, v6, v13, v6
	v_mul_f32_e32 v14, v3, v17
	v_fma_f32 v16, -v15, v14, v3
	v_fmac_f32_e32 v14, v16, v17
	v_fma_f32 v3, -v15, v14, v3
	v_div_fmas_f32 v3, v3, v17, v14
	v_div_fixup_f32 v6, v3, v13, v6
	global_store_dwordx2 v[10:11], v[6:7], off
	ds_read2st64_b32 v[6:7], v22 offset0:33 offset1:66
	ds_read_b32 v1, v22 offset:25344
	v_cvt_f32_f16_sdwa v15, v9 dst_sel:DWORD dst_unused:UNUSED_PAD src0_sel:WORD_1
	v_cvt_f32_f16_e32 v14, v9
	v_ashrrev_i32_e32 v3, 31, v5
	s_waitcnt lgkmcnt(1)
	v_cvt_f32_f16_sdwa v17, v6 dst_sel:DWORD dst_unused:UNUSED_PAD src0_sel:WORD_1
	v_cvt_f32_f16_e32 v16, v6
	v_cvt_f32_f16_sdwa v19, v7 dst_sel:DWORD dst_unused:UNUSED_PAD src0_sel:WORD_1
	v_cvt_f32_f16_e32 v18, v7
	s_waitcnt lgkmcnt(0)
	v_cvt_f32_f16_sdwa v7, v1 dst_sel:DWORD dst_unused:UNUSED_PAD src0_sel:WORD_1
	v_cvt_f32_f16_e32 v6, v1
	v_add_co_u32_e32 v10, vcc, v38, v5
	v_pk_fma_f32 v[14:15], v[12:13], v[14:15], 0 op_sel_hi:[0,1,0]
	v_addc_co_u32_e32 v11, vcc, 0, v3, vcc
	v_pk_fma_f32 v[2:3], v[2:3], v[16:17], v[14:15] op_sel_hi:[0,1,1]
	v_mov_b32_e32 v5, s51
	v_pk_fma_f32 v[2:3], v[8:9], v[18:19], v[2:3] op_sel_hi:[0,1,1]
	v_pk_fma_f32 v[2:3], v[4:5], v[6:7], v[2:3] op_sel_hi:[0,1,1]
	v_div_scale_f32 v1, s[10:11], v13, v13, v3
	v_rcp_f32_e32 v6, v1
	v_lshlrev_b64 v[10:11], 3, v[10:11]
	v_add_co_u32_e32 v4, vcc, s57, v10
	v_addc_co_u32_e32 v5, vcc, v5, v11, vcc
	v_fma_f32 v7, -v1, v6, 1.0
	v_fmac_f32_e32 v6, v7, v6
	v_div_scale_f32 v7, vcc, v3, v13, v3
	v_mul_f32_e32 v8, v7, v6
	v_fma_f32 v9, -v1, v8, v7
	v_fmac_f32_e32 v8, v9, v6
	v_fma_f32 v1, -v1, v8, v7
	v_div_scale_f32 v7, s[10:11], v13, v13, v2
	v_rcp_f32_e32 v9, v7
	v_div_fmas_f32 v1, v1, v6, v8
	v_div_fixup_f32 v3, v1, v13, v3
	v_fma_f32 v1, -v7, v9, 1.0
	v_fmac_f32_e32 v9, v1, v9
	v_div_scale_f32 v1, vcc, v2, v13, v2
	v_mul_f32_e32 v6, v1, v9
	v_fma_f32 v8, -v7, v6, v1
	v_fmac_f32_e32 v6, v8, v9
	v_fma_f32 v1, -v7, v6, v1
	v_div_fmas_f32 v1, v1, v9, v6
	v_div_fixup_f32 v2, v1, v13, v2
	v_mov_b32_e32 v1, 0
	global_store_dwordx2 v[4:5], v[2:3], off offset:512
.LBB30_298:                             ;   in Loop: Header=BB30_14 Depth=1
	s_or_b64 exec, exec, s[8:9]
	s_movk_i32 s8, 0x47
	v_cmp_gt_i32_e32 vcc, s8, v1
	s_mov_b64 s[8:9], -1
	s_and_saveexec_b64 s[10:11], vcc
; %bb.299:                              ;   in Loop: Header=BB30_14 Depth=1
	v_cmp_eq_u32_e32 vcc, 0, v1
	s_orn2_b64 s[8:9], vcc, exec
; %bb.300:                              ;   in Loop: Header=BB30_14 Depth=1
	s_or_b64 exec, exec, s[10:11]
	s_and_b64 exec, exec, s[8:9]
	s_cbranch_execz .LBB30_12
; %bb.301:                              ;   in Loop: Header=BB30_14 Depth=1
	v_accvgpr_read_b32 v1, a67
	v_accvgpr_read_b32 v2, a68
	v_add_u32_e32 v1, s76, v1
	v_or_b32_e32 v2, s6, v2
	v_cmp_gt_i32_e32 vcc, s28, v1
	v_cmp_gt_i32_e64 s[8:9], s33, v2
	s_and_b64 s[8:9], vcc, s[8:9]
	s_and_b64 exec, exec, s[8:9]
	s_cbranch_execz .LBB30_12
; %bb.302:                              ;   in Loop: Header=BB30_14 Depth=1
	v_accvgpr_read_b32 v2, a69
	v_add_u32_e32 v5, 0, v2
	v_mul_lo_u32 v1, v1, s29
	v_accvgpr_read_b32 v2, a68
	v_accvgpr_read_b32 v10, a70
	v_add_lshl_u32 v1, v1, v2, 7
	ds_read2st64_b32 v[2:3], v5 offset0:35 offset1:68
	ds_read_b32 v4, v5 offset:25856
	ds_read2st64_b32 v[6:7], v10 offset0:33 offset1:66
	ds_read2st64_b32 v[8:9], v10 offset1:1
	ds_read_b32 v20, v10 offset:25344
	ds_read2_b32 v[12:13], v5 offset0:128 offset1:129
	v_accvgpr_read_b32 v22, a71
	s_waitcnt lgkmcnt(3)
	v_cvt_f32_f16_sdwa v17, v6 dst_sel:DWORD dst_unused:UNUSED_PAD src0_sel:WORD_1
	s_waitcnt lgkmcnt(2)
	v_cvt_f32_f16_sdwa v15, v8 dst_sel:DWORD dst_unused:UNUSED_PAD src0_sel:WORD_1
	v_cvt_f32_f16_e32 v14, v8
	v_cvt_f32_f16_e32 v16, v6
	ds_read_b32 v5, v22 offset:25344
	v_cvt_f32_f16_sdwa v19, v7 dst_sel:DWORD dst_unused:UNUSED_PAD src0_sel:WORD_1
	v_cvt_f32_f16_e32 v18, v7
	s_waitcnt lgkmcnt(2)
	v_cvt_f32_f16_sdwa v7, v20 dst_sel:DWORD dst_unused:UNUSED_PAD src0_sel:WORD_1
	v_cvt_f32_f16_e32 v6, v20
	s_waitcnt lgkmcnt(1)
	v_pk_fma_f32 v[14:15], v[12:13], v[14:15], 0 op_sel_hi:[0,1,0]
	v_pk_fma_f32 v[14:15], v[2:3], v[16:17], v[14:15] op_sel_hi:[0,1,1]
	v_mov_b32_e32 v8, v3
	v_pk_fma_f32 v[14:15], v[8:9], v[18:19], v[14:15] op_sel_hi:[0,1,1]
	s_waitcnt lgkmcnt(0)
	v_pk_fma_f32 v[6:7], v[4:5], v[6:7], v[14:15] op_sel_hi:[0,1,1]
	v_div_scale_f32 v3, s[8:9], v13, v13, v7
	v_add_u32_e32 v10, v38, v1
	v_rcp_f32_e32 v14, v3
	v_ashrrev_i32_e32 v11, 31, v10
	v_lshlrev_b64 v[10:11], 3, v[10:11]
	v_mov_b32_e32 v21, s51
	v_add_co_u32_e32 v10, vcc, s57, v10
	v_addc_co_u32_e32 v11, vcc, v21, v11, vcc
	v_fma_f32 v15, -v3, v14, 1.0
	v_fmac_f32_e32 v14, v15, v14
	v_div_scale_f32 v15, vcc, v7, v13, v7
	v_mul_f32_e32 v16, v15, v14
	v_fma_f32 v17, -v3, v16, v15
	v_fmac_f32_e32 v16, v17, v14
	v_fma_f32 v3, -v3, v16, v15
	v_div_scale_f32 v15, s[8:9], v13, v13, v6
	v_rcp_f32_e32 v17, v15
	v_div_fmas_f32 v3, v3, v14, v16
	v_div_fixup_f32 v7, v3, v13, v7
	v_fma_f32 v3, -v15, v17, 1.0
	v_fmac_f32_e32 v17, v3, v17
	v_div_scale_f32 v3, vcc, v6, v13, v6
	v_mul_f32_e32 v14, v3, v17
	v_fma_f32 v16, -v15, v14, v3
	v_fmac_f32_e32 v14, v16, v17
	v_fma_f32 v3, -v15, v14, v3
	v_div_fmas_f32 v3, v3, v17, v14
	v_div_fixup_f32 v6, v3, v13, v6
	global_store_dwordx2 v[10:11], v[6:7], off
	ds_read2st64_b32 v[6:7], v22 offset0:33 offset1:66
	v_cvt_f32_f16_sdwa v15, v9 dst_sel:DWORD dst_unused:UNUSED_PAD src0_sel:WORD_1
	v_cvt_f32_f16_e32 v14, v9
	v_ashrrev_i32_e32 v3, 31, v1
	v_add_co_u32_e32 v10, vcc, v38, v1
	s_waitcnt lgkmcnt(0)
	v_cvt_f32_f16_sdwa v17, v6 dst_sel:DWORD dst_unused:UNUSED_PAD src0_sel:WORD_1
	v_cvt_f32_f16_e32 v16, v6
	v_cvt_f32_f16_sdwa v19, v7 dst_sel:DWORD dst_unused:UNUSED_PAD src0_sel:WORD_1
	v_cvt_f32_f16_e32 v18, v7
	;; [unrolled: 2-line block ×3, first 2 shown]
	v_pk_fma_f32 v[14:15], v[12:13], v[14:15], 0 op_sel_hi:[0,1,0]
	v_addc_co_u32_e32 v11, vcc, 0, v3, vcc
	v_pk_fma_f32 v[2:3], v[2:3], v[16:17], v[14:15] op_sel_hi:[0,1,1]
	v_pk_fma_f32 v[2:3], v[8:9], v[18:19], v[2:3] op_sel_hi:[0,1,1]
	;; [unrolled: 1-line block ×3, first 2 shown]
	v_div_scale_f32 v6, s[8:9], v13, v13, v3
	v_rcp_f32_e32 v7, v6
	v_lshlrev_b64 v[10:11], 3, v[10:11]
	v_mov_b32_e32 v1, s51
	v_add_co_u32_e32 v4, vcc, s57, v10
	v_addc_co_u32_e32 v5, vcc, v1, v11, vcc
	v_fma_f32 v1, -v6, v7, 1.0
	v_fmac_f32_e32 v7, v1, v7
	v_div_scale_f32 v1, vcc, v3, v13, v3
	v_mul_f32_e32 v8, v1, v7
	v_fma_f32 v9, -v6, v8, v1
	v_fmac_f32_e32 v8, v9, v7
	v_fma_f32 v1, -v6, v8, v1
	v_div_scale_f32 v6, s[8:9], v13, v13, v2
	v_rcp_f32_e32 v9, v6
	v_div_fmas_f32 v1, v1, v7, v8
	v_div_fixup_f32 v3, v1, v13, v3
	v_fma_f32 v1, -v6, v9, 1.0
	v_fmac_f32_e32 v9, v1, v9
	v_div_scale_f32 v1, vcc, v2, v13, v2
	v_mul_f32_e32 v7, v1, v9
	v_fma_f32 v8, -v6, v7, v1
	v_fmac_f32_e32 v7, v8, v9
	v_fma_f32 v1, -v6, v7, v1
	v_div_fmas_f32 v1, v1, v9, v7
	v_div_fixup_f32 v2, v1, v13, v2
	global_store_dwordx2 v[4:5], v[2:3], off offset:512
	s_branch .LBB30_12
.LBB30_303:
	v_readlane_b32 s51, v255, 13
	v_readlane_b32 s41, v255, 8
	;; [unrolled: 1-line block ×4, first 2 shown]
	v_accvgpr_read_b32 v216, a4
	v_accvgpr_read_b32 v217, a5
	;; [unrolled: 1-line block ×4, first 2 shown]
	v_readlane_b32 s11, v255, 15
	s_andn2_b64 vcc, exec, s[8:9]
	s_cbranch_vccnz .LBB30_10
.LBB30_304:
	v_readlane_b32 s6, v255, 3
	s_abs_i32 s0, s6
	v_cvt_f32_u32_e32 v1, s0
	s_sub_i32 s3, 0, s0
	s_abs_i32 s2, s54
	s_xor_b32 s1, s54, s6
	v_rcp_iflag_f32_e32 v1, v1
	s_ashr_i32 s1, s1, 31
	v_readlane_b32 s8, v255, 2
	v_readlane_b32 s9, v255, 1
	v_mul_f32_e32 v1, 0x4f7ffffe, v1
	v_cvt_u32_f32_e32 v1, v1
	v_mov_b32_e32 v32, s62
	v_readfirstlane_b32 s4, v1
	s_mul_i32 s3, s3, s4
	s_mul_hi_u32 s3, s4, s3
	s_add_i32 s4, s4, s3
	s_mul_hi_u32 s3, s2, s4
	s_mul_i32 s4, s3, s0
	s_sub_i32 s2, s2, s4
	s_add_i32 s5, s3, 1
	s_sub_i32 s4, s2, s0
	s_cmp_ge_u32 s2, s0
	s_cselect_b32 s3, s5, s3
	s_cselect_b32 s2, s4, s2
	s_add_i32 s4, s3, 1
	s_cmp_ge_u32 s2, s0
	s_cselect_b32 s0, s4, s3
	s_abs_i32 s2, s8
	v_cvt_f32_u32_e32 v1, s2
	s_xor_b32 s0, s0, s1
	s_sub_i32 s4, s0, s1
	s_sub_i32 s3, 0, s2
	v_rcp_iflag_f32_e32 v1, v1
	s_mul_i32 s0, s4, s6
	s_sub_i32 s0, s54, s0
	s_abs_i32 s5, s0
	v_mul_f32_e32 v1, 0x4f7ffffe, v1
	v_cvt_u32_f32_e32 v1, v1
	s_xor_b32 s1, s0, s8
	s_ashr_i32 s1, s1, 31
	v_readfirstlane_b32 s6, v1
	s_mul_i32 s3, s3, s6
	s_mul_hi_u32 s3, s6, s3
	s_add_i32 s6, s6, s3
	s_mul_hi_u32 s3, s5, s6
	s_mul_i32 s6, s3, s2
	s_sub_i32 s5, s5, s6
	s_add_i32 s7, s3, 1
	s_sub_i32 s6, s5, s2
	s_cmp_ge_u32 s5, s2
	s_cselect_b32 s3, s7, s3
	s_cselect_b32 s5, s6, s5
	s_add_i32 s6, s3, 1
	s_cmp_ge_u32 s5, s2
	s_cselect_b32 s2, s6, s3
	s_abs_i32 s3, s9
	v_cvt_f32_u32_e32 v1, s3
	s_xor_b32 s2, s2, s1
	s_sub_i32 s6, 0, s3
	s_sub_i32 s5, s2, s1
	v_rcp_iflag_f32_e32 v1, v1
	s_mul_i32 s1, s5, s8
	s_sub_i32 s1, s0, s1
	s_abs_i32 s2, s1
	v_mul_f32_e32 v1, 0x4f7ffffe, v1
	v_cvt_u32_f32_e32 v1, v1
	s_xor_b32 s0, s1, s9
	s_ashr_i32 s0, s0, 31
	v_readfirstlane_b32 s7, v1
	s_mul_i32 s6, s6, s7
	s_mul_hi_u32 s6, s7, s6
	s_add_i32 s7, s7, s6
	s_mul_hi_u32 s6, s2, s7
	s_mul_i32 s7, s6, s3
	s_sub_i32 s2, s2, s7
	s_add_i32 s8, s6, 1
	s_sub_i32 s7, s2, s3
	s_cmp_ge_u32 s2, s3
	s_cselect_b32 s6, s8, s6
	s_cselect_b32 s2, s7, s2
	s_add_i32 s7, s6, 1
	s_cmp_ge_u32 s2, s3
	s_cselect_b32 s2, s7, s6
	s_xor_b32 s2, s2, s0
	s_sub_i32 s0, s2, s0
	s_mul_i32 s2, s0, s9
	s_sub_i32 s1, s1, s2
	s_ashr_i32 s2, s1, 31
	s_abs_i32 s1, s1
	s_mul_hi_u32 s3, s1, s50
	s_mul_i32 s6, s3, s83
	s_sub_i32 s1, s1, s6
	s_xor_b32 s2, s2, s38
	s_add_i32 s6, s3, 1
	s_sub_i32 s7, s1, s83
	s_cmp_ge_u32 s1, s83
	s_cselect_b32 s3, s6, s3
	s_cselect_b32 s1, s7, s1
	s_add_i32 s6, s3, 1
	s_cmp_ge_u32 s1, s83
	s_cselect_b32 s1, s6, s3
	s_abs_i32 s6, s10
	v_cvt_f32_u32_e32 v1, s6
	s_xor_b32 s1, s1, s2
	s_sub_i32 s1, s1, s2
	s_cmp_eq_u64 s[22:23], 0
	v_rcp_iflag_f32_e32 v1, v1
	v_mul_f32_e32 v1, 0x4f7ffffe, v1
	v_cvt_u32_f32_e32 v1, v1
	v_readfirstlane_b32 s9, v1
	s_cbranch_scc1 .LBB30_306
; %bb.305:
	v_readlane_b32 s2, v255, 0
	s_mul_i32 s2, s4, s2
	s_add_i32 s2, s1, s2
	s_ashr_i32 s3, s2, 31
	s_lshl_b64 s[2:3], s[2:3], 2
	s_add_u32 s2, s22, s2
	s_addc_u32 s3, s23, s3
	v_mov_b32_e32 v1, 0
	global_load_dword v1, v1, s[2:3]
	s_waitcnt vmcnt(0)
	v_ashrrev_i32_e32 v2, 31, v1
	v_lshrrev_b32_e32 v2, 26, v2
	v_add_u32_e32 v1, v1, v2
	v_ashrrev_i32_e32 v1, 6, v1
	v_min_i32_e32 v32, s62, v1
.LBB30_306:
	v_readlane_b32 s10, v255, 4
	v_readlane_b32 s11, v255, 5
	s_mul_i32 s2, s5, s33
	s_lshl_b32 s0, s0, 1
	s_mul_i32 s3, s4, s11
	s_add_i32 s2, s0, s2
	s_ashr_i32 s7, s3, 31
	s_add_u32 s3, s12, s3
	s_mul_i32 s2, s2, s10
	s_addc_u32 s8, s13, s7
	s_ashr_i32 s10, s2, 31
	s_add_u32 s7, s3, s2
	s_addc_u32 s8, s8, s10
	s_lshl_b32 s12, s1, 3
	v_or_b32_e32 v1, s0, v114
	v_and_b32_e32 v76, 0x3ff, v0
	v_add_u32_e32 v0, s12, v117
	v_cmp_gt_i32_e64 s[0:1], s33, v1
	v_cmp_le_i32_e32 vcc, s28, v0
	s_xor_b64 s[0:1], s[0:1], -1
	s_or_b64 s[2:3], vcc, s[0:1]
	s_and_saveexec_b64 s[10:11], s[2:3]
	s_xor_b64 s[2:3], exec, s[10:11]
	s_cbranch_execz .LBB30_308
; %bb.307:
	s_movk_i32 s10, 0x84
	v_mad_u32_u24 v0, v105, s10, v76
	v_lshl_add_u32 v0, v0, 2, 0
	v_mov_b32_e32 v1, 0
	ds_write2st64_b32 v0, v1, v1 offset1:1
                                        ; implicit-def: $vgpr0
.LBB30_308:
	s_andn2_saveexec_b64 s[2:3], s[2:3]
	s_cbranch_execz .LBB30_310
; %bb.309:
	v_mul_lo_u32 v0, v0, s55
	v_mul_lo_u32 v1, v114, s53
	v_add3_u32 v0, v0, v1, v76
	v_ashrrev_i32_e32 v1, 31, v0
	v_lshlrev_b64 v[0:1], 3, v[0:1]
	v_mov_b32_e32 v2, s8
	v_add_co_u32_e32 v0, vcc, s7, v0
	v_addc_co_u32_e32 v1, vcc, v2, v1, vcc
	global_load_dwordx2 v[2:3], v[0:1], off
	global_load_dwordx2 v[4:5], v[0:1], off offset:512
	s_movk_i32 s10, 0x84
	s_waitcnt vmcnt(1)
	v_cvt_f16_f32_e32 v0, v2
	v_cvt_f16_f32_e32 v1, v3
	s_waitcnt vmcnt(0)
	v_cvt_f16_f32_e32 v2, v4
	v_cvt_f16_f32_e32 v3, v5
	v_mad_u32_u24 v4, v105, s10, v76
	v_pack_b32_f16 v0, v0, v1
	v_lshl_add_u32 v4, v4, 2, 0
	v_pack_b32_f16 v1, v2, v3
	v_pk_mul_f16 v0, v111, v0
	v_pk_mul_f16 v1, v111, v1
	ds_write2st64_b32 v4, v0, v1 offset1:1
.LBB30_310:
	s_or_b64 exec, exec, s[2:3]
	v_lshrrev_b32_e32 v0, 1, v116
	v_add_u32_e32 v0, s12, v0
	v_cmp_le_i32_e32 vcc, s28, v0
	s_sub_i32 s10, 0, s6
	s_or_b64 s[2:3], vcc, s[0:1]
	s_and_saveexec_b64 s[20:21], s[2:3]
	s_xor_b64 s[2:3], exec, s[20:21]
	s_cbranch_execz .LBB30_312
; %bb.311:
	s_movk_i32 s11, 0x84
	v_mad_u32_u24 v0, v116, s11, v76
	v_lshl_add_u32 v0, v0, 2, 0
	v_mov_b32_e32 v1, 0
	ds_write2st64_b32 v0, v1, v1 offset1:1
                                        ; implicit-def: $vgpr0
                                        ; implicit-def: $vgpr116
.LBB30_312:
	s_or_saveexec_b64 s[2:3], s[2:3]
	s_mul_i32 s10, s10, s9
	s_xor_b64 exec, exec, s[2:3]
	s_cbranch_execz .LBB30_314
; %bb.313:
	v_mul_lo_u32 v0, v0, s55
	v_mul_lo_u32 v1, v114, s53
	v_add3_u32 v0, v0, v1, v76
	v_ashrrev_i32_e32 v1, 31, v0
	v_lshlrev_b64 v[0:1], 3, v[0:1]
	v_mov_b32_e32 v2, s8
	v_add_co_u32_e32 v0, vcc, s7, v0
	v_addc_co_u32_e32 v1, vcc, v2, v1, vcc
	global_load_dwordx2 v[2:3], v[0:1], off
	global_load_dwordx2 v[4:5], v[0:1], off offset:512
	s_movk_i32 s11, 0x84
	s_waitcnt vmcnt(1)
	v_cvt_f16_f32_e32 v0, v2
	v_cvt_f16_f32_e32 v1, v3
	s_waitcnt vmcnt(0)
	v_cvt_f16_f32_e32 v2, v4
	v_cvt_f16_f32_e32 v3, v5
	v_mad_u32_u24 v4, v116, s11, v76
	v_pack_b32_f16 v0, v0, v1
	v_lshl_add_u32 v4, v4, 2, 0
	v_pack_b32_f16 v1, v2, v3
	v_pk_mul_f16 v0, v111, v0
	v_pk_mul_f16 v1, v111, v1
	ds_write2st64_b32 v4, v0, v1 offset1:1
.LBB30_314:
	s_or_b64 exec, exec, s[2:3]
	v_lshrrev_b32_e32 v0, 1, v78
	v_add_u32_e32 v0, s12, v0
	v_cmp_le_i32_e32 vcc, s28, v0
	s_mul_hi_u32 s11, s9, s10
	s_or_b64 s[2:3], vcc, s[0:1]
	s_and_saveexec_b64 s[20:21], s[2:3]
	s_xor_b64 s[2:3], exec, s[20:21]
	s_cbranch_execz .LBB30_316
; %bb.315:
	s_movk_i32 s10, 0x84
	v_mad_u32_u24 v0, v78, s10, v76
	v_lshl_add_u32 v0, v0, 2, 0
	v_mov_b32_e32 v1, 0
	ds_write2st64_b32 v0, v1, v1 offset1:1
                                        ; implicit-def: $vgpr0
                                        ; implicit-def: $vgpr78
.LBB30_316:
	s_or_saveexec_b64 s[2:3], s[2:3]
	s_abs_i32 s10, s4
	s_add_i32 s9, s9, s11
	s_xor_b64 exec, exec, s[2:3]
	s_cbranch_execz .LBB30_318
; %bb.317:
	v_mul_lo_u32 v0, v0, s55
	v_mul_lo_u32 v1, v114, s53
	v_add3_u32 v0, v0, v1, v76
	v_ashrrev_i32_e32 v1, 31, v0
	v_lshlrev_b64 v[0:1], 3, v[0:1]
	v_mov_b32_e32 v2, s8
	v_add_co_u32_e32 v0, vcc, s7, v0
	v_addc_co_u32_e32 v1, vcc, v2, v1, vcc
	global_load_dwordx2 v[2:3], v[0:1], off
	global_load_dwordx2 v[4:5], v[0:1], off offset:512
	s_movk_i32 s11, 0x84
	s_waitcnt vmcnt(1)
	v_cvt_f16_f32_e32 v0, v2
	v_cvt_f16_f32_e32 v1, v3
	s_waitcnt vmcnt(0)
	v_cvt_f16_f32_e32 v2, v4
	v_cvt_f16_f32_e32 v3, v5
	v_mad_u32_u24 v4, v78, s11, v76
	v_pack_b32_f16 v0, v0, v1
	v_lshl_add_u32 v4, v4, 2, 0
	v_pack_b32_f16 v1, v2, v3
	v_pk_mul_f16 v0, v111, v0
	v_pk_mul_f16 v1, v111, v1
	ds_write2st64_b32 v4, v0, v1 offset1:1
.LBB30_318:
	s_or_b64 exec, exec, s[2:3]
	v_lshrrev_b32_e32 v0, 1, v77
	v_add_u32_e32 v0, s12, v0
	v_cmp_le_i32_e32 vcc, s28, v0
	s_mul_hi_u32 s2, s10, s9
	s_or_b64 s[0:1], vcc, s[0:1]
	s_and_saveexec_b64 s[20:21], s[0:1]
	s_xor_b64 s[0:1], exec, s[20:21]
	s_cbranch_execz .LBB30_320
; %bb.319:
	s_movk_i32 s3, 0x84
	v_mad_u32_u24 v0, v77, s3, v76
	v_lshl_add_u32 v0, v0, 2, 0
	v_mov_b32_e32 v1, 0
	ds_write2st64_b32 v0, v1, v1 offset1:1
                                        ; implicit-def: $vgpr0
                                        ; implicit-def: $vgpr114
                                        ; implicit-def: $vgpr111
                                        ; implicit-def: $vgpr77
.LBB30_320:
	s_or_saveexec_b64 s[0:1], s[0:1]
	s_ashr_i32 s3, s4, 31
	s_xor_b64 exec, exec, s[0:1]
	s_cbranch_execz .LBB30_322
; %bb.321:
	v_mul_lo_u32 v0, v0, s55
	v_mul_lo_u32 v1, v114, s53
	v_add3_u32 v0, v0, v1, v76
	v_ashrrev_i32_e32 v1, 31, v0
	v_lshlrev_b64 v[0:1], 3, v[0:1]
	v_mov_b32_e32 v2, s8
	v_add_co_u32_e32 v0, vcc, s7, v0
	v_addc_co_u32_e32 v1, vcc, v2, v1, vcc
	global_load_dwordx2 v[2:3], v[0:1], off
	global_load_dwordx2 v[4:5], v[0:1], off offset:512
	s_movk_i32 s7, 0x84
	s_waitcnt vmcnt(1)
	v_cvt_f16_f32_e32 v0, v2
	v_cvt_f16_f32_e32 v1, v3
	s_waitcnt vmcnt(0)
	v_cvt_f16_f32_e32 v2, v4
	v_cvt_f16_f32_e32 v3, v5
	v_mad_u32_u24 v4, v77, s7, v76
	v_pack_b32_f16 v0, v0, v1
	v_lshl_add_u32 v4, v4, 2, 0
	v_pack_b32_f16 v1, v2, v3
	v_pk_mul_f16 v0, v111, v0
	v_pk_mul_f16 v1, v111, v1
	ds_write2st64_b32 v4, v0, v1 offset1:1
.LBB30_322:
	s_or_b64 exec, exec, s[0:1]
	s_mul_i32 s0, s4, s37
	s_mul_hi_u32 s1, s4, s36
	s_add_i32 s0, s1, s0
	s_mul_i32 s1, s3, s36
	v_readlane_b32 s8, v255, 6
	s_add_i32 s0, s0, s1
	s_mul_i32 s1, s4, s36
	v_readlane_b32 s9, v255, 7
	s_add_u32 s1, s14, s1
	s_mul_i32 s7, s5, s9
	s_addc_u32 s0, s15, s0
	s_ashr_i32 s9, s7, 31
	s_add_u32 s8, s1, s7
	s_mul_i32 s2, s2, s6
	s_addc_u32 s9, s0, s9
	s_sub_i32 s0, s10, s2
	s_sub_i32 s1, s0, s6
	s_cmp_ge_u32 s0, s6
	s_cselect_b32 s0, s1, s0
	s_sub_i32 s1, s0, s6
	s_cmp_ge_u32 s0, s6
	s_cselect_b32 s0, s1, s0
	s_xor_b32 s0, s0, s3
	s_sub_i32 s0, s0, s3
	s_ashr_i32 s1, s0, 31
	s_mul_i32 s2, s0, s49
	s_mul_hi_u32 s6, s0, s48
	s_add_i32 s2, s6, s2
	s_mul_i32 s1, s1, s48
	s_add_i32 s2, s2, s1
	s_mul_i32 s0, s0, s48
	s_add_u32 s10, s18, s0
	s_mul_i32 s0, s4, s47
	s_mul_hi_u32 s1, s4, s46
	s_addc_u32 s11, s19, s2
	s_add_i32 s0, s1, s0
	s_mul_i32 s3, s3, s46
	s_add_i32 s0, s0, s3
	s_mul_i32 s4, s4, s46
	s_add_u32 s1, s16, s4
	s_mul_i32 s5, s5, s39
	s_addc_u32 s0, s17, s0
	s_ashr_i32 s2, s5, 31
	s_add_u32 s6, s1, s5
	v_lshrrev_b32_e32 v1, 3, v76
	s_addc_u32 s7, s0, s2
	v_and_b32_e32 v37, 0xff0, v216
	s_movk_i32 s0, 0x210
	v_and_b32_e32 v77, 15, v76
	v_and_b32_e32 v78, 0x7e, v1
	v_mad_u32_u24 v0, v37, s0, 0
	v_mul_u32_u24_e32 v91, 0x210, v77
	v_lshlrev_b32_e32 v92, 2, v78
	v_add3_u32 v0, v0, v91, v92
	s_waitcnt lgkmcnt(0)
	s_barrier
	ds_read2_b64 v[28:31], v0 offset1:4
	ds_read2_b64 v[24:27], v0 offset0:8 offset1:12
	ds_read2_b64 v[20:23], v0 offset0:16 offset1:20
	;; [unrolled: 1-line block ×7, first 2 shown]
	v_add_u32_e32 v136, -1, v32
	v_lshrrev_b32_e32 v32, 5, v76
	v_lshl_add_u32 v34, v105, 1, v32
	v_add_u32_e32 v32, s12, v34
	v_mul_hi_u32 v33, s44, v32
	v_add_u32_e32 v33, v32, v33
	v_lshrrev_b32_e32 v33, s45, v33
	v_cmp_lt_i32_e32 vcc, s74, v136
	v_mul_lo_u32 v33, v33, s28
	v_sub_u32_e32 v35, v32, v33
	s_waitcnt lgkmcnt(0)
	s_barrier
	s_cbranch_vccnz .LBB30_325
; %bb.323:
	v_lshlrev_b32_e32 v32, 1, v76
	v_mad_i64_i32 v[42:43], s[2:3], v35, s42, 0
	v_and_b32_e32 v38, 62, v32
	v_lshlrev_b32_e32 v32, 2, v76
	v_mul_lo_u32 v44, s40, v34
	s_lshl_b32 s2, s40, 3
	v_and_b32_e32 v40, 0x7c, v32
	v_mov_b32_e32 v32, 0x1080
	v_add_u32_e32 v46, s2, v44
	v_mad_u32_u24 v96, v34, s0, v32
	v_mov_b32_e32 v32, 0x2100
	v_add_u32_e32 v48, s2, v46
	v_mad_u32_u24 v97, v34, s0, v32
	;; [unrolled: 3-line block ×5, first 2 shown]
	v_mov_b32_e32 v32, 0x6300
	v_add_u32_e32 v56, s2, v54
	v_lshlrev_b32_e32 v79, 4, v105
	v_mov_b32_e32 v39, 0
	v_mad_u32_u24 v117, v34, s0, v32
	v_mov_b32_e32 v32, 0x7380
	v_add_u32_e32 v58, s2, v56
	v_and_b32_e32 v89, 48, v79
	s_mov_b32 s4, 0
	s_ashr_i32 s1, s40, 31
	v_mul_u32_u24_e32 v95, 0x210, v34
	v_mov_b32_e32 v41, v39
	v_ashrrev_i32_e32 v45, 31, v44
	v_add_u32_e32 v82, 8, v34
	v_ashrrev_i32_e32 v47, 31, v46
	v_add_u32_e32 v83, 16, v34
	;; [unrolled: 2-line block ×7, first 2 shown]
	v_mad_u32_u24 v120, v34, s0, v32
	v_ashrrev_i32_e32 v59, 31, v58
	v_mul_u32_u24_e32 v123, 0x210, v89
	s_mov_b64 s[2:3], 0
	s_mov_b32 s5, 0xfeffffff
	s_branch .LBB30_326
.LBB30_324:
                                        ; implicit-def: $sgpr58_sgpr59
	s_load_dwordx2 s[44:45], s[4:5], 0x5c
	s_branch .LBB30_7
.LBB30_325:
	s_mov_b64 s[2:3], -1
                                        ; implicit-def: $sgpr4
                                        ; implicit-def: $sgpr5
                                        ; implicit-def: $vgpr38
                                        ; implicit-def: $vgpr42_vgpr43
                                        ; implicit-def: $vgpr95
                                        ; implicit-def: $vgpr40
                                        ; implicit-def: $vgpr44_vgpr45
                                        ; implicit-def: $vgpr82
                                        ; implicit-def: $vgpr96
                                        ; implicit-def: $vgpr46_vgpr47
                                        ; implicit-def: $vgpr83
                                        ; implicit-def: $vgpr97
                                        ; implicit-def: $vgpr48_vgpr49
                                        ; implicit-def: $vgpr84
                                        ; implicit-def: $vgpr101
                                        ; implicit-def: $vgpr50_vgpr51
                                        ; implicit-def: $vgpr85
                                        ; implicit-def: $vgpr110
                                        ; implicit-def: $vgpr52_vgpr53
                                        ; implicit-def: $vgpr86
                                        ; implicit-def: $vgpr114
                                        ; implicit-def: $vgpr54_vgpr55
                                        ; implicit-def: $vgpr87
                                        ; implicit-def: $vgpr117
                                        ; implicit-def: $vgpr56_vgpr57
                                        ; implicit-def: $vgpr88
                                        ; implicit-def: $vgpr120
                                        ; implicit-def: $vgpr58_vgpr59
                                        ; implicit-def: $vgpr79
                                        ; implicit-def: $vgpr89
                                        ; implicit-def: $vgpr123
                                        ; implicit-def: $sgpr0_sgpr1
.LBB30_326:
	v_mul_lo_u32 v36, s30, v34
	v_mul_u32_u24_e32 v134, 0x90, v34
	s_andn2_b64 vcc, exec, s[2:3]
	v_mov_b32_e32 v138, s4
	v_mov_b32_e32 v33, s4
	;; [unrolled: 1-line block ×3, first 2 shown]
	v_lshrrev_b32_e32 v81, 2, v76
	v_and_or_b32 v94, v76, 14, v37
	v_mbcnt_lo_u32_b32 v93, -1, 0
	v_ashrrev_i32_e32 v37, 31, v36
	v_lshlrev_b32_e32 v80, 1, v77
	v_mov_b32_e32 v137, s4
	v_mov_b32_e32 v118, s4
	;; [unrolled: 1-line block ×31, first 2 shown]
	s_cbranch_vccnz .LBB30_346
; %bb.327:
	v_lshlrev_b32_e32 v32, 1, v76
	v_mad_i64_i32 v[42:43], s[0:1], v35, s42, 0
	v_and_b32_e32 v38, 62, v32
	v_lshlrev_b64 v[32:33], 1, v[42:43]
	v_mov_b32_e32 v35, s11
	v_add_co_u32_e32 v32, vcc, s10, v32
	v_lshlrev_b32_e32 v40, 1, v38
	v_addc_co_u32_e32 v33, vcc, v35, v33, vcc
	v_add_co_u32_e32 v141, vcc, v32, v40
	v_add_u32_e32 v44, 0, v134
	v_addc_co_u32_e32 v142, vcc, 0, v33, vcc
	v_lshlrev_b32_e32 v33, 2, v76
	v_add_u32_e32 v140, v44, v40
	v_and_b32_e32 v40, 0x7c, v33
	v_mul_u32_u24_e32 v32, 0x180, v34
	v_lshlrev_b32_e32 v33, 2, v40
	s_movk_i32 s0, 0x210
	v_add3_u32 v143, v44, v32, v33
	v_mov_b32_e32 v32, 0x1080
	v_mad_u32_u24 v96, v34, s0, v32
	v_mov_b32_e32 v32, 0x2100
	v_mad_u32_u24 v97, v34, s0, v32
	;; [unrolled: 2-line block ×4, first 2 shown]
	v_mov_b32_e32 v32, 0x5280
	v_lshlrev_b32_e32 v79, 4, v105
	v_mad_u32_u24 v114, v34, s0, v32
	v_mov_b32_e32 v32, 0x6300
	v_and_b32_e32 v89, 48, v79
	v_and_b32_e32 v61, 0xfc, v81
	v_mad_u32_u24 v117, v34, s0, v32
	v_mov_b32_e32 v32, 0x7380
	v_add_u16_e32 v33, v89, v61
	v_mad_u32_u24 v120, v34, s0, v32
	v_lshrrev_b32_e32 v32, 1, v94
	v_lshrrev_b16_e32 v33, 1, v33
	v_mul_u32_u24_e32 v32, 0x90, v32
	v_lshlrev_b32_e32 v33, 2, v33
	v_add3_u32 v62, 0, v32, v33
	v_mbcnt_hi_u32_b32 v32, -1, v93
	v_and_b32_e32 v33, 64, v32
	v_mul_u32_u24_e32 v95, 0x210, v34
	v_mul_lo_u32 v44, s40, v34
	v_add_u32_e32 v82, 8, v34
	v_add_u32_e32 v83, 16, v34
	;; [unrolled: 1-line block ×8, first 2 shown]
	v_xor_b32_e32 v34, 32, v32
	v_cmp_lt_i32_e32 vcc, v34, v33
	v_cndmask_b32_e32 v34, v32, v34, vcc
	v_lshlrev_b32_e32 v152, 2, v34
	v_xor_b32_e32 v34, 16, v32
	v_cmp_lt_i32_e32 vcc, v34, v33
	v_mad_u32_u24 v60, v89, s0, 0
	v_cndmask_b32_e32 v32, v32, v34, vcc
	s_lshl_b32 s0, s30, 3
	s_lshl_b32 s2, s40, 3
	v_lshlrev_b32_e32 v153, 2, v32
	v_add_u32_e32 v32, s0, v36
	v_add_u32_e32 v46, s2, v44
	;; [unrolled: 1-line block ×13, first 2 shown]
	v_mul_u32_u24_e32 v63, 0x108, v61
	v_mul_u32_u24_e32 v61, 0x210, v61
	v_or_b32_e32 v64, 3, v81
	v_mov_b32_e32 v39, 0
	v_add_u32_e32 v58, s2, v56
	v_ashrrev_i32_e32 v33, 31, v32
	v_ashrrev_i32_e32 v35, 31, v34
	;; [unrolled: 1-line block ×7, first 2 shown]
	v_or_b32_e32 v63, v63, v77
	v_mul_u32_u24_e32 v64, 0x210, v64
	v_add3_u32 v155, v60, v61, v80
	s_ashr_i32 s1, s40, 31
	v_mov_b32_e32 v41, v39
	v_ashrrev_i32_e32 v45, 31, v44
	v_add_u32_e32 v144, 0x1080, v143
	v_ashrrev_i32_e32 v47, 31, v46
	v_add_u32_e32 v145, 0x2100, v143
	;; [unrolled: 2-line block ×7, first 2 shown]
	v_ashrrev_i32_e32 v59, 31, v58
	v_mul_u32_u24_e32 v123, 0x210, v89
	v_add3_u32 v151, v60, v91, v92
	v_lshl_add_u32 v154, v63, 1, v60
	v_add3_u32 v156, v60, v64, v80
	v_add_u32_e32 v157, 32, v155
	v_add_u32_e32 v158, 64, v155
	v_add_u32_e32 v159, 0x60, v155
	v_add_u32_e32 v160, 0x80, v155
	v_add_u32_e32 v161, 0xa0, v155
	v_add_u32_e32 v162, 0xc0, v155
	v_add_u32_e32 v163, 0xe0, v155
	v_add_u32_e32 v164, 0x100, v155
	v_add_u32_e32 v165, 0x120, v155
	v_add_u32_e32 v166, 0x140, v155
	v_add_u32_e32 v167, 0x160, v155
	v_add_u32_e32 v168, 0x180, v155
	v_add_u32_e32 v169, 0x1a0, v155
	v_add_u32_e32 v170, 0x1c0, v155
	v_add_u32_e32 v171, 0x1e0, v155
	s_mov_b32 s35, s34
	s_lshl_b32 s2, s74, 6
	v_mov_b32_e32 v109, 0xfeffffff
	v_lshlrev_b32_e32 v172, 2, v40
	s_mov_b32 s0, 0x3f200000
	s_mov_b32 s12, 0x3fb8aa3b
	;; [unrolled: 1-line block ×4, first 2 shown]
	v_mov_b32_e32 v173, 0xbd5c1c4e
	v_mov_b32_e32 v174, 0x3e088382
	;; [unrolled: 1-line block ×3, first 2 shown]
	s_brev_b32 s15, -2
	v_add_u32_e32 v176, 0x8400, v62
	s_mov_b32 s16, 0xc1a00000
	v_lshlrev_b64 v[60:61], 2, v[36:37]
	v_lshlrev_b64 v[62:63], 2, v[32:33]
	;; [unrolled: 1-line block ×8, first 2 shown]
	s_mov_b32 s17, 0x5040100
	v_mov_b32_e32 v177, 0x7f800000
	v_mov_b32_e32 v178, v39
	;; [unrolled: 1-line block ×34, first 2 shown]
.LBB30_328:                             ; =>This Inner Loop Header: Depth=1
	s_ashr_i32 s3, s2, 31
	s_lshl_b64 s[4:5], s[2:3], 1
	v_mov_b32_e32 v33, s5
	v_add_co_u32_e32 v32, vcc, s4, v141
	s_mul_hi_i32 s5, s2, s40
	s_mul_i32 s4, s2, s40
	s_lshl_b64 s[4:5], s[4:5], 2
	v_addc_co_u32_e32 v33, vcc, v142, v33, vcc
	s_add_u32 s3, s8, s4
	global_load_dword v107, v[32:33], off
	s_addc_u32 s4, s9, s5
	v_lshlrev_b64 v[32:33], 2, v[44:45]
	v_mov_b32_e32 v34, s4
	v_add_co_u32_e32 v32, vcc, s3, v32
	v_addc_co_u32_e32 v33, vcc, v34, v33, vcc
	v_add_co_u32_e32 v32, vcc, v32, v172
	v_addc_co_u32_e32 v33, vcc, 0, v33, vcc
	v_lshlrev_b64 v[34:35], 2, v[46:47]
	v_mov_b32_e32 v179, s4
	v_add_co_u32_e32 v34, vcc, s3, v34
	v_addc_co_u32_e32 v35, vcc, v179, v35, vcc
	v_add_co_u32_e32 v180, vcc, v34, v172
	v_addc_co_u32_e32 v181, vcc, 0, v35, vcc
	v_lshlrev_b64 v[184:185], 2, v[48:49]
	v_add_co_u32_e32 v184, vcc, s3, v184
	v_addc_co_u32_e32 v179, vcc, v179, v185, vcc
	v_add_co_u32_e32 v184, vcc, v184, v172
	v_addc_co_u32_e32 v185, vcc, 0, v179, vcc
	v_lshlrev_b64 v[186:187], 2, v[50:51]
	v_mov_b32_e32 v179, s4
	v_add_co_u32_e32 v186, vcc, s3, v186
	v_addc_co_u32_e32 v179, vcc, v179, v187, vcc
	v_add_co_u32_e32 v188, vcc, v186, v172
	v_addc_co_u32_e32 v189, vcc, 0, v179, vcc
	v_lshlrev_b64 v[192:193], 2, v[52:53]
	v_mov_b32_e32 v179, s4
	;; [unrolled: 6-line block ×5, first 2 shown]
	v_add_co_u32_e32 v202, vcc, s3, v202
	v_addc_co_u32_e32 v179, vcc, v179, v203, vcc
	v_add_co_u32_e32 v204, vcc, v202, v172
	v_addc_co_u32_e32 v205, vcc, 0, v179, vcc
	global_load_dwordx4 v[32:35], v[32:33], off
	s_nop 0
	global_load_dwordx4 v[180:183], v[180:181], off
	s_nop 0
	global_load_dwordx4 v[184:187], v[184:185], off
	s_nop 0
	global_load_dwordx4 v[188:191], v[188:189], off
	s_nop 0
	global_load_dwordx4 v[192:195], v[192:193], off
	s_nop 0
	global_load_dwordx4 v[196:199], v[196:197], off
	s_nop 0
	global_load_dwordx4 v[200:203], v[200:201], off
	s_nop 0
	global_load_dwordx4 v[204:207], v[204:205], off
                                        ; implicit-def: $vgpr179
	s_waitcnt vmcnt(8)
	ds_write_b32 v140, v107 offset:33792
	s_waitcnt vmcnt(7)
	ds_write_b128 v143, v[32:35]
	s_waitcnt vmcnt(6)
	ds_write_b128 v144, v[180:183]
	;; [unrolled: 2-line block ×8, first 2 shown]
	s_waitcnt lgkmcnt(0)
	s_barrier
	ds_read2_b64 v[32:35], v151 offset1:4
	s_waitcnt lgkmcnt(0)
	v_mfma_f32_16x16x16f16 a[0:3], v[32:33], v[28:29], 0
	v_mfma_f32_16x16x16f16 a[0:3], v[34:35], v[30:31], a[0:3]
	ds_read2_b64 v[32:35], v151 offset0:8 offset1:12
	s_waitcnt lgkmcnt(0)
	v_mfma_f32_16x16x16f16 a[0:3], v[32:33], v[24:25], a[0:3]
	v_mfma_f32_16x16x16f16 a[0:3], v[34:35], v[26:27], a[0:3]
	ds_read2_b64 v[32:35], v151 offset0:16 offset1:20
	;; [unrolled: 4-line block ×7, first 2 shown]
	s_waitcnt lgkmcnt(0)
	s_barrier
	v_mfma_f32_16x16x16f16 a[0:3], v[32:33], v[0:1], a[0:3]
	v_mfma_f32_16x16x16f16 a[0:3], v[34:35], v[2:3], a[0:3]
	s_nop 7
	s_nop 2
	v_accvgpr_read_b32 v32, a0
	v_cmp_nlt_f32_e64 s[4:5], |v32|, s0
	s_and_saveexec_b64 s[18:19], s[4:5]
	s_xor_b64 s[4:5], exec, s[18:19]
	s_cbranch_execz .LBB30_330
; %bb.329:                              ;   in Loop: Header=BB30_328 Depth=1
	v_add_f32_e64 v32, |v32|, |v32|
	v_mul_f32_e32 v33, 0x3fb8aa3b, v32
	v_rndne_f32_e32 v34, v33
	v_sub_f32_e32 v35, v33, v34
	v_fma_f32 v33, v32, s12, -v33
	v_fmac_f32_e32 v33, 0x32a5705f, v32
	v_add_f32_e32 v33, v35, v33
	v_cvt_i32_f32_e32 v34, v34
	v_exp_f32_e32 v33, v33
	v_cmp_ngt_f32_e32 vcc, s13, v32
	v_ldexp_f32 v33, v33, v34
	v_cndmask_b32_e32 v33, 0, v33, vcc
	v_cmp_nlt_f32_e32 vcc, s14, v32
	v_cndmask_b32_e32 v32, v177, v33, vcc
	v_add_f32_e32 v32, 1.0, v32
	v_rcp_f32_e32 v32, v32
	v_fma_f32 v179, v32, -2.0, 1.0
                                        ; implicit-def: $vgpr32
.LBB30_330:                             ;   in Loop: Header=BB30_328 Depth=1
	s_andn2_saveexec_b64 s[4:5], s[4:5]
; %bb.331:                              ;   in Loop: Header=BB30_328 Depth=1
	v_mul_f32_e32 v33, v32, v32
	v_mov_b32_e32 v34, 0x3ca908c9
	v_fmac_f32_e32 v34, 0xbbbac73d, v33
	v_fma_f32 v34, v33, v34, v173
	v_fma_f32 v34, v33, v34, v174
	;; [unrolled: 1-line block ×3, first 2 shown]
	v_mul_f32_e64 v34, |v32|, v34
	v_fma_f32 v179, v33, v34, |v32|
; %bb.332:                              ;   in Loop: Header=BB30_328 Depth=1
	s_or_b64 exec, exec, s[4:5]
	v_accvgpr_read_b32 v35, a3
	v_accvgpr_read_b32 v33, a1
	;; [unrolled: 1-line block ×4, first 2 shown]
	v_cmp_nlt_f32_e64 s[4:5], |v33|, s0
                                        ; implicit-def: $vgpr180
	s_and_saveexec_b64 s[18:19], s[4:5]
	s_xor_b64 s[4:5], exec, s[18:19]
	s_cbranch_execz .LBB30_334
; %bb.333:                              ;   in Loop: Header=BB30_328 Depth=1
	v_add_f32_e64 v107, |v33|, |v33|
	v_mul_f32_e32 v180, 0x3fb8aa3b, v107
	v_rndne_f32_e32 v181, v180
	v_sub_f32_e32 v182, v180, v181
	v_fma_f32 v180, v107, s12, -v180
	v_fmac_f32_e32 v180, 0x32a5705f, v107
	v_add_f32_e32 v180, v182, v180
	v_cvt_i32_f32_e32 v181, v181
	v_exp_f32_e32 v180, v180
	v_cmp_ngt_f32_e32 vcc, s13, v107
	v_ldexp_f32 v180, v180, v181
	v_cndmask_b32_e32 v180, 0, v180, vcc
	v_cmp_nlt_f32_e32 vcc, s14, v107
	v_cndmask_b32_e32 v107, v177, v180, vcc
	v_add_f32_e32 v107, 1.0, v107
	v_rcp_f32_e32 v107, v107
	v_fma_f32 v180, v107, -2.0, 1.0
.LBB30_334:                             ;   in Loop: Header=BB30_328 Depth=1
	s_andn2_saveexec_b64 s[4:5], s[4:5]
; %bb.335:                              ;   in Loop: Header=BB30_328 Depth=1
	v_mul_f32_e32 v107, v33, v33
	v_mov_b32_e32 v180, 0x3ca908c9
	v_fmac_f32_e32 v180, 0xbbbac73d, v107
	v_fma_f32 v180, v107, v180, v173
	v_fma_f32 v180, v107, v180, v174
	;; [unrolled: 1-line block ×3, first 2 shown]
	v_mul_f32_e64 v180, |v33|, v180
	v_fma_f32 v180, v107, v180, |v33|
; %bb.336:                              ;   in Loop: Header=BB30_328 Depth=1
	s_or_b64 exec, exec, s[4:5]
	v_cmp_nlt_f32_e64 s[4:5], |v34|, s0
                                        ; implicit-def: $vgpr181
	s_and_saveexec_b64 s[18:19], s[4:5]
	s_xor_b64 s[4:5], exec, s[18:19]
	s_cbranch_execz .LBB30_338
; %bb.337:                              ;   in Loop: Header=BB30_328 Depth=1
	v_add_f32_e64 v107, |v34|, |v34|
	v_mul_f32_e32 v181, 0x3fb8aa3b, v107
	v_rndne_f32_e32 v182, v181
	v_sub_f32_e32 v183, v181, v182
	v_fma_f32 v181, v107, s12, -v181
	v_fmac_f32_e32 v181, 0x32a5705f, v107
	v_add_f32_e32 v181, v183, v181
	v_cvt_i32_f32_e32 v182, v182
	v_exp_f32_e32 v181, v181
	v_cmp_ngt_f32_e32 vcc, s13, v107
	v_ldexp_f32 v181, v181, v182
	v_cndmask_b32_e32 v181, 0, v181, vcc
	v_cmp_nlt_f32_e32 vcc, s14, v107
	v_cndmask_b32_e32 v107, v177, v181, vcc
	v_add_f32_e32 v107, 1.0, v107
	v_rcp_f32_e32 v107, v107
	v_fma_f32 v181, v107, -2.0, 1.0
.LBB30_338:                             ;   in Loop: Header=BB30_328 Depth=1
	s_andn2_saveexec_b64 s[4:5], s[4:5]
; %bb.339:                              ;   in Loop: Header=BB30_328 Depth=1
	v_mul_f32_e32 v107, v34, v34
	v_mov_b32_e32 v181, 0x3ca908c9
	v_fmac_f32_e32 v181, 0xbbbac73d, v107
	v_fma_f32 v181, v107, v181, v173
	v_fma_f32 v181, v107, v181, v174
	;; [unrolled: 1-line block ×3, first 2 shown]
	v_mul_f32_e64 v181, |v34|, v181
	v_fma_f32 v181, v107, v181, |v34|
; %bb.340:                              ;   in Loop: Header=BB30_328 Depth=1
	s_or_b64 exec, exec, s[4:5]
	v_cmp_nlt_f32_e64 s[4:5], |v35|, s0
                                        ; implicit-def: $vgpr182
	s_and_saveexec_b64 s[18:19], s[4:5]
	s_xor_b64 s[4:5], exec, s[18:19]
	s_cbranch_execz .LBB30_342
; %bb.341:                              ;   in Loop: Header=BB30_328 Depth=1
	v_add_f32_e64 v107, |v35|, |v35|
	v_mul_f32_e32 v182, 0x3fb8aa3b, v107
	v_rndne_f32_e32 v183, v182
	v_sub_f32_e32 v184, v182, v183
	v_fma_f32 v182, v107, s12, -v182
	v_fmac_f32_e32 v182, 0x32a5705f, v107
	v_add_f32_e32 v182, v184, v182
	v_cvt_i32_f32_e32 v183, v183
	v_exp_f32_e32 v182, v182
	v_cmp_ngt_f32_e32 vcc, s13, v107
	v_ldexp_f32 v182, v182, v183
	v_cndmask_b32_e32 v182, 0, v182, vcc
	v_cmp_nlt_f32_e32 vcc, s14, v107
	v_cndmask_b32_e32 v107, v177, v182, vcc
	v_add_f32_e32 v107, 1.0, v107
	v_rcp_f32_e32 v107, v107
	v_fma_f32 v182, v107, -2.0, 1.0
.LBB30_342:                             ;   in Loop: Header=BB30_328 Depth=1
	s_andn2_saveexec_b64 s[4:5], s[4:5]
; %bb.343:                              ;   in Loop: Header=BB30_328 Depth=1
	v_mul_f32_e32 v107, v35, v35
	v_mov_b32_e32 v182, 0x3ca908c9
	v_fmac_f32_e32 v182, 0xbbbac73d, v107
	v_fma_f32 v182, v107, v182, v173
	v_fma_f32 v182, v107, v182, v174
	;; [unrolled: 1-line block ×3, first 2 shown]
	v_mul_f32_e64 v182, |v35|, v182
	v_fma_f32 v182, v107, v182, |v35|
; %bb.344:                              ;   in Loop: Header=BB30_328 Depth=1
	s_or_b64 exec, exec, s[4:5]
	ds_read2_b32 v[184:185], v176 offset1:1
	v_bfi_b32 v35, s15, v182, v35
	v_bfi_b32 v33, s15, v180, v33
	;; [unrolled: 1-line block ×4, first 2 shown]
	s_waitcnt lgkmcnt(0)
	v_cvt_f32_f16_e32 v182, v184
	v_cvt_f32_f16_sdwa v183, v184 dst_sel:DWORD dst_unused:UNUSED_PAD src0_sel:WORD_1
	v_cvt_f32_f16_e32 v180, v185
	v_cvt_f32_f16_sdwa v181, v185 dst_sel:DWORD dst_unused:UNUSED_PAD src0_sel:WORD_1
	s_mul_hi_i32 s5, s2, s30
	v_pk_fma_f32 v[182:183], v[32:33], s[34:35], v[182:183]
	v_add_f32_e32 v32, 0x40051340, v182
	v_add_f32_e32 v33, 0x40051340, v183
	v_pk_fma_f32 v[34:35], v[34:35], s[34:35], v[180:181]
	v_max3_f32 v32, v109, v32, v33
	v_add_f32_e32 v33, 0x40051340, v34
	v_add_f32_e32 v107, 0x40051340, v35
	v_max3_f32 v32, v32, v33, v107
	ds_bpermute_b32 v33, v152, v32
	s_mul_i32 s4, s2, s30
	s_lshl_b64 s[4:5], s[4:5], 2
	s_add_u32 s3, s6, s4
	s_addc_u32 s4, s7, s5
	s_waitcnt lgkmcnt(0)
	v_max_f32_e32 v33, v33, v33
	v_max_f32_e32 v32, v32, v33
	ds_bpermute_b32 v33, v153, v32
	s_add_i32 s74, s74, 1
	s_add_i32 s2, s2, 64
	s_waitcnt lgkmcnt(0)
	v_max_f32_e32 v33, v33, v33
	v_max_f32_e32 v32, v32, v33
	v_pk_add_f32 v[180:181], v[182:183], v[32:33] op_sel_hi:[1,0] neg_lo:[0,1] neg_hi:[0,1]
	v_mul_f32_e32 v33, 0x3fb8aa3b, v181
	v_fma_f32 v179, v181, s12, -v33
	v_rndne_f32_e32 v182, v33
	v_mul_f32_e32 v107, 0x3fb8aa3b, v180
	v_fmac_f32_e32 v179, 0x32a5705f, v181
	v_sub_f32_e32 v33, v33, v182
	v_add_f32_e32 v33, v33, v179
	v_fma_f32 v179, v180, s12, -v107
	v_rndne_f32_e32 v183, v107
	v_cvt_i32_f32_e32 v182, v182
	v_exp_f32_e32 v33, v33
	v_fmac_f32_e32 v179, 0x32a5705f, v180
	v_sub_f32_e32 v107, v107, v183
	v_add_f32_e32 v107, v107, v179
	v_exp_f32_e32 v107, v107
	v_cvt_i32_f32_e32 v179, v183
	v_ldexp_f32 v33, v33, v182
	v_cmp_ngt_f32_e32 vcc, s13, v181
	v_cndmask_b32_e32 v33, 0, v33, vcc
	v_cmp_nlt_f32_e32 vcc, s14, v181
	v_cndmask_b32_e32 v212, v177, v33, vcc
	v_ldexp_f32 v33, v107, v179
	v_pk_add_f32 v[34:35], v[34:35], v[32:33] op_sel_hi:[1,0] neg_lo:[0,1] neg_hi:[0,1]
	v_mul_f32_e32 v107, 0x3fb8aa3b, v35
	v_fma_f32 v179, v35, s12, -v107
	v_rndne_f32_e32 v181, v107
	v_fmac_f32_e32 v179, 0x32a5705f, v35
	v_sub_f32_e32 v107, v107, v181
	v_add_f32_e32 v107, v107, v179
	v_exp_f32_e32 v107, v107
	v_cvt_i32_f32_e32 v179, v181
	v_cmp_ngt_f32_e32 vcc, s13, v180
	v_cndmask_b32_e32 v33, 0, v33, vcc
	v_cmp_nlt_f32_e32 vcc, s14, v180
	v_cndmask_b32_e32 v213, v177, v33, vcc
	v_ldexp_f32 v33, v107, v179
	v_mov_b32_e32 v179, s4
	v_add_co_u32_e32 v180, vcc, s3, v60
	v_addc_co_u32_e32 v179, vcc, v179, v61, vcc
	v_add_co_u32_e32 v180, vcc, v180, v172
	v_addc_co_u32_e32 v181, vcc, 0, v179, vcc
	v_mov_b32_e32 v179, s4
	v_add_co_u32_e32 v182, vcc, s3, v62
	v_addc_co_u32_e32 v179, vcc, v179, v63, vcc
	v_add_co_u32_e32 v184, vcc, v182, v172
	v_addc_co_u32_e32 v185, vcc, 0, v179, vcc
	;; [unrolled: 5-line block ×8, first 2 shown]
	global_load_dwordx4 v[180:183], v[180:181], off
	s_nop 0
	global_load_dwordx4 v[184:187], v[184:185], off
	s_nop 0
	;; [unrolled: 2-line block ×7, first 2 shown]
	global_load_dwordx4 v[208:211], v[208:209], off
	v_mul_f32_e32 v107, 0x3fb8aa3b, v34
	v_fma_f32 v179, v34, s12, -v107
	v_rndne_f32_e32 v214, v107
	v_fmac_f32_e32 v179, 0x32a5705f, v34
	v_sub_f32_e32 v107, v107, v214
	v_add_f32_e32 v107, v107, v179
	v_exp_f32_e32 v107, v107
	v_cvt_i32_f32_e32 v179, v214
	v_cmp_ngt_f32_e32 vcc, s13, v35
	v_cndmask_b32_e32 v33, 0, v33, vcc
	v_cmp_nlt_f32_e32 vcc, s14, v35
	v_cndmask_b32_e32 v35, v177, v33, vcc
	v_ldexp_f32 v33, v107, v179
	v_sub_f32_e32 v107, v109, v32
	v_mul_f32_e32 v109, 0x3fb8aa3b, v107
	v_fma_f32 v179, v107, s12, -v109
	v_rndne_f32_e32 v214, v109
	v_fmac_f32_e32 v179, 0x32a5705f, v107
	v_sub_f32_e32 v109, v109, v214
	v_add_f32_e32 v109, v109, v179
	v_exp_f32_e32 v109, v109
	v_cvt_i32_f32_e32 v179, v214
	v_cmp_ngt_f32_e32 vcc, s13, v34
	v_cndmask_b32_e32 v33, 0, v33, vcc
	v_cmp_nlt_f32_e32 vcc, s14, v34
	v_cndmask_b32_e32 v34, v177, v33, vcc
	v_ldexp_f32 v109, v109, v179
	v_cmp_ngt_f32_e32 vcc, s13, v107
	v_cndmask_b32_e32 v109, 0, v109, vcc
	v_cmp_nlt_f32_e32 vcc, s14, v107
	v_cndmask_b32_e32 v109, v177, v109, vcc
	v_cmp_le_f32_e32 vcc, s16, v107
	v_cndmask_b32_e32 v107, 0, v109, vcc
	v_cvt_f16_f32_e32 v214, v107
	v_add_f32_e32 v33, v213, v212
	v_add_f32_e32 v33, v34, v33
	;; [unrolled: 1-line block ×3, first 2 shown]
	v_fmac_f32_e32 v33, v178, v107
	v_pk_mul_f16 v107, v214, v137 op_sel_hi:[0,1]
	v_pk_mul_f16 v137, v214, v138 op_sel_hi:[0,1]
	;; [unrolled: 1-line block ×15, first 2 shown]
	v_cvt_f16_f32_e32 v116, v34
	s_waitcnt vmcnt(7)
	ds_write_b128 v143, v[180:183]
	s_waitcnt vmcnt(6)
	ds_write_b128 v144, v[184:187]
	;; [unrolled: 2-line block ×8, first 2 shown]
	s_waitcnt lgkmcnt(0)
	s_barrier
	v_cvt_f32_f16_e32 v178, v107
	v_cvt_f32_f16_sdwa v179, v107 dst_sel:DWORD dst_unused:UNUSED_PAD src0_sel:WORD_1
	v_cvt_f32_f16_e32 v180, v137
	v_cvt_f32_f16_sdwa v181, v137 dst_sel:DWORD dst_unused:UNUSED_PAD src0_sel:WORD_1
	ds_read_u16 v34, v155 offset:528
	ds_read_u16 v107, v155 offset:1056
	ds_read_u16 v137, v156
	ds_read_u16 v184, v156 offset:32
	ds_read_u16 v185, v156 offset:64
	;; [unrolled: 1-line block ×5, first 2 shown]
	v_pk_mul_f16 v215, v214, v118 op_sel_hi:[0,1]
	v_pk_mul_f16 v118, v214, v125 op_sel_hi:[0,1]
	;; [unrolled: 1-line block ×15, first 2 shown]
	v_cvt_f16_f32_e32 v113, v213
	v_cvt_f16_f32_e32 v115, v212
	;; [unrolled: 1-line block ×3, first 2 shown]
	s_waitcnt lgkmcnt(5)
	v_perm_b32 v183, v137, v107, s17
	ds_read_u16 v107, v154
	ds_read_u16 v137, v154 offset:32
	ds_read_u16 v189, v154 offset:64
	;; [unrolled: 1-line block ×7, first 2 shown]
	s_waitcnt lgkmcnt(7)
	v_perm_b32 v182, v34, v107, s17
	v_accvgpr_write_b32 a0, v178
	v_pack_b32_f16 v34, v113, v115
	v_pack_b32_f16 v35, v116, v35
	v_accvgpr_write_b32 a1, v179
	v_accvgpr_write_b32 a2, v180
	;; [unrolled: 1-line block ×3, first 2 shown]
	v_pk_mul_f16 v139, v214, v139 op_sel_hi:[0,1]
	v_cvt_f32_f16_e32 v178, v139
	v_mfma_f32_16x16x16f16 a[0:3], v[182:183], v[34:35], a[0:3]
	v_cvt_f32_f16_sdwa v179, v139 dst_sel:DWORD dst_unused:UNUSED_PAD src0_sel:WORD_1
	ds_read_u16 v116, v157 offset:528
	ds_read_u16 v139, v157 offset:1056
	;; [unrolled: 1-line block ×6, first 2 shown]
	v_cvt_f32_f16_e32 v180, v215
	v_cvt_f32_f16_sdwa v181, v215 dst_sel:DWORD dst_unused:UNUSED_PAD src0_sel:WORD_1
	s_waitcnt lgkmcnt(4)
	v_perm_b32 v183, v184, v139, s17
	v_perm_b32 v182, v116, v137, s17
	ds_read_u16 v184, v156 offset:448
	ds_read_u16 v199, v156 offset:480
	v_accvgpr_read_b32 v107, a0
	v_accvgpr_read_b32 v113, a1
	v_accvgpr_read_b32 v115, a2
	v_accvgpr_read_b32 v116, a3
	v_accvgpr_write_b32 a0, v178
	v_accvgpr_write_b32 a1, v179
	;; [unrolled: 1-line block ×4, first 2 shown]
	v_cvt_f16_f32_e32 v107, v107
	v_cvt_f16_f32_e32 v113, v113
	v_mfma_f32_16x16x16f16 a[0:3], v[182:183], v[34:35], a[0:3]
	v_cvt_f32_f16_e32 v178, v138
	v_cvt_f32_f16_sdwa v179, v138 dst_sel:DWORD dst_unused:UNUSED_PAD src0_sel:WORD_1
	v_cvt_f32_f16_e32 v180, v118
	v_cvt_f32_f16_sdwa v181, v118 dst_sel:DWORD dst_unused:UNUSED_PAD src0_sel:WORD_1
	s_waitcnt lgkmcnt(4)
	v_perm_b32 v183, v185, v196, s17
	v_perm_b32 v182, v195, v189, s17
	v_pack_b32_f16 v137, v107, v113
	v_cvt_f16_f32_e32 v115, v115
	v_cvt_f16_f32_e32 v116, v116
	v_pk_mul_f16 v90, v214, v90 op_sel_hi:[0,1]
	v_cmp_lt_i32_e32 vcc, s74, v136
	v_accvgpr_read_b32 v139, a2
	v_accvgpr_read_b32 v107, a0
	;; [unrolled: 1-line block ×3, first 2 shown]
	v_cvt_f16_f32_e32 v200, v139
	v_accvgpr_read_b32 v139, a3
	v_accvgpr_write_b32 a0, v178
	v_accvgpr_write_b32 a1, v179
	;; [unrolled: 1-line block ×4, first 2 shown]
	v_cvt_f16_f32_e32 v107, v107
	v_cvt_f16_f32_e32 v113, v113
	v_mfma_f32_16x16x16f16 a[0:3], v[182:183], v[34:35], a[0:3]
	v_cvt_f32_f16_e32 v178, v125
	v_cvt_f32_f16_sdwa v179, v125 dst_sel:DWORD dst_unused:UNUSED_PAD src0_sel:WORD_1
	v_cvt_f32_f16_e32 v180, v119
	v_cvt_f32_f16_sdwa v181, v119 dst_sel:DWORD dst_unused:UNUSED_PAD src0_sel:WORD_1
	s_waitcnt lgkmcnt(2)
	v_perm_b32 v183, v186, v198, s17
	v_perm_b32 v182, v197, v190, s17
	v_cvt_f16_f32_e32 v201, v139
	v_pack_b32_f16 v138, v115, v116
	v_pack_b32_f16 v139, v107, v113
	s_and_b64 vcc, exec, vcc
	v_pack_b32_f16 v118, v200, v201
	v_accvgpr_read_b32 v107, a0
	v_accvgpr_read_b32 v113, a1
	;; [unrolled: 1-line block ×4, first 2 shown]
	v_accvgpr_write_b32 a0, v178
	v_accvgpr_write_b32 a1, v179
	;; [unrolled: 1-line block ×4, first 2 shown]
	v_cvt_f16_f32_e32 v107, v107
	v_cvt_f16_f32_e32 v113, v113
	v_mfma_f32_16x16x16f16 a[0:3], v[182:183], v[34:35], a[0:3]
	v_cvt_f32_f16_e32 v178, v122
	v_cvt_f32_f16_sdwa v179, v122 dst_sel:DWORD dst_unused:UNUSED_PAD src0_sel:WORD_1
	v_cvt_f32_f16_e32 v180, v121
	v_cvt_f32_f16_sdwa v181, v121 dst_sel:DWORD dst_unused:UNUSED_PAD src0_sel:WORD_1
	ds_read_u16 v121, v160 offset:528
	ds_read_u16 v122, v160 offset:1056
	;; [unrolled: 1-line block ×8, first 2 shown]
	s_waitcnt lgkmcnt(6)
	v_perm_b32 v183, v187, v122, s17
	v_perm_b32 v182, v121, v191, s17
	v_accvgpr_read_b32 v125, a2
	v_pack_b32_f16 v119, v107, v113
	v_accvgpr_read_b32 v107, a0
	v_accvgpr_read_b32 v113, a1
	v_cvt_f16_f32_e32 v185, v125
	v_accvgpr_read_b32 v125, a3
	v_accvgpr_write_b32 a0, v178
	v_accvgpr_write_b32 a1, v179
	v_accvgpr_write_b32 a2, v180
	v_accvgpr_write_b32 a3, v181
	v_cvt_f16_f32_e32 v115, v115
	v_cvt_f16_f32_e32 v116, v116
	v_mfma_f32_16x16x16f16 a[0:3], v[182:183], v[34:35], a[0:3]
	v_cvt_f16_f32_e32 v107, v107
	v_cvt_f16_f32_e32 v113, v113
	v_cvt_f32_f16_e32 v178, v129
	v_cvt_f32_f16_sdwa v179, v129 dst_sel:DWORD dst_unused:UNUSED_PAD src0_sel:WORD_1
	v_cvt_f32_f16_e32 v180, v124
	v_cvt_f32_f16_sdwa v181, v124 dst_sel:DWORD dst_unused:UNUSED_PAD src0_sel:WORD_1
	s_waitcnt lgkmcnt(4)
	v_perm_b32 v183, v188, v190, s17
	v_perm_b32 v182, v189, v192, s17
	v_cvt_f16_f32_e32 v186, v125
	v_pack_b32_f16 v125, v115, v116
	v_pack_b32_f16 v122, v107, v113
	v_accvgpr_read_b32 v107, a0
	v_accvgpr_read_b32 v113, a1
	;; [unrolled: 1-line block ×4, first 2 shown]
	v_accvgpr_write_b32 a0, v178
	v_accvgpr_write_b32 a1, v179
	v_accvgpr_write_b32 a2, v180
	v_accvgpr_write_b32 a3, v181
	v_cvt_f16_f32_e32 v107, v107
	v_cvt_f16_f32_e32 v113, v113
	v_mfma_f32_16x16x16f16 a[0:3], v[182:183], v[34:35], a[0:3]
	v_cvt_f32_f16_e32 v178, v127
	v_cvt_f32_f16_sdwa v179, v127 dst_sel:DWORD dst_unused:UNUSED_PAD src0_sel:WORD_1
	v_cvt_f32_f16_e32 v180, v126
	v_cvt_f32_f16_sdwa v181, v126 dst_sel:DWORD dst_unused:UNUSED_PAD src0_sel:WORD_1
	ds_read_u16 v126, v156 offset:192
	ds_read_u16 v187, v156 offset:224
	;; [unrolled: 1-line block ×8, first 2 shown]
	s_waitcnt lgkmcnt(7)
	v_perm_b32 v183, v126, v196, s17
	v_perm_b32 v182, v195, v193, s17
	v_accvgpr_read_b32 v129, a2
	v_pack_b32_f16 v121, v185, v186
	v_pack_b32_f16 v124, v107, v113
	v_accvgpr_read_b32 v107, a0
	v_accvgpr_read_b32 v113, a1
	v_cvt_f16_f32_e32 v185, v129
	v_accvgpr_read_b32 v129, a3
	v_accvgpr_write_b32 a0, v178
	v_accvgpr_write_b32 a1, v179
	v_accvgpr_write_b32 a2, v180
	v_accvgpr_write_b32 a3, v181
	v_cvt_f16_f32_e32 v115, v115
	v_cvt_f16_f32_e32 v116, v116
	v_mfma_f32_16x16x16f16 a[0:3], v[182:183], v[34:35], a[0:3]
	v_cvt_f16_f32_e32 v107, v107
	v_cvt_f16_f32_e32 v113, v113
	v_cvt_f32_f16_e32 v178, v133
	v_cvt_f32_f16_sdwa v179, v133 dst_sel:DWORD dst_unused:UNUSED_PAD src0_sel:WORD_1
	v_cvt_f32_f16_e32 v180, v128
	v_cvt_f32_f16_sdwa v181, v128 dst_sel:DWORD dst_unused:UNUSED_PAD src0_sel:WORD_1
	s_waitcnt lgkmcnt(6)
	v_perm_b32 v183, v187, v198, s17
	v_perm_b32 v182, v197, v194, s17
	v_cvt_f16_f32_e32 v186, v129
	v_pack_b32_f16 v129, v115, v116
	v_pack_b32_f16 v127, v107, v113
	v_accvgpr_read_b32 v107, a0
	v_accvgpr_read_b32 v113, a1
	;; [unrolled: 1-line block ×4, first 2 shown]
	v_accvgpr_write_b32 a0, v178
	v_accvgpr_write_b32 a1, v179
	;; [unrolled: 1-line block ×4, first 2 shown]
	v_cvt_f16_f32_e32 v107, v107
	v_cvt_f16_f32_e32 v113, v113
	v_mfma_f32_16x16x16f16 a[0:3], v[182:183], v[34:35], a[0:3]
	v_cvt_f32_f16_e32 v178, v131
	v_cvt_f32_f16_sdwa v179, v131 dst_sel:DWORD dst_unused:UNUSED_PAD src0_sel:WORD_1
	v_cvt_f32_f16_e32 v180, v130
	v_cvt_f32_f16_sdwa v181, v130 dst_sel:DWORD dst_unused:UNUSED_PAD src0_sel:WORD_1
	ds_read_u16 v130, v164 offset:528
	ds_read_u16 v131, v164 offset:1056
	;; [unrolled: 1-line block ×8, first 2 shown]
	s_waitcnt lgkmcnt(6)
	v_perm_b32 v183, v188, v131, s17
	ds_read_u16 v131, v154 offset:256
	ds_read_u16 v188, v154 offset:288
	;; [unrolled: 1-line block ×8, first 2 shown]
	s_waitcnt lgkmcnt(7)
	v_perm_b32 v182, v130, v131, s17
	v_accvgpr_read_b32 v133, a2
	v_pack_b32_f16 v126, v185, v186
	v_pack_b32_f16 v128, v107, v113
	v_accvgpr_read_b32 v107, a0
	v_accvgpr_read_b32 v113, a1
	v_cvt_f16_f32_e32 v185, v133
	v_accvgpr_read_b32 v133, a3
	v_accvgpr_write_b32 a0, v178
	v_accvgpr_write_b32 a1, v179
	;; [unrolled: 1-line block ×4, first 2 shown]
	v_cvt_f16_f32_e32 v115, v115
	v_cvt_f16_f32_e32 v116, v116
	v_mfma_f32_16x16x16f16 a[0:3], v[182:183], v[34:35], a[0:3]
	v_cvt_f16_f32_e32 v107, v107
	v_cvt_f16_f32_e32 v113, v113
	v_cvt_f32_f16_e32 v178, v135
	v_cvt_f32_f16_sdwa v179, v135 dst_sel:DWORD dst_unused:UNUSED_PAD src0_sel:WORD_1
	v_cvt_f32_f16_e32 v180, v132
	v_cvt_f32_f16_sdwa v181, v132 dst_sel:DWORD dst_unused:UNUSED_PAD src0_sel:WORD_1
	v_perm_b32 v183, v189, v193, s17
	s_waitcnt lgkmcnt(6)
	v_perm_b32 v182, v187, v188, s17
	v_cvt_f16_f32_e32 v186, v133
	v_pack_b32_f16 v133, v115, v116
	v_pack_b32_f16 v131, v107, v113
	v_accvgpr_read_b32 v107, a0
	v_accvgpr_read_b32 v113, a1
	;; [unrolled: 1-line block ×4, first 2 shown]
	v_accvgpr_write_b32 a0, v178
	v_accvgpr_write_b32 a1, v179
	;; [unrolled: 1-line block ×4, first 2 shown]
	v_cvt_f16_f32_e32 v107, v107
	v_cvt_f16_f32_e32 v113, v113
	v_mfma_f32_16x16x16f16 a[0:3], v[182:183], v[34:35], a[0:3]
	v_cvt_f32_f16_e32 v178, v99
	v_cvt_f32_f16_sdwa v179, v99 dst_sel:DWORD dst_unused:UNUSED_PAD src0_sel:WORD_1
	v_cvt_f32_f16_e32 v180, v98
	v_cvt_f32_f16_sdwa v181, v98 dst_sel:DWORD dst_unused:UNUSED_PAD src0_sel:WORD_1
	v_perm_b32 v183, v190, v195, s17
	s_waitcnt lgkmcnt(5)
	v_perm_b32 v182, v194, v198, s17
	v_pack_b32_f16 v130, v185, v186
	v_pack_b32_f16 v132, v107, v113
	v_cvt_f16_f32_e32 v115, v115
	v_cvt_f16_f32_e32 v116, v116
	v_accvgpr_read_b32 v135, a2
	v_accvgpr_read_b32 v107, a0
	;; [unrolled: 1-line block ×3, first 2 shown]
	v_cvt_f16_f32_e32 v185, v135
	v_accvgpr_read_b32 v135, a3
	v_accvgpr_write_b32 a0, v178
	v_accvgpr_write_b32 a1, v179
	;; [unrolled: 1-line block ×4, first 2 shown]
	v_cvt_f16_f32_e32 v107, v107
	v_cvt_f16_f32_e32 v113, v113
	v_mfma_f32_16x16x16f16 a[0:3], v[182:183], v[34:35], a[0:3]
	v_cvt_f16_f32_e32 v186, v135
	v_pack_b32_f16 v135, v115, v116
	v_pack_b32_f16 v99, v107, v113
	v_cvt_f32_f16_e32 v178, v106
	v_cvt_f32_f16_sdwa v179, v106 dst_sel:DWORD dst_unused:UNUSED_PAD src0_sel:WORD_1
	v_cvt_f32_f16_e32 v180, v100
	v_cvt_f32_f16_sdwa v181, v100 dst_sel:DWORD dst_unused:UNUSED_PAD src0_sel:WORD_1
	s_waitcnt lgkmcnt(4)
	v_perm_b32 v106, v196, v201, s17
	v_pack_b32_f16 v98, v185, v186
	s_nop 0
	v_accvgpr_read_b32 v107, a0
	v_cvt_f16_f32_e32 v113, v107
	v_accvgpr_read_b32 v107, a1
	v_cvt_f16_f32_e32 v115, v107
	;; [unrolled: 2-line block ×3, first 2 shown]
	v_perm_b32 v107, v191, v197, s17
	v_accvgpr_read_b32 v100, a3
	v_accvgpr_write_b32 a0, v178
	v_accvgpr_write_b32 a1, v179
	;; [unrolled: 1-line block ×4, first 2 shown]
	v_cvt_f32_f16_e32 v178, v103
	v_cvt_f32_f16_sdwa v179, v103 dst_sel:DWORD dst_unused:UNUSED_PAD src0_sel:WORD_1
	v_mfma_f32_16x16x16f16 a[0:3], v[106:107], v[34:35], a[0:3]
	v_cvt_f32_f16_e32 v180, v102
	v_cvt_f32_f16_sdwa v181, v102 dst_sel:DWORD dst_unused:UNUSED_PAD src0_sel:WORD_1
	ds_read_u16 v102, v168 offset:528
	ds_read_u16 v103, v168 offset:1056
	;; [unrolled: 1-line block ×8, first 2 shown]
	s_waitcnt lgkmcnt(6)
	v_perm_b32 v183, v192, v103, s17
	v_perm_b32 v182, v102, v202, s17
	v_cvt_f16_f32_e32 v185, v100
	v_pack_b32_f16 v100, v113, v115
	v_accvgpr_read_b32 v106, a0
	v_cvt_f16_f32_e32 v107, v106
	v_accvgpr_read_b32 v106, a1
	v_cvt_f16_f32_e32 v113, v106
	;; [unrolled: 2-line block ×3, first 2 shown]
	v_accvgpr_read_b32 v106, a3
	v_accvgpr_write_b32 a0, v178
	v_accvgpr_write_b32 a1, v179
	;; [unrolled: 1-line block ×4, first 2 shown]
	v_cvt_f16_f32_e32 v186, v106
	v_pack_b32_f16 v103, v107, v113
	v_mfma_f32_16x16x16f16 a[0:3], v[182:183], v[34:35], a[0:3]
	v_cvt_f32_f16_e32 v178, v112
	v_pack_b32_f16 v102, v115, v186
	v_pack_b32_f16 v106, v116, v185
	v_cvt_f32_f16_sdwa v179, v112 dst_sel:DWORD dst_unused:UNUSED_PAD src0_sel:WORD_1
	v_cvt_f32_f16_e32 v180, v104
	v_cvt_f32_f16_sdwa v181, v104 dst_sel:DWORD dst_unused:UNUSED_PAD src0_sel:WORD_1
	s_waitcnt lgkmcnt(5)
	v_perm_b32 v112, v187, v203, s17
	s_waitcnt lgkmcnt(2)
	v_perm_b32 v183, v184, v190, s17
	v_perm_b32 v182, v189, v204, s17
	s_waitcnt lgkmcnt(0)
	s_barrier
	v_accvgpr_read_b32 v113, a1
	v_cvt_f16_f32_e32 v115, v113
	v_accvgpr_read_b32 v113, a2
	v_cvt_f16_f32_e32 v116, v113
	v_perm_b32 v113, v200, v188, s17
	v_accvgpr_read_b32 v107, a0
	v_accvgpr_read_b32 v104, a3
	v_accvgpr_write_b32 a0, v178
	v_accvgpr_write_b32 a1, v179
	;; [unrolled: 1-line block ×4, first 2 shown]
	v_cvt_f16_f32_e32 v107, v107
	v_cvt_f32_f16_e32 v178, v111
	v_mfma_f32_16x16x16f16 a[0:3], v[112:113], v[34:35], a[0:3]
	v_cvt_f32_f16_sdwa v179, v111 dst_sel:DWORD dst_unused:UNUSED_PAD src0_sel:WORD_1
	v_cvt_f32_f16_e32 v180, v108
	v_cvt_f32_f16_sdwa v181, v108 dst_sel:DWORD dst_unused:UNUSED_PAD src0_sel:WORD_1
	v_cvt_f16_f32_e32 v185, v104
	v_pack_b32_f16 v104, v107, v115
	s_nop 5
	v_accvgpr_read_b32 v112, a1
	v_cvt_f16_f32_e32 v113, v112
	v_accvgpr_read_b32 v112, a2
	v_accvgpr_read_b32 v107, a0
	v_cvt_f16_f32_e32 v115, v112
	v_accvgpr_read_b32 v112, a3
	v_accvgpr_write_b32 a0, v178
	v_accvgpr_write_b32 a1, v179
	;; [unrolled: 1-line block ×4, first 2 shown]
	v_cvt_f16_f32_e32 v107, v107
	v_cvt_f16_f32_e32 v186, v112
	v_mfma_f32_16x16x16f16 a[0:3], v[182:183], v[34:35], a[0:3]
	v_cvt_f32_f16_e32 v178, v109
	v_cvt_f32_f16_sdwa v179, v109 dst_sel:DWORD dst_unused:UNUSED_PAD src0_sel:WORD_1
	v_cvt_f32_f16_e32 v180, v90
	v_cvt_f32_f16_sdwa v181, v90 dst_sel:DWORD dst_unused:UNUSED_PAD src0_sel:WORD_1
	v_perm_b32 v183, v199, v193, s17
	v_perm_b32 v182, v191, v205, s17
	v_pack_b32_f16 v111, v107, v113
	v_pack_b32_f16 v108, v115, v186
	;; [unrolled: 1-line block ×3, first 2 shown]
	s_nop 1
	v_accvgpr_read_b32 v107, a0
	v_accvgpr_read_b32 v113, a1
	;; [unrolled: 1-line block ×4, first 2 shown]
	v_accvgpr_write_b32 a0, v178
	v_accvgpr_write_b32 a1, v179
	;; [unrolled: 1-line block ×4, first 2 shown]
	v_cvt_f16_f32_e32 v90, v115
	v_cvt_f16_f32_e32 v107, v107
	v_mfma_f32_16x16x16f16 a[0:3], v[182:183], v[34:35], a[0:3]
	v_cvt_f16_f32_e32 v113, v113
	v_cvt_f16_f32_e32 v109, v109
	v_pack_b32_f16 v116, v107, v113
	s_nop 7
	v_accvgpr_read_b32 v115, a2
	v_accvgpr_read_b32 v34, a0
	;; [unrolled: 1-line block ×3, first 2 shown]
	v_cvt_f16_f32_e32 v178, v115
	v_accvgpr_read_b32 v115, a3
	v_cvt_f16_f32_e32 v34, v34
	v_cvt_f16_f32_e32 v35, v35
	;; [unrolled: 1-line block ×3, first 2 shown]
	v_pack_b32_f16 v115, v90, v109
	v_pack_b32_f16 v113, v34, v35
	;; [unrolled: 1-line block ×3, first 2 shown]
	s_cbranch_vccz .LBB30_346
; %bb.345:                              ;   in Loop: Header=BB30_328 Depth=1
	v_mov_b32_e32 v178, v33
	v_mov_b32_e32 v109, v32
	s_branch .LBB30_328
.LBB30_346:
	s_lshl_b32 s2, s74, 6
	s_ashr_i32 s3, s2, 31
	s_lshl_b64 s[4:5], s[2:3], 1
	s_add_u32 s0, s10, s4
	v_lshlrev_b64 v[34:35], 1, v[42:43]
	s_addc_u32 s4, s11, s5
	v_add_co_u32_e32 v43, vcc, s0, v34
	s_mul_i32 s0, s40, s3
	s_mul_hi_u32 s3, s40, s2
	v_mov_b32_e32 v42, s4
	s_add_i32 s0, s3, s0
	s_mul_i32 s1, s1, s2
	v_addc_co_u32_e32 v42, vcc, v42, v35, vcc
	v_lshlrev_b64 v[34:35], 1, v[38:39]
	s_add_i32 s1, s0, s1
	s_mul_i32 s0, s40, s2
	v_add_co_u32_e32 v34, vcc, v43, v34
	s_lshl_b64 s[0:1], s[0:1], 2
	v_addc_co_u32_e32 v35, vcc, v42, v35, vcc
	s_add_u32 s0, s8, s0
	global_load_dword v39, v[34:35], off
	s_addc_u32 s1, s9, s1
	v_lshlrev_b64 v[34:35], 2, v[44:45]
	v_mov_b32_e32 v42, s1
	v_add_co_u32_e32 v43, vcc, s0, v34
	v_addc_co_u32_e32 v42, vcc, v42, v35, vcc
	v_lshlrev_b64 v[34:35], 2, v[40:41]
	v_add_co_u32_e32 v64, vcc, v43, v34
	v_addc_co_u32_e32 v65, vcc, v42, v35, vcc
	v_lshlrev_b64 v[42:43], 2, v[46:47]
	v_mov_b32_e32 v41, s1
	v_add_co_u32_e32 v42, vcc, s0, v42
	v_addc_co_u32_e32 v41, vcc, v41, v43, vcc
	v_add_co_u32_e32 v46, vcc, v42, v34
	v_addc_co_u32_e32 v47, vcc, v41, v35, vcc
	global_load_dwordx4 v[42:45], v[64:65], off
	global_load_dwordx4 v[60:63], v[46:47], off
	v_lshlrev_b64 v[46:47], 2, v[48:49]
	v_mov_b32_e32 v41, s1
	v_add_co_u32_e32 v46, vcc, s0, v46
	v_addc_co_u32_e32 v41, vcc, v41, v47, vcc
	v_add_co_u32_e32 v46, vcc, v46, v34
	v_addc_co_u32_e32 v47, vcc, v41, v35, vcc
	v_lshlrev_b64 v[48:49], 2, v[50:51]
	v_mov_b32_e32 v41, s1
	v_add_co_u32_e32 v48, vcc, s0, v48
	v_addc_co_u32_e32 v41, vcc, v41, v49, vcc
	v_add_co_u32_e32 v50, vcc, v48, v34
	v_addc_co_u32_e32 v51, vcc, v41, v35, vcc
	global_load_dwordx4 v[46:49], v[46:47], off
	s_nop 0
	global_load_dwordx4 v[64:67], v[50:51], off
	v_lshlrev_b64 v[50:51], 2, v[52:53]
	v_mov_b32_e32 v41, s1
	v_add_co_u32_e32 v50, vcc, s0, v50
	v_addc_co_u32_e32 v41, vcc, v41, v51, vcc
	v_add_co_u32_e32 v50, vcc, v50, v34
	v_addc_co_u32_e32 v51, vcc, v41, v35, vcc
	v_lshlrev_b64 v[52:53], 2, v[54:55]
	v_mov_b32_e32 v41, s1
	v_add_co_u32_e32 v52, vcc, s0, v52
	v_addc_co_u32_e32 v41, vcc, v41, v53, vcc
	v_add_co_u32_e32 v54, vcc, v52, v34
	v_addc_co_u32_e32 v55, vcc, v41, v35, vcc
	global_load_dwordx4 v[50:53], v[50:51], off
	s_nop 0
	global_load_dwordx4 v[68:71], v[54:55], off
	v_lshlrev_b64 v[54:55], 2, v[56:57]
	v_mov_b32_e32 v41, s1
	v_add_co_u32_e32 v54, vcc, s0, v54
	v_addc_co_u32_e32 v41, vcc, v41, v55, vcc
	v_add_co_u32_e32 v54, vcc, v54, v34
	v_addc_co_u32_e32 v55, vcc, v41, v35, vcc
	v_lshlrev_b64 v[58:59], 2, v[58:59]
	v_mov_b32_e32 v41, s1
	v_add_co_u32_e32 v58, vcc, s0, v58
	v_addc_co_u32_e32 v41, vcc, v41, v59, vcc
	v_add_co_u32_e32 v58, vcc, v58, v34
	v_addc_co_u32_e32 v59, vcc, v41, v35, vcc
	global_load_dwordx4 v[54:57], v[54:55], off
	v_lshlrev_b32_e32 v38, 1, v38
	global_load_dwordx4 v[72:75], v[58:59], off
	v_add3_u32 v38, 0, v134, v38
	s_waitcnt vmcnt(8)
	ds_write_b32 v38, v39 offset:33792
	v_lshlrev_b32_e32 v38, 2, v40
	v_add3_u32 v39, 0, v95, v38
	v_add3_u32 v40, 0, v96, v38
	;; [unrolled: 1-line block ×3, first 2 shown]
	s_mov_b32 s0, 0x3f200000
	s_waitcnt vmcnt(7)
	ds_write_b128 v39, v[42:45]
	s_waitcnt vmcnt(6)
	ds_write_b128 v40, v[60:63]
	v_add3_u32 v42, 0, v101, v38
	v_add3_u32 v43, 0, v110, v38
	;; [unrolled: 1-line block ×4, first 2 shown]
	s_waitcnt vmcnt(5)
	ds_write_b128 v41, v[46:49]
	v_add3_u32 v46, 0, v120, v38
	v_add_u32_e32 v38, 0, v123
	v_add3_u32 v47, v38, v91, v92
	s_waitcnt vmcnt(4)
	ds_write_b128 v42, v[64:67]
	s_waitcnt vmcnt(3)
	ds_write_b128 v43, v[50:53]
	;; [unrolled: 2-line block ×5, first 2 shown]
	s_waitcnt lgkmcnt(0)
	s_barrier
	ds_read2_b64 v[48:51], v47 offset1:4
	s_waitcnt lgkmcnt(0)
	v_mfma_f32_16x16x16f16 a[0:3], v[48:49], v[28:29], 0
	v_mfma_f32_16x16x16f16 a[0:3], v[50:51], v[30:31], a[0:3]
	ds_read2_b64 v[28:31], v47 offset0:8 offset1:12
	s_waitcnt lgkmcnt(0)
	v_mfma_f32_16x16x16f16 a[0:3], v[28:29], v[24:25], a[0:3]
	v_mfma_f32_16x16x16f16 a[0:3], v[30:31], v[26:27], a[0:3]
	ds_read2_b64 v[24:27], v47 offset0:16 offset1:20
	s_waitcnt lgkmcnt(0)
	v_mfma_f32_16x16x16f16 a[0:3], v[24:25], v[20:21], a[0:3]
	v_mfma_f32_16x16x16f16 a[0:3], v[26:27], v[22:23], a[0:3]
	ds_read2_b64 v[20:23], v47 offset0:24 offset1:28
	s_waitcnt lgkmcnt(0)
	v_mfma_f32_16x16x16f16 a[0:3], v[20:21], v[16:17], a[0:3]
	v_mfma_f32_16x16x16f16 a[0:3], v[22:23], v[18:19], a[0:3]
	ds_read2_b64 v[16:19], v47 offset0:32 offset1:36
	s_waitcnt lgkmcnt(0)
	v_mfma_f32_16x16x16f16 a[0:3], v[16:17], v[12:13], a[0:3]
	v_mfma_f32_16x16x16f16 a[0:3], v[18:19], v[14:15], a[0:3]
	ds_read2_b64 v[12:15], v47 offset0:40 offset1:44
	s_waitcnt lgkmcnt(0)
	v_mfma_f32_16x16x16f16 a[0:3], v[12:13], v[8:9], a[0:3]
	v_mfma_f32_16x16x16f16 a[0:3], v[14:15], v[10:11], a[0:3]
	ds_read2_b64 v[8:11], v47 offset0:48 offset1:52
	s_waitcnt lgkmcnt(0)
	v_mfma_f32_16x16x16f16 a[0:3], v[8:9], v[4:5], a[0:3]
	v_mfma_f32_16x16x16f16 a[0:3], v[10:11], v[6:7], a[0:3]
	ds_read2_b64 v[4:7], v47 offset0:56 offset1:60
	s_waitcnt lgkmcnt(0)
	s_barrier
	v_mfma_f32_16x16x16f16 a[0:3], v[4:5], v[0:1], a[0:3]
                                        ; implicit-def: $vgpr4
	v_mfma_f32_16x16x16f16 a[0:3], v[6:7], v[2:3], a[0:3]
	s_nop 7
	s_nop 2
	v_accvgpr_read_b32 v5, a0
	v_cmp_nlt_f32_e64 s[0:1], |v5|, s0
	s_and_saveexec_b64 s[4:5], s[0:1]
	s_xor_b64 s[0:1], exec, s[4:5]
	s_cbranch_execz .LBB30_348
; %bb.347:
	v_add_f32_e64 v0, |v5|, |v5|
	v_mul_f32_e32 v1, 0x3fb8aa3b, v0
	s_mov_b32 s3, 0x3fb8aa3b
	v_rndne_f32_e32 v2, v1
	v_sub_f32_e32 v3, v1, v2
	v_fma_f32 v1, v0, s3, -v1
	v_fmac_f32_e32 v1, 0x32a5705f, v0
	v_add_f32_e32 v1, v3, v1
	v_exp_f32_e32 v1, v1
	v_cvt_i32_f32_e32 v2, v2
	s_mov_b32 s3, 0xc2ce8ed0
	v_cmp_ngt_f32_e32 vcc, s3, v0
	s_mov_b32 s3, 0x42b17218
	v_ldexp_f32 v1, v1, v2
	v_cndmask_b32_e32 v1, 0, v1, vcc
	v_mov_b32_e32 v2, 0x7f800000
	v_cmp_nlt_f32_e32 vcc, s3, v0
	v_cndmask_b32_e32 v0, v2, v1, vcc
	v_add_f32_e32 v0, 1.0, v0
	v_rcp_f32_e32 v0, v0
                                        ; implicit-def: $vgpr5
	v_fma_f32 v4, v0, -2.0, 1.0
.LBB30_348:
	s_or_saveexec_b64 s[0:1], s[0:1]
	v_accvgpr_read_b32 v0, a0
	v_accvgpr_read_b32 v1, a1
	;; [unrolled: 1-line block ×4, first 2 shown]
	s_xor_b64 exec, exec, s[0:1]
; %bb.349:
	v_mul_f32_e32 v4, v5, v5
	v_mov_b32_e32 v6, 0x3ca908c9
	v_fmac_f32_e32 v6, 0xbbbac73d, v4
	v_mov_b32_e32 v7, 0xbd5c1c4e
	v_fmac_f32_e32 v7, v4, v6
	;; [unrolled: 2-line block ×4, first 2 shown]
	v_mul_f32_e64 v6, |v5|, v7
	v_fma_f32 v4, v4, v6, |v5|
; %bb.350:
	s_or_b64 exec, exec, s[0:1]
	s_mov_b32 s0, 0x3f200000
	v_cmp_nlt_f32_e64 s[0:1], |v1|, s0
                                        ; implicit-def: $vgpr5
	s_and_saveexec_b64 s[4:5], s[0:1]
	s_xor_b64 s[0:1], exec, s[4:5]
	s_cbranch_execz .LBB30_352
; %bb.351:
	v_add_f32_e64 v5, |v1|, |v1|
	v_mul_f32_e32 v6, 0x3fb8aa3b, v5
	s_mov_b32 s3, 0x3fb8aa3b
	v_rndne_f32_e32 v7, v6
	v_sub_f32_e32 v8, v6, v7
	v_fma_f32 v6, v5, s3, -v6
	v_fmac_f32_e32 v6, 0x32a5705f, v5
	v_add_f32_e32 v6, v8, v6
	v_exp_f32_e32 v6, v6
	v_cvt_i32_f32_e32 v7, v7
	s_mov_b32 s3, 0xc2ce8ed0
	v_cmp_ngt_f32_e32 vcc, s3, v5
	s_mov_b32 s3, 0x42b17218
	v_ldexp_f32 v6, v6, v7
	v_cndmask_b32_e32 v6, 0, v6, vcc
	v_mov_b32_e32 v7, 0x7f800000
	v_cmp_nlt_f32_e32 vcc, s3, v5
	v_cndmask_b32_e32 v5, v7, v6, vcc
	v_add_f32_e32 v5, 1.0, v5
	v_rcp_f32_e32 v5, v5
	v_fma_f32 v5, v5, -2.0, 1.0
.LBB30_352:
	s_andn2_saveexec_b64 s[0:1], s[0:1]
; %bb.353:
	v_mul_f32_e32 v5, v1, v1
	v_mov_b32_e32 v6, 0x3ca908c9
	v_fmac_f32_e32 v6, 0xbbbac73d, v5
	v_mov_b32_e32 v7, 0xbd5c1c4e
	v_fmac_f32_e32 v7, v5, v6
	;; [unrolled: 2-line block ×4, first 2 shown]
	v_mul_f32_e64 v6, |v1|, v7
	v_fma_f32 v5, v5, v6, |v1|
; %bb.354:
	s_or_b64 exec, exec, s[0:1]
	s_mov_b32 s0, 0x3f200000
	v_cmp_nlt_f32_e64 s[0:1], |v2|, s0
                                        ; implicit-def: $vgpr6
	s_and_saveexec_b64 s[4:5], s[0:1]
	s_xor_b64 s[0:1], exec, s[4:5]
	s_cbranch_execz .LBB30_356
; %bb.355:
	v_add_f32_e64 v6, |v2|, |v2|
	v_mul_f32_e32 v7, 0x3fb8aa3b, v6
	s_mov_b32 s3, 0x3fb8aa3b
	v_rndne_f32_e32 v8, v7
	v_sub_f32_e32 v9, v7, v8
	v_fma_f32 v7, v6, s3, -v7
	v_fmac_f32_e32 v7, 0x32a5705f, v6
	v_add_f32_e32 v7, v9, v7
	v_exp_f32_e32 v7, v7
	v_cvt_i32_f32_e32 v8, v8
	s_mov_b32 s3, 0xc2ce8ed0
	v_cmp_ngt_f32_e32 vcc, s3, v6
	s_mov_b32 s3, 0x42b17218
	v_ldexp_f32 v7, v7, v8
	v_cndmask_b32_e32 v7, 0, v7, vcc
	v_mov_b32_e32 v8, 0x7f800000
	v_cmp_nlt_f32_e32 vcc, s3, v6
	v_cndmask_b32_e32 v6, v8, v7, vcc
	v_add_f32_e32 v6, 1.0, v6
	v_rcp_f32_e32 v6, v6
	v_fma_f32 v6, v6, -2.0, 1.0
.LBB30_356:
	s_andn2_saveexec_b64 s[0:1], s[0:1]
; %bb.357:
	v_mul_f32_e32 v6, v2, v2
	v_mov_b32_e32 v7, 0x3ca908c9
	v_fmac_f32_e32 v7, 0xbbbac73d, v6
	v_mov_b32_e32 v8, 0xbd5c1c4e
	v_fmac_f32_e32 v8, v6, v7
	v_mov_b32_e32 v7, 0x3e088382
	v_fmac_f32_e32 v7, v6, v8
	v_mov_b32_e32 v8, 0xbeaaaa99
	v_fmac_f32_e32 v8, v6, v7
	v_mul_f32_e64 v7, |v2|, v8
	v_fma_f32 v6, v6, v7, |v2|
; %bb.358:
	s_or_b64 exec, exec, s[0:1]
	s_mov_b32 s0, 0x3f200000
	v_cmp_nlt_f32_e64 s[0:1], |v3|, s0
                                        ; implicit-def: $vgpr7
	s_and_saveexec_b64 s[4:5], s[0:1]
	s_xor_b64 s[0:1], exec, s[4:5]
	s_cbranch_execz .LBB30_360
; %bb.359:
	v_add_f32_e64 v7, |v3|, |v3|
	v_mul_f32_e32 v8, 0x3fb8aa3b, v7
	s_mov_b32 s3, 0x3fb8aa3b
	v_rndne_f32_e32 v9, v8
	v_sub_f32_e32 v10, v8, v9
	v_fma_f32 v8, v7, s3, -v8
	v_fmac_f32_e32 v8, 0x32a5705f, v7
	v_add_f32_e32 v8, v10, v8
	v_exp_f32_e32 v8, v8
	v_cvt_i32_f32_e32 v9, v9
	s_mov_b32 s3, 0xc2ce8ed0
	v_cmp_ngt_f32_e32 vcc, s3, v7
	s_mov_b32 s3, 0x42b17218
	v_ldexp_f32 v8, v8, v9
	v_cndmask_b32_e32 v8, 0, v8, vcc
	v_mov_b32_e32 v9, 0x7f800000
	v_cmp_nlt_f32_e32 vcc, s3, v7
	v_cndmask_b32_e32 v7, v9, v8, vcc
	v_add_f32_e32 v7, 1.0, v7
	v_rcp_f32_e32 v7, v7
	v_fma_f32 v7, v7, -2.0, 1.0
.LBB30_360:
	s_andn2_saveexec_b64 s[0:1], s[0:1]
; %bb.361:
	v_mul_f32_e32 v7, v3, v3
	v_mov_b32_e32 v8, 0x3ca908c9
	v_fmac_f32_e32 v8, 0xbbbac73d, v7
	v_mov_b32_e32 v9, 0xbd5c1c4e
	v_fmac_f32_e32 v9, v7, v8
	v_mov_b32_e32 v8, 0x3e088382
	v_fmac_f32_e32 v8, v7, v9
	v_mov_b32_e32 v9, 0xbeaaaa99
	v_fmac_f32_e32 v9, v7, v8
	v_mul_f32_e64 v8, |v3|, v9
	v_fma_f32 v7, v7, v8, |v3|
; %bb.362:
	s_or_b64 exec, exec, s[0:1]
	s_brev_b32 s0, -2
	v_bfi_b32 v1, s0, v5, v1
	v_bfi_b32 v0, s0, v4, v0
	v_bfi_b32 v3, s0, v7, v3
	v_bfi_b32 v2, s0, v6, v2
	v_and_b32_e32 v47, 0xfc, v81
	v_lshrrev_b32_e32 v4, 1, v94
	s_movk_i32 s0, 0x90
	v_mad_u32_u24 v4, v4, s0, 0
	v_add_lshl_u32 v5, v89, v47, 1
	s_mov_b32 s0, 0x8400
	v_add3_u32 v4, v4, v5, s0
	ds_read2_b32 v[4:5], v4 offset1:1
	v_mbcnt_hi_u32_b32 v10, -1, v93
	v_and_b32_e32 v6, 64, v10
	v_add_u32_e32 v11, 64, v6
	v_xor_b32_e32 v6, 32, v10
	v_cmp_lt_i32_e32 vcc, v6, v11
	v_cndmask_b32_e32 v8, v10, v6, vcc
	v_lshlrev_b32_e32 v65, 2, v8
	s_waitcnt lgkmcnt(0)
	v_cvt_f32_f16_e32 v8, v4
	v_cvt_f32_f16_sdwa v9, v4 dst_sel:DWORD dst_unused:UNUSED_PAD src0_sel:WORD_1
	v_cvt_f32_f16_e32 v6, v5
	v_cvt_f32_f16_sdwa v7, v5 dst_sel:DWORD dst_unused:UNUSED_PAD src0_sel:WORD_1
	s_mov_b32 s0, 0x3fb8aa3b
	v_pk_fma_f32 v[4:5], v[0:1], s[34:35], v[8:9] op_sel_hi:[1,0,1]
	v_add_f32_e32 v0, 0x40051340, v4
	v_pk_fma_f32 v[2:3], v[2:3], s[34:35], v[6:7] op_sel_hi:[1,0,1]
	v_add_f32_e32 v1, 0x40051340, v5
	v_add_f32_e32 v6, 0x40051340, v2
	;; [unrolled: 1-line block ×3, first 2 shown]
	v_max3_f32 v0, v32, v0, v1
	v_max3_f32 v0, v0, v6, v7
	ds_bpermute_b32 v1, v65, v0
	v_xor_b32_e32 v6, 16, v10
	v_cmp_lt_i32_e32 vcc, v6, v11
	v_cndmask_b32_e32 v6, v10, v6, vcc
	v_lshlrev_b32_e32 v67, 2, v6
	s_waitcnt lgkmcnt(0)
	v_max_f32_e32 v1, v1, v1
	v_max_f32_e32 v0, v0, v1
	ds_bpermute_b32 v1, v67, v0
	s_mul_hi_i32 s3, s2, s30
	s_mul_i32 s2, s2, s30
	s_lshl_b64 s[2:3], s[2:3], 2
	s_add_u32 s1, s6, s2
	s_waitcnt lgkmcnt(0)
	v_max_f32_e32 v1, v1, v1
	v_max_f32_e32 v0, v0, v1
	v_pk_add_f32 v[4:5], v[4:5], v[0:1] op_sel_hi:[1,0] neg_lo:[0,1] neg_hi:[0,1]
	v_mul_f32_e32 v1, 0x3fb8aa3b, v5
	v_fma_f32 v6, v5, s0, -v1
	v_rndne_f32_e32 v7, v1
	v_fmac_f32_e32 v6, 0x32a5705f, v5
	v_sub_f32_e32 v1, v1, v7
	v_add_f32_e32 v1, v1, v6
	v_exp_f32_e32 v1, v1
	v_cvt_i32_f32_e32 v6, v7
	s_addc_u32 s2, s7, s3
	v_mov_b32_e32 v8, s2
	v_mov_b32_e32 v48, s2
	v_ldexp_f32 v1, v1, v6
	v_lshlrev_b64 v[6:7], 2, v[36:37]
	v_add_co_u32_e32 v6, vcc, s1, v6
	v_addc_co_u32_e32 v7, vcc, v8, v7, vcc
	v_add_co_u32_e32 v14, vcc, v6, v34
	v_mul_lo_u32 v6, v82, s30
	v_addc_co_u32_e32 v15, vcc, v7, v35, vcc
	v_ashrrev_i32_e32 v7, 31, v6
	v_lshlrev_b64 v[6:7], 2, v[6:7]
	v_add_co_u32_e32 v6, vcc, s1, v6
	v_addc_co_u32_e32 v7, vcc, v8, v7, vcc
	v_add_co_u32_e32 v16, vcc, v6, v34
	v_addc_co_u32_e32 v17, vcc, v7, v35, vcc
	global_load_dwordx4 v[6:9], v[14:15], off
	global_load_dwordx4 v[10:13], v[16:17], off
	v_mul_lo_u32 v14, v83, s30
	v_ashrrev_i32_e32 v15, 31, v14
	v_lshlrev_b64 v[14:15], 2, v[14:15]
	v_mov_b32_e32 v16, s2
	v_add_co_u32_e32 v14, vcc, s1, v14
	v_addc_co_u32_e32 v15, vcc, v16, v15, vcc
	v_add_co_u32_e32 v22, vcc, v14, v34
	v_mul_lo_u32 v14, v84, s30
	v_addc_co_u32_e32 v23, vcc, v15, v35, vcc
	v_ashrrev_i32_e32 v15, 31, v14
	v_lshlrev_b64 v[14:15], 2, v[14:15]
	v_add_co_u32_e32 v14, vcc, s1, v14
	v_addc_co_u32_e32 v15, vcc, v16, v15, vcc
	v_add_co_u32_e32 v24, vcc, v14, v34
	v_addc_co_u32_e32 v25, vcc, v15, v35, vcc
	global_load_dwordx4 v[14:17], v[22:23], off
	global_load_dwordx4 v[18:21], v[24:25], off
	v_mul_lo_u32 v22, v85, s30
	v_ashrrev_i32_e32 v23, 31, v22
	v_lshlrev_b64 v[22:23], 2, v[22:23]
	v_mov_b32_e32 v24, s2
	;; [unrolled: 17-line block ×3, first 2 shown]
	v_add_co_u32_e32 v30, vcc, s1, v30
	v_addc_co_u32_e32 v31, vcc, v36, v31, vcc
	v_mul_lo_u32 v36, v88, s30
	v_add_co_u32_e32 v30, vcc, v30, v34
	v_ashrrev_i32_e32 v37, 31, v36
	v_addc_co_u32_e32 v31, vcc, v31, v35, vcc
	v_lshlrev_b64 v[36:37], 2, v[36:37]
	v_add_co_u32_e32 v36, vcc, s1, v36
	v_addc_co_u32_e32 v37, vcc, v48, v37, vcc
	v_add_co_u32_e32 v52, vcc, v36, v34
	v_addc_co_u32_e32 v53, vcc, v37, v35, vcc
	global_load_dwordx4 v[34:37], v[30:31], off
	global_load_dwordx4 v[48:51], v[52:53], off
	v_mul_f32_e32 v30, 0x3fb8aa3b, v4
	v_fma_f32 v31, v4, s0, -v30
	v_rndne_f32_e32 v52, v30
	v_fmac_f32_e32 v31, 0x32a5705f, v4
	v_sub_f32_e32 v30, v30, v52
	s_mov_b32 s1, 0xc2ce8ed0
	v_add_f32_e32 v30, v30, v31
	v_cmp_ngt_f32_e32 vcc, s1, v5
	s_mov_b32 s2, 0x42b17218
	v_exp_f32_e32 v30, v30
	v_cvt_i32_f32_e32 v31, v52
	v_cndmask_b32_e32 v1, 0, v1, vcc
	v_mov_b32_e32 v52, 0x7f800000
	v_cmp_nlt_f32_e32 vcc, s2, v5
	v_cndmask_b32_e32 v1, v52, v1, vcc
	v_pk_add_f32 v[2:3], v[2:3], v[0:1] op_sel_hi:[1,0] neg_lo:[0,1] neg_hi:[0,1]
	v_ldexp_f32 v5, v30, v31
	v_mul_f32_e32 v30, 0x3fb8aa3b, v3
	v_fma_f32 v31, v3, s0, -v30
	v_rndne_f32_e32 v53, v30
	v_fmac_f32_e32 v31, 0x32a5705f, v3
	v_sub_f32_e32 v30, v30, v53
	v_add_f32_e32 v30, v30, v31
	v_exp_f32_e32 v30, v30
	v_cvt_i32_f32_e32 v31, v53
	v_cmp_ngt_f32_e32 vcc, s1, v4
	v_cndmask_b32_e32 v5, 0, v5, vcc
	v_cmp_nlt_f32_e32 vcc, s2, v4
	v_cndmask_b32_e32 v53, v52, v5, vcc
	v_mul_f32_e32 v5, 0x3fb8aa3b, v2
	v_ldexp_f32 v4, v30, v31
	v_fma_f32 v30, v2, s0, -v5
	v_rndne_f32_e32 v31, v5
	v_fmac_f32_e32 v30, 0x32a5705f, v2
	v_sub_f32_e32 v5, v5, v31
	v_add_f32_e32 v5, v5, v30
	v_cvt_i32_f32_e32 v30, v31
	v_sub_f32_e32 v31, v32, v0
	v_mul_f32_e32 v32, 0x3fb8aa3b, v31
	v_fma_f32 v54, v31, s0, -v32
	v_rndne_f32_e32 v55, v32
	v_fmac_f32_e32 v54, 0x32a5705f, v31
	v_sub_f32_e32 v32, v32, v55
	v_add_f32_e32 v32, v32, v54
	v_exp_f32_e32 v32, v32
	v_cvt_i32_f32_e32 v54, v55
	v_cmp_ngt_f32_e32 vcc, s1, v3
	v_cndmask_b32_e32 v4, 0, v4, vcc
	v_exp_f32_e32 v5, v5
	v_cmp_nlt_f32_e32 vcc, s2, v3
	v_cndmask_b32_e32 v55, v52, v4, vcc
	v_ldexp_f32 v4, v32, v54
	v_cmp_ngt_f32_e32 vcc, s1, v31
	v_cndmask_b32_e32 v4, 0, v4, vcc
	v_cmp_nlt_f32_e32 vcc, s2, v31
	s_mov_b32 s0, 0xc1a00000
	v_cndmask_b32_e32 v4, v52, v4, vcc
	v_cmp_le_f32_e32 vcc, s0, v31
	v_ldexp_f32 v3, v5, v30
	v_cndmask_b32_e32 v30, 0, v4, vcc
	v_cvt_f16_f32_e32 v31, v30
	v_cmp_ngt_f32_e32 vcc, s1, v2
	v_cndmask_b32_e32 v3, 0, v3, vcc
	v_cmp_nlt_f32_e32 vcc, s2, v2
	s_waitcnt vmcnt(7)
	ds_write_b128 v39, v[6:9]
	s_waitcnt vmcnt(6)
	ds_write_b128 v40, v[10:13]
	;; [unrolled: 2-line block ×8, first 2 shown]
	v_mul_u32_u24_e32 v4, 0x108, v47
	v_mul_u32_u24_e32 v5, 0x210, v47
	v_or_b32_e32 v6, 3, v81
	v_cndmask_b32_e32 v32, v52, v3, vcc
	v_pk_mul_f16 v2, v31, v137 op_sel_hi:[0,1]
	v_pk_mul_f16 v3, v31, v138 op_sel_hi:[0,1]
	v_or_b32_e32 v4, v4, v77
	v_mul_u32_u24_e32 v6, 0x210, v6
	v_add3_u32 v11, v38, v5, v80
	s_waitcnt lgkmcnt(0)
	s_barrier
	v_lshl_add_u32 v10, v4, 1, v38
	v_add3_u32 v12, v38, v6, v80
	v_cvt_f32_f16_e32 v4, v2
	v_cvt_f32_f16_sdwa v5, v2 dst_sel:DWORD dst_unused:UNUSED_PAD src0_sel:WORD_1
	v_cvt_f32_f16_e32 v6, v3
	v_cvt_f32_f16_sdwa v7, v3 dst_sel:DWORD dst_unused:UNUSED_PAD src0_sel:WORD_1
	s_mov_b32 s0, 0x5040100
	ds_read_u16 v2, v11 offset:1056
	ds_read_u16 v13, v11 offset:1088
	;; [unrolled: 1-line block ×8, first 2 shown]
	ds_read_u16 v3, v12
	ds_read_u16 v20, v12 offset:32
	ds_read_u16 v21, v12 offset:64
	;; [unrolled: 1-line block ×7, first 2 shown]
	v_cvt_f16_f32_e32 v54, v1
	v_cvt_f16_f32_e32 v56, v53
	;; [unrolled: 1-line block ×4, first 2 shown]
	s_waitcnt lgkmcnt(7)
	v_perm_b32 v9, v3, v2, s0
	ds_read_u16 v2, v10
	ds_read_u16 v27, v10 offset:32
	ds_read_u16 v28, v10 offset:64
	;; [unrolled: 1-line block ×15, first 2 shown]
	s_waitcnt lgkmcnt(7)
	v_perm_b32 v8, v3, v2, s0
	v_pk_mul_f16 v52, v31, v139 op_sel_hi:[0,1]
	v_accvgpr_write_b32 a0, v4
	v_pk_mul_f16 v45, v31, v118 op_sel_hi:[0,1]
	v_pack_b32_f16 v2, v56, v54
	v_pack_b32_f16 v3, v58, v57
	v_accvgpr_write_b32 a1, v5
	v_accvgpr_write_b32 a2, v6
	;; [unrolled: 1-line block ×3, first 2 shown]
	v_cvt_f32_f16_e32 v4, v52
	v_cvt_f32_f16_sdwa v5, v52 dst_sel:DWORD dst_unused:UNUSED_PAD src0_sel:WORD_1
	v_mfma_f32_16x16x16f16 a[0:3], v[8:9], v[2:3], a[0:3]
	v_cvt_f32_f16_e32 v6, v45
	v_cvt_f32_f16_sdwa v7, v45 dst_sel:DWORD dst_unused:UNUSED_PAD src0_sel:WORD_1
	v_perm_b32 v9, v20, v13, s0
	s_waitcnt lgkmcnt(6)
	v_perm_b32 v8, v38, v27, s0
	v_pk_mul_f16 v20, v31, v125 op_sel_hi:[0,1]
	v_accvgpr_write_b32 a4, v4
	v_pk_mul_f16 v13, v31, v119 op_sel_hi:[0,1]
	v_accvgpr_write_b32 a5, v5
	v_accvgpr_write_b32 a6, v6
	v_accvgpr_write_b32 a7, v7
	v_cvt_f32_f16_sdwa v7, v20 dst_sel:DWORD dst_unused:UNUSED_PAD src0_sel:WORD_1
	v_cvt_f32_f16_e32 v4, v13
	v_mfma_f32_16x16x16f16 a[4:7], v[8:9], v[2:3], a[4:7]
	v_cvt_f32_f16_sdwa v5, v13 dst_sel:DWORD dst_unused:UNUSED_PAD src0_sel:WORD_1
	v_cvt_f32_f16_e32 v6, v20
	v_perm_b32 v9, v21, v14, s0
	s_waitcnt lgkmcnt(5)
	v_perm_b32 v8, v39, v28, s0
	v_pk_mul_f16 v14, v31, v121 op_sel_hi:[0,1]
	v_accvgpr_write_b32 a11, v7
	v_pk_mul_f16 v13, v31, v122 op_sel_hi:[0,1]
	v_accvgpr_write_b32 a10, v6
	v_accvgpr_write_b32 a9, v5
	v_accvgpr_write_b32 a8, v4
	v_cvt_f32_f16_sdwa v7, v14 dst_sel:DWORD dst_unused:UNUSED_PAD src0_sel:WORD_1
	v_cvt_f32_f16_e32 v4, v13
	v_mfma_f32_16x16x16f16 a[8:11], v[8:9], v[2:3], a[8:11]
	v_cvt_f32_f16_sdwa v5, v13 dst_sel:DWORD dst_unused:UNUSED_PAD src0_sel:WORD_1
	v_cvt_f32_f16_e32 v6, v14
	;; [unrolled: 14-line block ×6, first 2 shown]
	v_perm_b32 v9, v26, v19, s0
	s_waitcnt lgkmcnt(0)
	v_perm_b32 v8, v44, v37, s0
	v_accvgpr_write_b32 a31, v7
	v_pk_mul_f16 v13, v31, v132 op_sel_hi:[0,1]
	v_pk_mul_f16 v14, v31, v135 op_sel_hi:[0,1]
	v_accvgpr_write_b32 a30, v6
	v_accvgpr_write_b32 a29, v5
	;; [unrolled: 1-line block ×3, first 2 shown]
	v_cvt_f32_f16_e32 v4, v13
	v_cvt_f32_f16_sdwa v5, v13 dst_sel:DWORD dst_unused:UNUSED_PAD src0_sel:WORD_1
	v_mfma_f32_16x16x16f16 a[28:31], v[8:9], v[2:3], a[28:31]
	v_cvt_f32_f16_e32 v6, v14
	v_cvt_f32_f16_sdwa v7, v14 dst_sel:DWORD dst_unused:UNUSED_PAD src0_sel:WORD_1
	ds_read_u16 v8, v11 offset:1312
	ds_read_u16 v13, v11 offset:1344
	;; [unrolled: 1-line block ×16, first 2 shown]
	s_waitcnt lgkmcnt(7)
	v_perm_b32 v9, v9, v8, s0
	ds_read_u16 v8, v10 offset:256
	ds_read_u16 v26, v10 offset:288
	;; [unrolled: 1-line block ×16, first 2 shown]
	s_waitcnt lgkmcnt(7)
	v_perm_b32 v8, v36, v8, s0
	v_pk_mul_f16 v43, v31, v98 op_sel_hi:[0,1]
	v_accvgpr_write_b32 a35, v7
	v_pk_mul_f16 v36, v31, v99 op_sel_hi:[0,1]
	v_accvgpr_write_b32 a34, v6
	v_accvgpr_write_b32 a33, v5
	v_accvgpr_write_b32 a32, v4
	v_cvt_f32_f16_sdwa v7, v43 dst_sel:DWORD dst_unused:UNUSED_PAD src0_sel:WORD_1
	v_cvt_f32_f16_e32 v4, v36
	v_mfma_f32_16x16x16f16 a[32:35], v[8:9], v[2:3], a[32:35]
	v_cvt_f32_f16_sdwa v5, v36 dst_sel:DWORD dst_unused:UNUSED_PAD src0_sel:WORD_1
	v_cvt_f32_f16_e32 v6, v43
	v_perm_b32 v9, v20, v13, s0
	s_waitcnt lgkmcnt(6)
	v_perm_b32 v8, v37, v26, s0
	v_pk_mul_f16 v20, v31, v106 op_sel_hi:[0,1]
	v_accvgpr_write_b32 a39, v7
	v_pk_mul_f16 v13, v31, v100 op_sel_hi:[0,1]
	v_accvgpr_write_b32 a38, v6
	v_accvgpr_write_b32 a37, v5
	v_accvgpr_write_b32 a36, v4
	v_cvt_f32_f16_sdwa v7, v20 dst_sel:DWORD dst_unused:UNUSED_PAD src0_sel:WORD_1
	v_cvt_f32_f16_e32 v4, v13
	v_mfma_f32_16x16x16f16 a[36:39], v[8:9], v[2:3], a[36:39]
	v_cvt_f32_f16_sdwa v5, v13 dst_sel:DWORD dst_unused:UNUSED_PAD src0_sel:WORD_1
	v_cvt_f32_f16_e32 v6, v20
	v_perm_b32 v9, v21, v14, s0
	;; [unrolled: 14-line block ×6, first 2 shown]
	s_waitcnt lgkmcnt(1)
	v_perm_b32 v8, v42, v35, s0
	v_add_f32_e32 v1, v53, v1
	v_pk_mul_f16 v14, v31, v90 op_sel_hi:[0,1]
	v_accvgpr_write_b32 a59, v7
	v_add_f32_e32 v1, v32, v1
	v_pk_mul_f16 v13, v31, v113 op_sel_hi:[0,1]
	v_accvgpr_write_b32 a58, v6
	v_accvgpr_write_b32 a57, v5
	;; [unrolled: 1-line block ×3, first 2 shown]
	v_cvt_f32_f16_sdwa v7, v14 dst_sel:DWORD dst_unused:UNUSED_PAD src0_sel:WORD_1
	v_add_f32_e32 v1, v55, v1
	v_mfma_f32_16x16x16f16 a[56:59], v[8:9], v[2:3], a[56:59]
	v_cvt_f32_f16_e32 v4, v13
	v_cvt_f32_f16_sdwa v5, v13 dst_sel:DWORD dst_unused:UNUSED_PAD src0_sel:WORD_1
	v_cvt_f32_f16_e32 v6, v14
	v_perm_b32 v9, v12, v19, s0
	s_waitcnt lgkmcnt(0)
	v_perm_b32 v8, v11, v10, s0
	v_fmac_f32_e32 v1, v33, v30
	ds_bpermute_b32 v10, v65, v1
	v_accvgpr_write_b32 a63, v7
	v_accvgpr_write_b32 a62, v6
	;; [unrolled: 1-line block ×4, first 2 shown]
	s_waitcnt lgkmcnt(0)
	v_add_f32_e32 v1, v1, v10
	s_movk_i32 s4, 0x210
	v_mfma_f32_16x16x16f16 a[60:63], v[8:9], v[2:3], a[60:63]
	ds_bpermute_b32 v2, v67, v1
	v_cmp_gt_u32_e64 s[0:1], 16, v76
	s_waitcnt lgkmcnt(0)
	s_barrier
	s_and_saveexec_b64 s[2:3], s[0:1]
	s_cbranch_execz .LBB30_364
; %bb.363:
	v_add_f32_e32 v1, v1, v2
	v_or_b32_e32 v2, v79, v76
	v_mad_i32_i24 v2, v2, s4, 0
	ds_write2_b32 v2, v0, v1 offset0:128 offset1:129
.LBB30_364:
	s_or_b64 exec, exec, s[2:3]
	v_cmp_eq_u32_e32 vcc, 0, v217
	v_cmp_ne_u32_e64 s[2:3], 0, v217
	s_waitcnt lgkmcnt(0)
	s_barrier
	s_and_saveexec_b64 s[4:5], s[2:3]
	s_xor_b64 s[2:3], exec, s[4:5]
	s_cbranch_execz .LBB30_366
; %bb.365:
	s_barrier
	s_waitcnt lgkmcnt(0)
                                        ; implicit-def: $vgpr65
                                        ; implicit-def: $vgpr67
                                        ; implicit-def: $vgpr216
.LBB30_366:
	s_or_saveexec_b64 s[4:5], s[2:3]
	v_accvgpr_read_b32 v63, a3
	v_accvgpr_read_b32 v59, a7
	v_accvgpr_read_b32 v55, a11
	v_accvgpr_read_b32 v51, a15
	v_accvgpr_read_b32 v47, a19
	v_accvgpr_read_b32 v43, a23
	v_accvgpr_read_b32 v39, a27
	v_accvgpr_read_b32 v35, a31
	v_accvgpr_read_b32 v28, a32
	v_accvgpr_read_b32 v24, a36
	v_accvgpr_read_b32 v20, a40
	v_accvgpr_read_b32 v16, a44
	v_accvgpr_read_b32 v12, a48
	v_accvgpr_read_b32 v8, a52
	v_accvgpr_read_b32 v4, a56
	v_accvgpr_read_b32 v0, a60
	v_accvgpr_read_b32 v62, a2
	v_accvgpr_read_b32 v61, a1
	v_accvgpr_read_b32 v60, a0
	v_accvgpr_read_b32 v58, a6
	v_accvgpr_read_b32 v57, a5
	v_accvgpr_read_b32 v56, a4
	v_accvgpr_read_b32 v54, a10
	v_accvgpr_read_b32 v53, a9
	v_accvgpr_read_b32 v52, a8
	v_accvgpr_read_b32 v50, a14
	v_accvgpr_read_b32 v49, a13
	v_accvgpr_read_b32 v48, a12
	v_accvgpr_read_b32 v46, a18
	v_accvgpr_read_b32 v45, a17
	v_accvgpr_read_b32 v44, a16
	v_accvgpr_read_b32 v42, a22
	v_accvgpr_read_b32 v41, a21
	v_accvgpr_read_b32 v40, a20
	v_accvgpr_read_b32 v38, a26
	v_accvgpr_read_b32 v37, a25
	v_accvgpr_read_b32 v36, a24
	v_accvgpr_read_b32 v34, a30
	v_accvgpr_read_b32 v33, a29
	v_accvgpr_read_b32 v32, a28
	v_accvgpr_read_b32 v29, a33
	v_accvgpr_read_b32 v30, a34
	v_accvgpr_read_b32 v31, a35
	v_accvgpr_read_b32 v25, a37
	v_accvgpr_read_b32 v26, a38
	v_accvgpr_read_b32 v27, a39
	v_accvgpr_read_b32 v21, a41
	v_accvgpr_read_b32 v22, a42
	v_accvgpr_read_b32 v23, a43
	v_accvgpr_read_b32 v17, a45
	v_accvgpr_read_b32 v18, a46
	v_accvgpr_read_b32 v19, a47
	v_accvgpr_read_b32 v13, a49
	v_accvgpr_read_b32 v14, a50
	v_accvgpr_read_b32 v15, a51
	v_accvgpr_read_b32 v9, a53
	v_accvgpr_read_b32 v10, a54
	v_accvgpr_read_b32 v11, a55
	v_accvgpr_read_b32 v5, a57
	v_accvgpr_read_b32 v6, a58
	v_accvgpr_read_b32 v7, a59
	v_accvgpr_read_b32 v1, a61
	v_accvgpr_read_b32 v2, a62
	v_accvgpr_read_b32 v3, a63
	s_xor_b64 exec, exec, s[4:5]
	s_cbranch_execz .LBB30_370
; %bb.367:
	v_add_u32_e32 v64, v79, v76
	s_movk_i32 s2, 0x210
	v_mad_i32_i24 v70, v64, s2, 0
	ds_read_b64 v[68:69], v70 offset:512
	s_mov_b32 s2, 0x3fb8aa3b
	s_mov_b32 s6, 0x42b17218
	;; [unrolled: 1-line block ×3, first 2 shown]
	s_waitcnt lgkmcnt(0)
	ds_bpermute_b32 v64, v65, v68
	v_max_f32_e32 v66, v68, v68
	s_barrier
	s_waitcnt lgkmcnt(0)
	v_max_f32_e32 v64, v64, v64
	v_max_f32_e32 v64, v66, v64
	ds_bpermute_b32 v66, v67, v64
	s_waitcnt lgkmcnt(0)
	v_max_f32_e32 v66, v66, v66
	v_max_f32_e32 v64, v64, v66
	v_sub_f32_e32 v66, v68, v64
	v_mul_f32_e32 v68, 0x3fb8aa3b, v66
	v_fma_f32 v71, v66, s2, -v68
	v_rndne_f32_e32 v72, v68
	v_fmac_f32_e32 v71, 0x32a5705f, v66
	v_sub_f32_e32 v68, v68, v72
	v_add_f32_e32 v68, v68, v71
	v_cvt_i32_f32_e32 v72, v72
	v_exp_f32_e32 v68, v68
	s_mov_b32 s2, 0xc2ce8ed0
	v_cmp_ngt_f32_e64 s[2:3], s2, v66
	v_mov_b32_e32 v71, 0x7f800000
	v_ldexp_f32 v68, v68, v72
	v_cndmask_b32_e64 v68, 0, v68, s[2:3]
	v_cmp_nlt_f32_e64 s[2:3], s6, v66
	v_cndmask_b32_e64 v66, v71, v68, s[2:3]
	v_mul_f32_e32 v68, v69, v66
	ds_bpermute_b32 v65, v65, v68
	s_waitcnt lgkmcnt(0)
	v_fmac_f32_e32 v65, v69, v66
	ds_bpermute_b32 v67, v67, v65
	s_waitcnt lgkmcnt(0)
	v_add_f32_e32 v67, v65, v67
	ds_write_b64 v70, v[66:67] offset:512
	s_and_saveexec_b64 s[2:3], s[0:1]
	s_cbranch_execz .LBB30_369
; %bb.368:
	s_add_i32 s0, s41, s51
	s_lshl_b32 s8, s0, 4
	s_lshl_b64 s[0:1], s[8:9], 3
	s_add_u32 s0, s26, s0
	v_or_b32_e32 v65, v216, v76
	s_addc_u32 s1, s27, s1
	v_lshlrev_b32_e32 v66, 3, v65
	v_mov_b32_e32 v65, v67
	global_store_dwordx2 v66, v[64:65], s[0:1]
.LBB30_369:
	s_or_b64 exec, exec, s[2:3]
.LBB30_370:
	s_or_b64 exec, exec, s[4:5]
	v_cvt_f16_f32_e32 v0, v0
	v_cvt_f16_f32_e32 v1, v1
	;; [unrolled: 1-line block ×64, first 2 shown]
	v_pack_b32_f16 v0, v0, v1
	v_or_b32_e32 v1, v79, v77
	s_movk_i32 s0, 0x84
	v_mad_i32_i24 v1, v1, s0, v78
	v_pack_b32_f16 v62, v62, v63
	v_pack_b32_f16 v60, v60, v61
	s_mov_b32 s3, 0
	v_lshl_add_u32 v1, v1, 2, 0
	v_pack_b32_f16 v58, v58, v59
	v_pack_b32_f16 v56, v56, v57
	;; [unrolled: 1-line block ×29, first 2 shown]
	ds_write2_b32 v1, v60, v62 offset1:1
	ds_write2_b32 v1, v56, v58 offset0:8 offset1:9
	ds_write2_b32 v1, v52, v54 offset0:16 offset1:17
	;; [unrolled: 1-line block ×15, first 2 shown]
	s_waitcnt lgkmcnt(0)
	s_barrier
	s_and_saveexec_b64 s[0:1], vcc
	s_cbranch_execz .LBB30_372
; %bb.371:
	s_lshl_b32 s2, s41, 5
	s_lshl_b64 s[4:5], s[2:3], 3
	s_add_u32 s4, s26, s4
	s_addc_u32 s5, s27, s5
	s_lshl_b32 s2, s51, 11
	s_lshl_b64 s[2:3], s[2:3], 3
	s_add_u32 s2, s4, s2
	v_bfe_u32 v0, v105, 2, 4
	s_movk_i32 s4, 0x3c0
	v_and_or_b32 v0, v105, s4, v0
	s_movk_i32 s4, 0x210
	v_mad_u32_u24 v14, v0, s4, 0
	v_lshlrev_b32_e32 v0, 2, v76
	v_add_u32_e32 v1, v14, v0
	ds_read2st64_b32 v[2:3], v1 offset1:1
	ds_read2st64_b32 v[4:5], v14 offset0:2 offset1:35
	ds_read2st64_b32 v[6:7], v1 offset0:33 offset1:34
	;; [unrolled: 1-line block ×4, first 2 shown]
	s_waitcnt lgkmcnt(4)
	v_cvt_f32_f16_e32 v12, v2
	v_cvt_f32_f16_sdwa v13, v2 dst_sel:DWORD dst_unused:UNUSED_PAD src0_sel:WORD_1
	ds_read2st64_b32 v[14:15], v14 offset0:68 offset1:101
	s_waitcnt lgkmcnt(3)
	v_cvt_f32_f16_e32 v16, v6
	v_cvt_f32_f16_sdwa v17, v6 dst_sel:DWORD dst_unused:UNUSED_PAD src0_sel:WORD_1
	s_waitcnt lgkmcnt(2)
	v_cvt_f32_f16_e32 v18, v8
	v_cvt_f32_f16_sdwa v19, v8 dst_sel:DWORD dst_unused:UNUSED_PAD src0_sel:WORD_1
	;; [unrolled: 3-line block ×3, first 2 shown]
	v_pk_fma_f32 v[12:13], v[4:5], v[12:13], 0 op_sel_hi:[0,1,0]
	v_mov_b32_e32 v2, v5
	v_pk_fma_f32 v[12:13], v[2:3], v[16:17], v[12:13] op_sel_hi:[0,1,1]
	v_lshlrev_b32_e32 v22, 5, v105
	s_waitcnt lgkmcnt(0)
	v_pk_fma_f32 v[12:13], v[14:15], v[18:19], v[12:13] op_sel_hi:[0,1,1]
	v_mov_b32_e32 v6, v15
	s_addc_u32 s3, s5, s3
	v_pk_fma_f32 v[12:13], v[6:7], v[20:21], v[12:13] op_sel_hi:[0,1,1]
	v_add_lshl_u32 v15, v76, v22, 3
	global_store_dwordx2 v15, v[12:13], s[2:3]
	v_cvt_f32_f16_e32 v12, v3
	v_cvt_f32_f16_sdwa v13, v3 dst_sel:DWORD dst_unused:UNUSED_PAD src0_sel:WORD_1
	v_cvt_f32_f16_e32 v16, v7
	v_cvt_f32_f16_sdwa v17, v7 dst_sel:DWORD dst_unused:UNUSED_PAD src0_sel:WORD_1
	;; [unrolled: 2-line block ×4, first 2 shown]
	v_pk_fma_f32 v[4:5], v[4:5], v[12:13], 0 op_sel_hi:[0,1,0]
	v_pk_fma_f32 v[2:3], v[2:3], v[16:17], v[4:5] op_sel_hi:[0,1,1]
	v_lshrrev_b32_e32 v1, 2, v105
	v_pk_fma_f32 v[2:3], v[14:15], v[8:9], v[2:3] op_sel_hi:[0,1,1]
	v_pk_fma_f32 v[2:3], v[6:7], v[10:11], v[2:3] op_sel_hi:[0,1,1]
	v_add_u32_e32 v14, 1, v1
	global_store_dwordx2 v15, v[2:3], s[2:3] offset:512
	v_lshlrev_b32_e32 v2, 2, v14
	v_and_b32_e32 v3, 15, v14
	s_movk_i32 s5, 0x7c0
	v_and_or_b32 v2, v2, s5, v3
	v_mad_u32_u24 v15, v2, s4, 0
	v_add_u32_e32 v10, v15, v0
	ds_read2st64_b32 v[2:3], v10 offset1:1
	ds_read2st64_b32 v[4:5], v15 offset0:2 offset1:35
	ds_read2st64_b32 v[6:7], v10 offset0:33 offset1:34
	ds_read2st64_b32 v[8:9], v10 offset0:66 offset1:67
	ds_read2st64_b32 v[10:11], v10 offset0:99 offset1:100
	s_waitcnt lgkmcnt(4)
	v_cvt_f32_f16_e32 v12, v2
	v_cvt_f32_f16_sdwa v13, v2 dst_sel:DWORD dst_unused:UNUSED_PAD src0_sel:WORD_1
	v_lshlrev_b32_e32 v22, 7, v14
	ds_read2st64_b32 v[14:15], v15 offset0:68 offset1:101
	s_waitcnt lgkmcnt(3)
	v_cvt_f32_f16_e32 v16, v6
	v_cvt_f32_f16_sdwa v17, v6 dst_sel:DWORD dst_unused:UNUSED_PAD src0_sel:WORD_1
	s_waitcnt lgkmcnt(2)
	v_cvt_f32_f16_e32 v18, v8
	v_cvt_f32_f16_sdwa v19, v8 dst_sel:DWORD dst_unused:UNUSED_PAD src0_sel:WORD_1
	s_waitcnt lgkmcnt(1)
	v_cvt_f32_f16_e32 v20, v10
	v_cvt_f32_f16_sdwa v21, v10 dst_sel:DWORD dst_unused:UNUSED_PAD src0_sel:WORD_1
	v_pk_fma_f32 v[12:13], v[4:5], v[12:13], 0 op_sel_hi:[0,1,0]
	v_mov_b32_e32 v2, v5
	v_pk_fma_f32 v[12:13], v[2:3], v[16:17], v[12:13] op_sel_hi:[0,1,1]
	s_waitcnt lgkmcnt(0)
	v_pk_fma_f32 v[12:13], v[14:15], v[18:19], v[12:13] op_sel_hi:[0,1,1]
	v_mov_b32_e32 v6, v15
	v_add_lshl_u32 v23, v76, v22, 3
	v_pk_fma_f32 v[12:13], v[6:7], v[20:21], v[12:13] op_sel_hi:[0,1,1]
	global_store_dwordx2 v23, v[12:13], s[2:3]
	v_add_co_u32_e32 v12, vcc, v76, v22
	v_cvt_f32_f16_e32 v16, v3
	v_cvt_f32_f16_sdwa v17, v3 dst_sel:DWORD dst_unused:UNUSED_PAD src0_sel:WORD_1
	v_addc_co_u32_e64 v13, s[6:7], 0, 0, vcc
	v_cvt_f32_f16_e32 v18, v7
	v_cvt_f32_f16_sdwa v19, v7 dst_sel:DWORD dst_unused:UNUSED_PAD src0_sel:WORD_1
	v_lshlrev_b64 v[12:13], 3, v[12:13]
	v_cvt_f32_f16_e32 v8, v9
	v_cvt_f32_f16_sdwa v9, v9 dst_sel:DWORD dst_unused:UNUSED_PAD src0_sel:WORD_1
	v_mov_b32_e32 v5, s3
	v_add_co_u32_e32 v12, vcc, s2, v12
	v_cvt_f32_f16_e32 v10, v11
	v_cvt_f32_f16_sdwa v11, v11 dst_sel:DWORD dst_unused:UNUSED_PAD src0_sel:WORD_1
	v_addc_co_u32_e32 v13, vcc, v5, v13, vcc
	v_pk_fma_f32 v[4:5], v[4:5], v[16:17], 0 op_sel_hi:[0,1,0]
	v_pk_fma_f32 v[2:3], v[2:3], v[18:19], v[4:5] op_sel_hi:[0,1,1]
	v_pk_fma_f32 v[2:3], v[14:15], v[8:9], v[2:3] op_sel_hi:[0,1,1]
	v_pk_fma_f32 v[2:3], v[6:7], v[10:11], v[2:3] op_sel_hi:[0,1,1]
	v_add_u32_e32 v14, 2, v1
	global_store_dwordx2 v[12:13], v[2:3], off offset:512
	v_lshlrev_b32_e32 v2, 2, v14
	v_and_b32_e32 v3, 15, v14
	v_and_or_b32 v2, v2, s5, v3
	v_mad_u32_u24 v15, v2, s4, 0
	v_add_u32_e32 v10, v15, v0
	ds_read2st64_b32 v[2:3], v10 offset1:1
	ds_read2st64_b32 v[4:5], v15 offset0:2 offset1:35
	ds_read2st64_b32 v[6:7], v10 offset0:33 offset1:34
	ds_read2st64_b32 v[8:9], v10 offset0:66 offset1:67
	ds_read2st64_b32 v[10:11], v10 offset0:99 offset1:100
	s_waitcnt lgkmcnt(4)
	v_cvt_f32_f16_e32 v12, v2
	v_cvt_f32_f16_sdwa v13, v2 dst_sel:DWORD dst_unused:UNUSED_PAD src0_sel:WORD_1
	v_lshlrev_b32_e32 v22, 7, v14
	ds_read2st64_b32 v[14:15], v15 offset0:68 offset1:101
	s_waitcnt lgkmcnt(3)
	v_cvt_f32_f16_e32 v16, v6
	v_cvt_f32_f16_sdwa v17, v6 dst_sel:DWORD dst_unused:UNUSED_PAD src0_sel:WORD_1
	s_waitcnt lgkmcnt(2)
	v_cvt_f32_f16_e32 v18, v8
	v_cvt_f32_f16_sdwa v19, v8 dst_sel:DWORD dst_unused:UNUSED_PAD src0_sel:WORD_1
	s_waitcnt lgkmcnt(1)
	v_cvt_f32_f16_e32 v20, v10
	v_cvt_f32_f16_sdwa v21, v10 dst_sel:DWORD dst_unused:UNUSED_PAD src0_sel:WORD_1
	v_pk_fma_f32 v[12:13], v[4:5], v[12:13], 0 op_sel_hi:[0,1,0]
	v_mov_b32_e32 v2, v5
	v_pk_fma_f32 v[12:13], v[2:3], v[16:17], v[12:13] op_sel_hi:[0,1,1]
	s_waitcnt lgkmcnt(0)
	v_pk_fma_f32 v[12:13], v[14:15], v[18:19], v[12:13] op_sel_hi:[0,1,1]
	v_mov_b32_e32 v6, v15
	v_add_lshl_u32 v23, v76, v22, 3
	v_pk_fma_f32 v[12:13], v[6:7], v[20:21], v[12:13] op_sel_hi:[0,1,1]
	global_store_dwordx2 v23, v[12:13], s[2:3]
	v_add_co_u32_e32 v12, vcc, v76, v22
	v_cvt_f32_f16_e32 v16, v3
	v_cvt_f32_f16_sdwa v17, v3 dst_sel:DWORD dst_unused:UNUSED_PAD src0_sel:WORD_1
	v_addc_co_u32_e64 v13, s[6:7], 0, 0, vcc
	v_cvt_f32_f16_e32 v18, v7
	v_cvt_f32_f16_sdwa v19, v7 dst_sel:DWORD dst_unused:UNUSED_PAD src0_sel:WORD_1
	v_lshlrev_b64 v[12:13], 3, v[12:13]
	v_cvt_f32_f16_e32 v8, v9
	v_cvt_f32_f16_sdwa v9, v9 dst_sel:DWORD dst_unused:UNUSED_PAD src0_sel:WORD_1
	v_mov_b32_e32 v5, s3
	v_add_co_u32_e32 v12, vcc, s2, v12
	v_cvt_f32_f16_e32 v10, v11
	v_cvt_f32_f16_sdwa v11, v11 dst_sel:DWORD dst_unused:UNUSED_PAD src0_sel:WORD_1
	v_addc_co_u32_e32 v13, vcc, v5, v13, vcc
	v_pk_fma_f32 v[4:5], v[4:5], v[16:17], 0 op_sel_hi:[0,1,0]
	v_pk_fma_f32 v[2:3], v[2:3], v[18:19], v[4:5] op_sel_hi:[0,1,1]
	v_pk_fma_f32 v[2:3], v[14:15], v[8:9], v[2:3] op_sel_hi:[0,1,1]
	v_pk_fma_f32 v[2:3], v[6:7], v[10:11], v[2:3] op_sel_hi:[0,1,1]
	v_add_u32_e32 v14, 3, v1
	global_store_dwordx2 v[12:13], v[2:3], off offset:512
	v_lshlrev_b32_e32 v2, 2, v14
	v_and_b32_e32 v3, 15, v14
	;; [unrolled: 53-line block ×13, first 2 shown]
	v_and_or_b32 v2, v2, s5, v3
	v_mad_u32_u24 v15, v2, s4, 0
	v_add_u32_e32 v10, v15, v0
	ds_read2st64_b32 v[2:3], v10 offset1:1
	ds_read2st64_b32 v[4:5], v15 offset0:2 offset1:35
	ds_read2st64_b32 v[6:7], v10 offset0:33 offset1:34
	;; [unrolled: 1-line block ×4, first 2 shown]
	s_waitcnt lgkmcnt(4)
	v_cvt_f32_f16_e32 v12, v2
	v_cvt_f32_f16_sdwa v13, v2 dst_sel:DWORD dst_unused:UNUSED_PAD src0_sel:WORD_1
	v_lshlrev_b32_e32 v22, 7, v14
	ds_read2st64_b32 v[14:15], v15 offset0:68 offset1:101
	s_waitcnt lgkmcnt(3)
	v_cvt_f32_f16_e32 v16, v6
	v_cvt_f32_f16_sdwa v17, v6 dst_sel:DWORD dst_unused:UNUSED_PAD src0_sel:WORD_1
	s_waitcnt lgkmcnt(2)
	v_cvt_f32_f16_e32 v18, v8
	v_cvt_f32_f16_sdwa v19, v8 dst_sel:DWORD dst_unused:UNUSED_PAD src0_sel:WORD_1
	;; [unrolled: 3-line block ×3, first 2 shown]
	v_pk_fma_f32 v[12:13], v[4:5], v[12:13], 0 op_sel_hi:[0,1,0]
	v_mov_b32_e32 v2, v5
	v_pk_fma_f32 v[12:13], v[2:3], v[16:17], v[12:13] op_sel_hi:[0,1,1]
	s_waitcnt lgkmcnt(0)
	v_pk_fma_f32 v[12:13], v[14:15], v[18:19], v[12:13] op_sel_hi:[0,1,1]
	v_mov_b32_e32 v6, v15
	v_add_lshl_u32 v23, v76, v22, 3
	v_pk_fma_f32 v[12:13], v[6:7], v[20:21], v[12:13] op_sel_hi:[0,1,1]
	global_store_dwordx2 v23, v[12:13], s[2:3]
	v_add_co_u32_e32 v12, vcc, v76, v22
	v_cvt_f32_f16_e32 v16, v3
	v_cvt_f32_f16_sdwa v17, v3 dst_sel:DWORD dst_unused:UNUSED_PAD src0_sel:WORD_1
	v_addc_co_u32_e64 v13, s[6:7], 0, 0, vcc
	v_cvt_f32_f16_e32 v18, v7
	v_cvt_f32_f16_sdwa v19, v7 dst_sel:DWORD dst_unused:UNUSED_PAD src0_sel:WORD_1
	v_lshlrev_b64 v[12:13], 3, v[12:13]
	v_cvt_f32_f16_e32 v8, v9
	v_cvt_f32_f16_sdwa v9, v9 dst_sel:DWORD dst_unused:UNUSED_PAD src0_sel:WORD_1
	v_mov_b32_e32 v5, s3
	v_add_co_u32_e32 v12, vcc, s2, v12
	v_cvt_f32_f16_e32 v10, v11
	v_cvt_f32_f16_sdwa v11, v11 dst_sel:DWORD dst_unused:UNUSED_PAD src0_sel:WORD_1
	v_addc_co_u32_e32 v13, vcc, v5, v13, vcc
	v_pk_fma_f32 v[4:5], v[4:5], v[16:17], 0 op_sel_hi:[0,1,0]
	v_pk_fma_f32 v[2:3], v[2:3], v[18:19], v[4:5] op_sel_hi:[0,1,1]
	;; [unrolled: 1-line block ×4, first 2 shown]
	global_store_dwordx2 v[12:13], v[2:3], off offset:512
	v_add_u32_e32 v12, 15, v1
	v_lshlrev_b32_e32 v1, 2, v12
	v_and_b32_e32 v2, 15, v12
	v_and_or_b32 v1, v1, s5, v2
	v_mad_u32_u24 v13, v1, s4, 0
	v_add_u32_e32 v8, v13, v0
	ds_read2st64_b32 v[0:1], v8 offset1:1
	ds_read2st64_b32 v[2:3], v13 offset0:2 offset1:35
	ds_read2st64_b32 v[4:5], v8 offset0:33 offset1:34
	;; [unrolled: 1-line block ×4, first 2 shown]
	s_waitcnt lgkmcnt(4)
	v_cvt_f32_f16_e32 v10, v0
	v_cvt_f32_f16_sdwa v11, v0 dst_sel:DWORD dst_unused:UNUSED_PAD src0_sel:WORD_1
	v_lshlrev_b32_e32 v20, 7, v12
	ds_read2st64_b32 v[12:13], v13 offset0:68 offset1:101
	s_waitcnt lgkmcnt(3)
	v_cvt_f32_f16_e32 v14, v4
	v_cvt_f32_f16_sdwa v15, v4 dst_sel:DWORD dst_unused:UNUSED_PAD src0_sel:WORD_1
	s_waitcnt lgkmcnt(2)
	v_cvt_f32_f16_e32 v16, v6
	v_cvt_f32_f16_sdwa v17, v6 dst_sel:DWORD dst_unused:UNUSED_PAD src0_sel:WORD_1
	;; [unrolled: 3-line block ×3, first 2 shown]
	v_pk_fma_f32 v[10:11], v[2:3], v[10:11], 0 op_sel_hi:[0,1,0]
	v_mov_b32_e32 v0, v3
	v_pk_fma_f32 v[10:11], v[0:1], v[14:15], v[10:11] op_sel_hi:[0,1,1]
	s_waitcnt lgkmcnt(0)
	v_pk_fma_f32 v[10:11], v[12:13], v[16:17], v[10:11] op_sel_hi:[0,1,1]
	v_mov_b32_e32 v4, v13
	v_add_lshl_u32 v21, v76, v20, 3
	v_pk_fma_f32 v[10:11], v[4:5], v[18:19], v[10:11] op_sel_hi:[0,1,1]
	global_store_dwordx2 v21, v[10:11], s[2:3]
	v_add_co_u32_e32 v10, vcc, v76, v20
	v_cvt_f32_f16_e32 v14, v1
	v_cvt_f32_f16_sdwa v15, v1 dst_sel:DWORD dst_unused:UNUSED_PAD src0_sel:WORD_1
	v_addc_co_u32_e64 v11, s[4:5], 0, 0, vcc
	v_cvt_f32_f16_e32 v16, v5
	v_cvt_f32_f16_sdwa v17, v5 dst_sel:DWORD dst_unused:UNUSED_PAD src0_sel:WORD_1
	v_lshlrev_b64 v[10:11], 3, v[10:11]
	v_cvt_f32_f16_e32 v6, v7
	v_cvt_f32_f16_sdwa v7, v7 dst_sel:DWORD dst_unused:UNUSED_PAD src0_sel:WORD_1
	v_mov_b32_e32 v3, s3
	v_add_co_u32_e32 v10, vcc, s2, v10
	v_cvt_f32_f16_e32 v8, v9
	v_cvt_f32_f16_sdwa v9, v9 dst_sel:DWORD dst_unused:UNUSED_PAD src0_sel:WORD_1
	v_addc_co_u32_e32 v11, vcc, v3, v11, vcc
	v_pk_fma_f32 v[2:3], v[2:3], v[14:15], 0 op_sel_hi:[0,1,0]
	v_pk_fma_f32 v[0:1], v[0:1], v[16:17], v[2:3] op_sel_hi:[0,1,1]
	;; [unrolled: 1-line block ×4, first 2 shown]
	global_store_dwordx2 v[10:11], v[0:1], off offset:512
.LBB30_372:
	s_or_b64 exec, exec, s[0:1]
	s_barrier
	s_endpgm
	.section	.rodata,"a",@progbits
	.p2align	6, 0x0
	.amdhsa_kernel _ZL18flash_attn_ext_f16ILi256ELi256ELi8ELi2ELb1ELb0EEvPKcS1_S1_S1_S1_PKiPfP15HIP_vector_typeIfLj2EEffffjfiS5_IjLj3EEiiiiiiiiiiiliiliiiiil
		.amdhsa_group_segment_fixed_size 0
		.amdhsa_private_segment_fixed_size 0
		.amdhsa_kernarg_size 464
		.amdhsa_user_sgpr_count 6
		.amdhsa_user_sgpr_private_segment_buffer 1
		.amdhsa_user_sgpr_dispatch_ptr 0
		.amdhsa_user_sgpr_queue_ptr 0
		.amdhsa_user_sgpr_kernarg_segment_ptr 1
		.amdhsa_user_sgpr_dispatch_id 0
		.amdhsa_user_sgpr_flat_scratch_init 0
		.amdhsa_user_sgpr_kernarg_preload_length 0
		.amdhsa_user_sgpr_kernarg_preload_offset 0
		.amdhsa_user_sgpr_private_segment_size 0
		.amdhsa_uses_dynamic_stack 0
		.amdhsa_system_sgpr_private_segment_wavefront_offset 0
		.amdhsa_system_sgpr_workgroup_id_x 1
		.amdhsa_system_sgpr_workgroup_id_y 0
		.amdhsa_system_sgpr_workgroup_id_z 0
		.amdhsa_system_sgpr_workgroup_info 0
		.amdhsa_system_vgpr_workitem_id 1
		.amdhsa_next_free_vgpr 328
		.amdhsa_next_free_sgpr 96
		.amdhsa_accum_offset 256
		.amdhsa_reserve_vcc 1
		.amdhsa_reserve_flat_scratch 0
		.amdhsa_float_round_mode_32 0
		.amdhsa_float_round_mode_16_64 0
		.amdhsa_float_denorm_mode_32 3
		.amdhsa_float_denorm_mode_16_64 3
		.amdhsa_dx10_clamp 1
		.amdhsa_ieee_mode 1
		.amdhsa_fp16_overflow 0
		.amdhsa_tg_split 0
		.amdhsa_exception_fp_ieee_invalid_op 0
		.amdhsa_exception_fp_denorm_src 0
		.amdhsa_exception_fp_ieee_div_zero 0
		.amdhsa_exception_fp_ieee_overflow 0
		.amdhsa_exception_fp_ieee_underflow 0
		.amdhsa_exception_fp_ieee_inexact 0
		.amdhsa_exception_int_div_zero 0
	.end_amdhsa_kernel
	.section	.text._ZL18flash_attn_ext_f16ILi256ELi256ELi8ELi2ELb1ELb0EEvPKcS1_S1_S1_S1_PKiPfP15HIP_vector_typeIfLj2EEffffjfiS5_IjLj3EEiiiiiiiiiiiliiliiiiil,"axG",@progbits,_ZL18flash_attn_ext_f16ILi256ELi256ELi8ELi2ELb1ELb0EEvPKcS1_S1_S1_S1_PKiPfP15HIP_vector_typeIfLj2EEffffjfiS5_IjLj3EEiiiiiiiiiiiliiliiiiil,comdat
.Lfunc_end30:
	.size	_ZL18flash_attn_ext_f16ILi256ELi256ELi8ELi2ELb1ELb0EEvPKcS1_S1_S1_S1_PKiPfP15HIP_vector_typeIfLj2EEffffjfiS5_IjLj3EEiiiiiiiiiiiliiliiiiil, .Lfunc_end30-_ZL18flash_attn_ext_f16ILi256ELi256ELi8ELi2ELb1ELb0EEvPKcS1_S1_S1_S1_PKiPfP15HIP_vector_typeIfLj2EEffffjfiS5_IjLj3EEiiiiiiiiiiiliiliiiiil
                                        ; -- End function
	.section	.AMDGPU.csdata,"",@progbits
; Kernel info:
; codeLenInByte = 73840
; NumSgprs: 100
; NumVgprs: 256
; NumAgprs: 72
; TotalNumVgprs: 328
; ScratchSize: 0
; MemoryBound: 0
; FloatMode: 240
; IeeeMode: 1
; LDSByteSize: 0 bytes/workgroup (compile time only)
; SGPRBlocks: 12
; VGPRBlocks: 40
; NumSGPRsForWavesPerEU: 100
; NumVGPRsForWavesPerEU: 328
; AccumOffset: 256
; Occupancy: 1
; WaveLimiterHint : 1
; COMPUTE_PGM_RSRC2:SCRATCH_EN: 0
; COMPUTE_PGM_RSRC2:USER_SGPR: 6
; COMPUTE_PGM_RSRC2:TRAP_HANDLER: 0
; COMPUTE_PGM_RSRC2:TGID_X_EN: 1
; COMPUTE_PGM_RSRC2:TGID_Y_EN: 0
; COMPUTE_PGM_RSRC2:TGID_Z_EN: 0
; COMPUTE_PGM_RSRC2:TIDIG_COMP_CNT: 1
; COMPUTE_PGM_RSRC3_GFX90A:ACCUM_OFFSET: 63
; COMPUTE_PGM_RSRC3_GFX90A:TG_SPLIT: 0
	.section	.text._ZL33flash_attn_stream_k_fixup_uniformILi256ELi8ELi2EEvPfPK15HIP_vector_typeIfLj2EEiiiiiiS1_IjLj3EES5_S5_,"axG",@progbits,_ZL33flash_attn_stream_k_fixup_uniformILi256ELi8ELi2EEvPfPK15HIP_vector_typeIfLj2EEiiiiiiS1_IjLj3EES5_S5_,comdat
	.globl	_ZL33flash_attn_stream_k_fixup_uniformILi256ELi8ELi2EEvPfPK15HIP_vector_typeIfLj2EEiiiiiiS1_IjLj3EES5_S5_ ; -- Begin function _ZL33flash_attn_stream_k_fixup_uniformILi256ELi8ELi2EEvPfPK15HIP_vector_typeIfLj2EEiiiiiiS1_IjLj3EES5_S5_
	.p2align	8
	.type	_ZL33flash_attn_stream_k_fixup_uniformILi256ELi8ELi2EEvPfPK15HIP_vector_typeIfLj2EEiiiiiiS1_IjLj3EES5_S5_,@function
_ZL33flash_attn_stream_k_fixup_uniformILi256ELi8ELi2EEvPfPK15HIP_vector_typeIfLj2EEiiiiiiS1_IjLj3EES5_S5_: ; @_ZL33flash_attn_stream_k_fixup_uniformILi256ELi8ELi2EEvPfPK15HIP_vector_typeIfLj2EEiiiiiiS1_IjLj3EES5_S5_
; %bb.0:
	s_load_dwordx8 s[12:19], s[4:5], 0x1c
	s_load_dwordx2 s[10:11], s[4:5], 0x10
	s_load_dwordx4 s[0:3], s[4:5], 0x3c
	s_waitcnt lgkmcnt(0)
	s_mul_hi_u32 s9, s15, s6
	s_add_i32 s9, s6, s9
	s_lshr_b32 s9, s9, s16
	s_mul_i32 s15, s9, s17
	s_sub_i32 s15, s6, s15
	s_mul_hi_u32 s16, s15, s18
	s_add_i32 s16, s15, s16
	s_lshr_b32 s16, s16, s19
	s_mul_i32 s0, s16, s0
	s_sub_i32 s0, s15, s0
	;; [unrolled: 5-line block ×3, first 2 shown]
	s_lshl_b32 s0, s17, 3
	s_lshl_b32 s15, s1, 1
	s_add_i32 s0, s0, s7
	s_cmp_lt_i32 s0, s10
	s_cselect_b64 s[0:1], -1, 0
	s_add_i32 s2, s15, s8
	s_cmp_lt_i32 s2, s13
	s_cselect_b64 s[2:3], -1, 0
	s_and_b64 s[0:1], s[0:1], s[2:3]
	s_andn2_b64 vcc, exec, s[0:1]
	s_cbranch_vccnz .LBB31_6
; %bb.1:
	s_load_dwordx4 s[0:3], s[4:5], 0x0
	s_mul_i32 s4, s9, s10
	s_add_i32 s4, s4, s7
	s_mul_i32 s4, s4, s11
	s_mul_i32 s16, s16, s13
	s_add_i32 s4, s4, s8
	s_add_i32 s4, s4, s16
	s_mul_i32 s5, s11, s17
	s_add_i32 s4, s4, s15
	s_lshl_b32 s5, s5, 11
	s_lshl_b32 s4, s4, 8
	s_add_i32 s5, s5, s4
	v_or_b32_e32 v2, s5, v0
	v_ashrrev_i32_e32 v3, 31, v2
	v_lshlrev_b64 v[2:3], 2, v[2:3]
	s_waitcnt lgkmcnt(0)
	v_mov_b32_e32 v1, s1
	v_add_co_u32_e32 v2, vcc, s0, v2
	v_addc_co_u32_e32 v3, vcc, v1, v3, vcc
	global_load_dword v8, v[2:3], off
	s_mul_i32 s9, s6, s14
	s_lshl_b32 s4, s7, 1
	s_add_i32 s11, s9, s14
	s_add_i32 s0, s4, s8
	s_lshl_b32 s1, s11, 4
	s_add_i32 s0, s0, s1
	s_add_i32 s0, s0, -16
	s_ashr_i32 s1, s0, 31
	s_lshl_b64 s[0:1], s[0:1], 3
	s_add_u32 s0, s2, s0
	s_addc_u32 s1, s3, s1
	s_load_dword s5, s[0:1], 0x4
	s_add_i32 s10, s11, -2
	s_cmp_lt_i32 s10, s9
	s_cbranch_scc1 .LBB31_4
; %bb.2:
	s_lshl_b32 s16, s12, 6
	s_ashr_i32 s17, s16, 31
	s_lshl_b64 s[16:17], s[16:17], 2
	s_add_u32 s10, s2, s16
	s_addc_u32 s13, s3, s17
	s_add_i32 s6, s6, 1
	s_load_dword s0, s[0:1], 0x0
	s_mul_i32 s1, s14, s6
	s_lshl_b32 s7, s7, 9
	s_lshl_b32 s14, s8, 8
	;; [unrolled: 1-line block ×3, first 2 shown]
	s_add_i32 s7, s14, s7
	s_lshl_b32 s1, s1, 4
	s_add_i32 s7, s7, s6
	s_add_i32 s1, s8, s1
	s_lshl_b32 s6, s12, 4
	s_add_i32 s1, s1, s6
	v_or_b32_e32 v0, s7, v0
	s_add_i32 s1, s1, s4
	s_add_i32 s11, s11, -1
	v_add_u32_e32 v0, 0xffffe000, v0
	s_sub_i32 s4, s1, 32
	s_waitcnt lgkmcnt(0)
	v_mov_b32_e32 v7, s5
	v_mov_b32_e32 v6, s0
	v_mov_b32_e32 v4, s13
	s_mov_b32 s6, 0x3fb8aa3b
	s_mov_b32 s7, 0xc2ce8ed0
	;; [unrolled: 1-line block ×3, first 2 shown]
	v_mov_b32_e32 v5, 0x7f800000
	s_mov_b32 s12, 0xc1a00000
.LBB31_3:                               ; =>This Inner Loop Header: Depth=1
	v_ashrrev_i32_e32 v1, 31, v0
	v_lshlrev_b64 v[10:11], 2, v[0:1]
	v_add_co_u32_e32 v10, vcc, s10, v10
	v_addc_co_u32_e32 v11, vcc, v4, v11, vcc
	global_load_dword v1, v[10:11], off
	s_ashr_i32 s5, s4, 31
	s_lshl_b64 s[0:1], s[4:5], 3
	s_add_u32 s0, s2, s0
	s_addc_u32 s1, s3, s1
	s_load_dwordx2 s[14:15], s[0:1], 0x0
	s_waitcnt vmcnt(1)
	v_mov_b32_e32 v9, v8
	v_max_f32_e32 v8, v6, v6
	v_mov_b32_e32 v10, v7
	s_add_i32 s11, s11, -1
	s_waitcnt lgkmcnt(0)
	v_max_f32_e64 v7, s14, s14
	v_max_f32_e32 v7, v8, v7
	v_sub_f32_e32 v11, s14, v7
	v_sub_f32_e32 v8, v6, v7
	v_mul_f32_e32 v12, 0x3fb8aa3b, v11
	v_mov_b32_e32 v6, v7
	v_mul_f32_e32 v7, 0x3fb8aa3b, v8
	v_fma_f32 v15, v11, s6, -v12
	v_rndne_f32_e32 v16, v12
	v_fma_f32 v13, v8, s6, -v7
	v_rndne_f32_e32 v14, v7
	v_fmac_f32_e32 v15, 0x32a5705f, v11
	v_sub_f32_e32 v12, v12, v16
	v_fmac_f32_e32 v13, 0x32a5705f, v8
	v_sub_f32_e32 v7, v7, v14
	v_add_f32_e32 v12, v12, v15
	v_cvt_i32_f32_e32 v16, v16
	v_add_f32_e32 v7, v7, v13
	v_exp_f32_e32 v12, v12
	v_cvt_i32_f32_e32 v14, v14
	v_exp_f32_e32 v7, v7
	v_cmp_ngt_f32_e32 vcc, s7, v11
	v_ldexp_f32 v12, v12, v16
	v_cmp_ngt_f32_e64 s[0:1], s7, v8
	v_ldexp_f32 v7, v7, v14
	v_cndmask_b32_e32 v12, 0, v12, vcc
	v_cmp_nlt_f32_e32 vcc, s8, v11
	v_cndmask_b32_e64 v7, 0, v7, s[0:1]
	v_cmp_nlt_f32_e64 s[0:1], s8, v8
	v_cndmask_b32_e32 v12, v5, v12, vcc
	v_cmp_le_f32_e32 vcc, s12, v11
	v_cndmask_b32_e64 v7, v5, v7, s[0:1]
	v_cmp_le_f32_e64 s[0:1], s12, v8
	v_cndmask_b32_e32 v8, 0, v12, vcc
	s_add_i32 s4, s4, -16
	v_cndmask_b32_e64 v11, 0, v7, s[0:1]
	v_mul_f32_e32 v7, s15, v8
	v_add_u32_e32 v0, 0xfffff000, v0
	s_cmp_le_i32 s11, s9
	v_fmac_f32_e32 v7, v10, v11
	s_waitcnt vmcnt(0)
	v_mul_f32_e32 v8, v1, v8
	v_fmac_f32_e32 v8, v9, v11
	s_cbranch_scc0 .LBB31_3
	s_branch .LBB31_5
.LBB31_4:
	s_waitcnt lgkmcnt(0)
	v_mov_b32_e32 v7, s5
.LBB31_5:
	s_waitcnt vmcnt(0)
	v_div_scale_f32 v0, s[0:1], v7, v7, v8
	v_rcp_f32_e32 v1, v0
	v_div_scale_f32 v4, vcc, v8, v7, v8
	v_fma_f32 v5, -v0, v1, 1.0
	v_fmac_f32_e32 v1, v5, v1
	v_mul_f32_e32 v5, v4, v1
	v_fma_f32 v6, -v0, v5, v4
	v_fmac_f32_e32 v5, v6, v1
	v_fma_f32 v0, -v0, v5, v4
	v_div_fmas_f32 v0, v0, v1, v5
	v_div_fixup_f32 v0, v0, v7, v8
	global_store_dword v[2:3], v0, off
.LBB31_6:
	s_endpgm
	.section	.rodata,"a",@progbits
	.p2align	6, 0x0
	.amdhsa_kernel _ZL33flash_attn_stream_k_fixup_uniformILi256ELi8ELi2EEvPfPK15HIP_vector_typeIfLj2EEiiiiiiS1_IjLj3EES5_S5_
		.amdhsa_group_segment_fixed_size 0
		.amdhsa_private_segment_fixed_size 0
		.amdhsa_kernarg_size 76
		.amdhsa_user_sgpr_count 6
		.amdhsa_user_sgpr_private_segment_buffer 1
		.amdhsa_user_sgpr_dispatch_ptr 0
		.amdhsa_user_sgpr_queue_ptr 0
		.amdhsa_user_sgpr_kernarg_segment_ptr 1
		.amdhsa_user_sgpr_dispatch_id 0
		.amdhsa_user_sgpr_flat_scratch_init 0
		.amdhsa_user_sgpr_kernarg_preload_length 0
		.amdhsa_user_sgpr_kernarg_preload_offset 0
		.amdhsa_user_sgpr_private_segment_size 0
		.amdhsa_uses_dynamic_stack 0
		.amdhsa_system_sgpr_private_segment_wavefront_offset 0
		.amdhsa_system_sgpr_workgroup_id_x 1
		.amdhsa_system_sgpr_workgroup_id_y 1
		.amdhsa_system_sgpr_workgroup_id_z 1
		.amdhsa_system_sgpr_workgroup_info 0
		.amdhsa_system_vgpr_workitem_id 0
		.amdhsa_next_free_vgpr 17
		.amdhsa_next_free_sgpr 20
		.amdhsa_accum_offset 20
		.amdhsa_reserve_vcc 1
		.amdhsa_reserve_flat_scratch 0
		.amdhsa_float_round_mode_32 0
		.amdhsa_float_round_mode_16_64 0
		.amdhsa_float_denorm_mode_32 3
		.amdhsa_float_denorm_mode_16_64 3
		.amdhsa_dx10_clamp 1
		.amdhsa_ieee_mode 1
		.amdhsa_fp16_overflow 0
		.amdhsa_tg_split 0
		.amdhsa_exception_fp_ieee_invalid_op 0
		.amdhsa_exception_fp_denorm_src 0
		.amdhsa_exception_fp_ieee_div_zero 0
		.amdhsa_exception_fp_ieee_overflow 0
		.amdhsa_exception_fp_ieee_underflow 0
		.amdhsa_exception_fp_ieee_inexact 0
		.amdhsa_exception_int_div_zero 0
	.end_amdhsa_kernel
	.section	.text._ZL33flash_attn_stream_k_fixup_uniformILi256ELi8ELi2EEvPfPK15HIP_vector_typeIfLj2EEiiiiiiS1_IjLj3EES5_S5_,"axG",@progbits,_ZL33flash_attn_stream_k_fixup_uniformILi256ELi8ELi2EEvPfPK15HIP_vector_typeIfLj2EEiiiiiiS1_IjLj3EES5_S5_,comdat
.Lfunc_end31:
	.size	_ZL33flash_attn_stream_k_fixup_uniformILi256ELi8ELi2EEvPfPK15HIP_vector_typeIfLj2EEiiiiiiS1_IjLj3EES5_S5_, .Lfunc_end31-_ZL33flash_attn_stream_k_fixup_uniformILi256ELi8ELi2EEvPfPK15HIP_vector_typeIfLj2EEiiiiiiS1_IjLj3EES5_S5_
                                        ; -- End function
	.section	.AMDGPU.csdata,"",@progbits
; Kernel info:
; codeLenInByte = 856
; NumSgprs: 24
; NumVgprs: 17
; NumAgprs: 0
; TotalNumVgprs: 17
; ScratchSize: 0
; MemoryBound: 0
; FloatMode: 240
; IeeeMode: 1
; LDSByteSize: 0 bytes/workgroup (compile time only)
; SGPRBlocks: 2
; VGPRBlocks: 2
; NumSGPRsForWavesPerEU: 24
; NumVGPRsForWavesPerEU: 17
; AccumOffset: 20
; Occupancy: 8
; WaveLimiterHint : 0
; COMPUTE_PGM_RSRC2:SCRATCH_EN: 0
; COMPUTE_PGM_RSRC2:USER_SGPR: 6
; COMPUTE_PGM_RSRC2:TRAP_HANDLER: 0
; COMPUTE_PGM_RSRC2:TGID_X_EN: 1
; COMPUTE_PGM_RSRC2:TGID_Y_EN: 1
; COMPUTE_PGM_RSRC2:TGID_Z_EN: 1
; COMPUTE_PGM_RSRC2:TIDIG_COMP_CNT: 0
; COMPUTE_PGM_RSRC3_GFX90A:ACCUM_OFFSET: 4
; COMPUTE_PGM_RSRC3_GFX90A:TG_SPLIT: 0
	.section	.text._ZL33flash_attn_stream_k_fixup_generalILi256ELi8ELi2EEvPfPK15HIP_vector_typeIfLj2EEiiiiS1_IjLj3EES5_S5_S5_,"axG",@progbits,_ZL33flash_attn_stream_k_fixup_generalILi256ELi8ELi2EEvPfPK15HIP_vector_typeIfLj2EEiiiiS1_IjLj3EES5_S5_S5_,comdat
	.globl	_ZL33flash_attn_stream_k_fixup_generalILi256ELi8ELi2EEvPfPK15HIP_vector_typeIfLj2EEiiiiS1_IjLj3EES5_S5_S5_ ; -- Begin function _ZL33flash_attn_stream_k_fixup_generalILi256ELi8ELi2EEvPfPK15HIP_vector_typeIfLj2EEiiiiS1_IjLj3EES5_S5_S5_
	.p2align	8
	.type	_ZL33flash_attn_stream_k_fixup_generalILi256ELi8ELi2EEvPfPK15HIP_vector_typeIfLj2EEiiiiS1_IjLj3EES5_S5_S5_,@function
_ZL33flash_attn_stream_k_fixup_generalILi256ELi8ELi2EEvPfPK15HIP_vector_typeIfLj2EEiiiiS1_IjLj3EES5_S5_S5_: ; @_ZL33flash_attn_stream_k_fixup_generalILi256ELi8ELi2EEvPfPK15HIP_vector_typeIfLj2EEiiiiS1_IjLj3EES5_S5_S5_
; %bb.0:
	s_load_dwordx4 s[12:15], s[4:5], 0x10
	s_load_dword s9, s[4:5], 0x50
	s_mov_b32 s2, 0
	s_waitcnt lgkmcnt(0)
	s_mul_hi_i32 s3, s15, s6
	s_cmp_lg_u64 s[2:3], 0
	s_mul_i32 s2, s15, s6
	s_cbranch_scc0 .LBB32_21
; %bb.1:
	v_cvt_f32_u32_e32 v1, s9
	v_cvt_f32_ubyte0_e32 v2, 0
	s_sub_u32 s10, 0, s9
	s_subb_u32 s11, 0, 0
	v_madmk_f32 v1, v2, 0x4f800000, v1
	v_rcp_f32_e32 v1, v1
	v_mul_f32_e32 v1, 0x5f7ffffc, v1
	v_mul_f32_e32 v2, 0x2f800000, v1
	v_trunc_f32_e32 v2, v2
	v_madmk_f32 v1, v2, 0xcf800000, v1
	v_cvt_u32_f32_e32 v2, v2
	v_cvt_u32_f32_e32 v1, v1
	v_readfirstlane_b32 s16, v2
	v_readfirstlane_b32 s17, v1
	s_mul_i32 s18, s10, s16
	s_mul_hi_u32 s20, s10, s17
	s_mul_i32 s19, s11, s17
	s_add_i32 s18, s20, s18
	s_add_i32 s18, s18, s19
	s_mul_i32 s21, s10, s17
	s_mul_hi_u32 s19, s17, s18
	s_mul_i32 s20, s17, s18
	s_mul_hi_u32 s17, s17, s21
	s_add_u32 s17, s17, s20
	s_addc_u32 s19, 0, s19
	s_mul_hi_u32 s22, s16, s21
	s_mul_i32 s21, s16, s21
	s_add_u32 s17, s17, s21
	s_mul_hi_u32 s20, s16, s18
	s_addc_u32 s17, s19, s22
	s_addc_u32 s19, s20, 0
	s_mul_i32 s18, s16, s18
	s_add_u32 s17, s17, s18
	s_addc_u32 s18, 0, s19
	v_add_co_u32_e32 v1, vcc, s17, v1
	s_cmp_lg_u64 vcc, 0
	s_addc_u32 s16, s16, s18
	v_readfirstlane_b32 s18, v1
	s_mul_i32 s17, s10, s16
	s_mul_hi_u32 s19, s10, s18
	s_add_i32 s17, s19, s17
	s_mul_i32 s11, s11, s18
	s_add_i32 s17, s17, s11
	s_mul_i32 s10, s10, s18
	s_mul_hi_u32 s19, s16, s10
	s_mul_i32 s20, s16, s10
	s_mul_i32 s22, s18, s17
	s_mul_hi_u32 s10, s18, s10
	s_mul_hi_u32 s21, s18, s17
	s_add_u32 s10, s10, s22
	s_addc_u32 s18, 0, s21
	s_add_u32 s10, s10, s20
	s_mul_hi_u32 s11, s16, s17
	s_addc_u32 s10, s18, s19
	s_addc_u32 s11, s11, 0
	s_mul_i32 s17, s16, s17
	s_add_u32 s10, s10, s17
	s_addc_u32 s11, 0, s11
	v_add_co_u32_e32 v1, vcc, s10, v1
	s_cmp_lg_u64 vcc, 0
	s_addc_u32 s18, s16, s11
	s_ashr_i32 s10, s3, 31
	s_add_u32 s16, s2, s10
	s_mov_b32 s11, s10
	s_addc_u32 s17, s3, s10
	s_xor_b64 s[16:17], s[16:17], s[10:11]
	v_readfirstlane_b32 s20, v1
	s_mul_i32 s19, s16, s18
	s_mul_hi_u32 s21, s16, s20
	s_mul_hi_u32 s3, s16, s18
	s_add_u32 s19, s21, s19
	s_addc_u32 s3, 0, s3
	s_mul_hi_u32 s22, s17, s20
	s_mul_i32 s20, s17, s20
	s_add_u32 s19, s19, s20
	s_mul_hi_u32 s21, s17, s18
	s_addc_u32 s3, s3, s22
	s_addc_u32 s19, s21, 0
	s_mul_i32 s18, s17, s18
	s_add_u32 s3, s3, s18
	s_addc_u32 s18, 0, s19
	s_add_u32 s19, s3, 1
	s_addc_u32 s20, s18, 0
	s_add_u32 s21, s3, 2
	s_mul_i32 s23, s9, s18
	s_mul_hi_u32 s24, s9, s3
	s_addc_u32 s22, s18, 0
	s_add_i32 s24, s24, s23
	s_mul_i32 s23, s9, s3
	v_mov_b32_e32 v1, s23
	v_sub_co_u32_e32 v1, vcc, s16, v1
	s_cmp_lg_u64 vcc, 0
	s_subb_u32 s16, s17, s24
	v_subrev_co_u32_e32 v2, vcc, s9, v1
	s_cmp_lg_u64 vcc, 0
	s_subb_u32 s17, s16, 0
	v_readfirstlane_b32 s23, v2
	s_cmp_ge_u32 s23, s9
	s_cselect_b32 s23, -1, 0
	s_cmp_eq_u32 s17, 0
	s_cselect_b32 s17, s23, -1
	s_cmp_lg_u32 s17, 0
	s_cselect_b32 s17, s22, s20
	v_readfirstlane_b32 s20, v1
	s_cselect_b32 s19, s21, s19
	s_cmp_ge_u32 s20, s9
	s_cselect_b32 s20, -1, 0
	s_cmp_eq_u32 s16, 0
	s_cselect_b32 s16, s20, -1
	s_cmp_lg_u32 s16, 0
	s_cselect_b32 s17, s17, s18
	s_cselect_b32 s16, s19, s3
	s_xor_b64 s[16:17], s[16:17], s[10:11]
	s_sub_u32 s20, s16, s10
	s_load_dwordx4 s[16:19], s[4:5], 0x44
	s_cbranch_execnz .LBB32_3
.LBB32_2:
	v_cvt_f32_u32_e32 v1, s9
	s_sub_i32 s0, 0, s9
	v_rcp_iflag_f32_e32 v1, v1
	v_mul_f32_e32 v1, 0x4f7ffffe, v1
	v_cvt_u32_f32_e32 v1, v1
	v_readfirstlane_b32 s1, v1
	s_mul_i32 s0, s0, s1
	s_mul_hi_u32 s0, s1, s0
	s_add_i32 s1, s1, s0
	s_mul_hi_u32 s0, s2, s1
	s_mul_i32 s3, s0, s9
	s_sub_i32 s2, s2, s3
	s_add_i32 s1, s0, 1
	s_sub_i32 s3, s2, s9
	s_cmp_ge_u32 s2, s9
	s_cselect_b32 s0, s1, s0
	s_cselect_b32 s2, s3, s2
	s_add_i32 s1, s0, 1
	s_cmp_ge_u32 s2, s9
	s_cselect_b32 s20, s1, s0
.LBB32_3:
	s_add_i32 s0, s6, 1
	s_mul_hi_i32 s3, s15, s0
	s_mov_b32 s2, 0
	s_cmp_lg_u64 s[2:3], 0
	s_mul_i32 s2, s15, s0
	s_cbranch_scc0 .LBB32_22
; %bb.4:
	v_cvt_f32_u32_e32 v1, s9
	v_cvt_f32_ubyte0_e32 v2, 0
	s_sub_u32 s10, 0, s9
	s_subb_u32 s11, 0, 0
	v_madmk_f32 v1, v2, 0x4f800000, v1
	v_rcp_f32_e32 v1, v1
	v_mul_f32_e32 v1, 0x5f7ffffc, v1
	v_mul_f32_e32 v2, 0x2f800000, v1
	v_trunc_f32_e32 v2, v2
	v_madmk_f32 v1, v2, 0xcf800000, v1
	v_cvt_u32_f32_e32 v2, v2
	v_cvt_u32_f32_e32 v1, v1
	s_waitcnt lgkmcnt(0)
	v_readfirstlane_b32 s19, v2
	v_readfirstlane_b32 s21, v1
	s_mul_i32 s22, s10, s19
	s_mul_hi_u32 s24, s10, s21
	s_mul_i32 s23, s11, s21
	s_add_i32 s22, s24, s22
	s_add_i32 s22, s22, s23
	s_mul_i32 s25, s10, s21
	s_mul_hi_u32 s23, s21, s22
	s_mul_i32 s24, s21, s22
	s_mul_hi_u32 s21, s21, s25
	s_add_u32 s21, s21, s24
	s_addc_u32 s23, 0, s23
	s_mul_hi_u32 s26, s19, s25
	s_mul_i32 s25, s19, s25
	s_add_u32 s21, s21, s25
	s_mul_hi_u32 s24, s19, s22
	s_addc_u32 s21, s23, s26
	s_addc_u32 s23, s24, 0
	s_mul_i32 s22, s19, s22
	s_add_u32 s21, s21, s22
	s_addc_u32 s22, 0, s23
	v_add_co_u32_e32 v1, vcc, s21, v1
	s_cmp_lg_u64 vcc, 0
	s_addc_u32 s19, s19, s22
	v_readfirstlane_b32 s22, v1
	s_mul_i32 s21, s10, s19
	s_mul_hi_u32 s23, s10, s22
	s_add_i32 s21, s23, s21
	s_mul_i32 s11, s11, s22
	s_add_i32 s21, s21, s11
	s_mul_i32 s10, s10, s22
	s_mul_hi_u32 s23, s19, s10
	s_mul_i32 s24, s19, s10
	s_mul_i32 s26, s22, s21
	s_mul_hi_u32 s10, s22, s10
	s_mul_hi_u32 s25, s22, s21
	s_add_u32 s10, s10, s26
	s_addc_u32 s22, 0, s25
	s_add_u32 s10, s10, s24
	s_mul_hi_u32 s11, s19, s21
	s_addc_u32 s10, s22, s23
	s_addc_u32 s11, s11, 0
	s_mul_i32 s21, s19, s21
	s_add_u32 s10, s10, s21
	s_addc_u32 s11, 0, s11
	v_add_co_u32_e32 v1, vcc, s10, v1
	s_cmp_lg_u64 vcc, 0
	s_addc_u32 s19, s19, s11
	s_ashr_i32 s10, s3, 31
	s_add_u32 s22, s2, s10
	s_mov_b32 s11, s10
	s_addc_u32 s23, s3, s10
	s_xor_b64 s[22:23], s[22:23], s[10:11]
	v_readfirstlane_b32 s21, v1
	s_mul_i32 s11, s22, s19
	s_mul_hi_u32 s24, s22, s21
	s_mul_hi_u32 s3, s22, s19
	s_add_u32 s11, s24, s11
	s_addc_u32 s3, 0, s3
	s_mul_hi_u32 s25, s23, s21
	s_mul_i32 s21, s23, s21
	s_add_u32 s11, s11, s21
	s_mul_hi_u32 s24, s23, s19
	s_addc_u32 s3, s3, s25
	s_addc_u32 s11, s24, 0
	s_mul_i32 s19, s23, s19
	s_add_u32 s3, s3, s19
	s_addc_u32 s11, 0, s11
	s_mul_i32 s11, s9, s11
	s_mul_hi_u32 s24, s9, s3
	s_add_i32 s24, s24, s11
	s_mul_i32 s11, s9, s3
	v_mov_b32_e32 v1, s11
	s_add_u32 s19, s3, 1
	s_add_u32 s21, s3, 2
	v_sub_co_u32_e32 v1, vcc, s22, v1
	s_cmp_lg_u64 vcc, 0
	s_subb_u32 s11, s23, s24
	v_subrev_co_u32_e32 v2, vcc, s9, v1
	s_cmp_lg_u64 vcc, 0
	s_subb_u32 s22, s11, 0
	v_cmp_le_u32_e32 vcc, s9, v2
	s_cmp_eq_u32 s22, 0
	v_cndmask_b32_e64 v2, 0, -1, vcc
	s_cselect_b64 vcc, -1, 0
	v_cndmask_b32_e32 v2, -1, v2, vcc
	v_mov_b32_e32 v3, s19
	v_mov_b32_e32 v4, s21
	v_cmp_ne_u32_e32 vcc, 0, v2
	v_cndmask_b32_e32 v2, v3, v4, vcc
	v_cmp_le_u32_e32 vcc, s9, v1
	s_cmp_eq_u32 s11, 0
	v_cndmask_b32_e64 v1, 0, -1, vcc
	s_cselect_b64 vcc, -1, 0
	v_cndmask_b32_e32 v1, -1, v1, vcc
	v_mov_b32_e32 v3, s3
	v_cmp_ne_u32_e32 vcc, 0, v1
	v_cndmask_b32_e32 v1, v3, v2, vcc
	v_xor_b32_e32 v1, s10, v1
	v_subrev_co_u32_e32 v2, vcc, s10, v1
	s_cbranch_execnz .LBB32_6
.LBB32_5:
	v_cvt_f32_u32_e32 v1, s9
	s_sub_i32 s0, 0, s9
	s_mov_b32 s1, 0
	v_rcp_iflag_f32_e32 v1, v1
	v_mul_f32_e32 v1, 0x4f7ffffe, v1
	v_cvt_u32_f32_e32 v1, v1
	v_readfirstlane_b32 s3, v1
	s_mul_i32 s0, s0, s3
	s_mul_hi_u32 s0, s3, s0
	s_add_i32 s3, s3, s0
	s_mul_hi_u32 s0, s2, s3
	s_mul_i32 s10, s0, s9
	s_sub_i32 s2, s2, s10
	s_add_i32 s3, s0, 1
	s_sub_i32 s10, s2, s9
	s_cmp_ge_u32 s2, s9
	s_cselect_b32 s0, s3, s0
	s_cselect_b32 s2, s10, s2
	s_add_i32 s3, s0, 1
	s_cmp_ge_u32 s2, s9
	s_cselect_b32 s0, s3, s0
	v_pk_mov_b32 v[2:3], s[0:1], s[0:1] op_sel:[0,1]
.LBB32_6:
	s_waitcnt lgkmcnt(0)
	s_mul_hi_u32 s0, s20, s16
	s_add_i32 s0, s0, s20
	v_mul_hi_u32 v1, v2, s16
	s_lshr_b32 s19, s0, s17
	v_add_u32_e32 v1, v1, v2
	s_mul_i32 s0, s19, s18
	v_lshrrev_b32_e32 v1, s17, v1
	s_cmp_eq_u32 s0, s20
	v_cmp_eq_u32_e64 s[0:1], s19, v1
	v_mul_lo_u32 v1, v1, s18
	v_cmp_eq_u32_e32 vcc, s20, v2
	s_cselect_b64 s[10:11], -1, 0
	v_cmp_ne_u32_e64 s[2:3], v1, v2
	s_and_b64 s[0:1], s[0:1], s[2:3]
	s_or_b64 s[2:3], vcc, s[10:11]
	s_or_b64 s[0:1], s[2:3], s[0:1]
	s_and_b64 vcc, exec, s[0:1]
	s_cbranch_vccnz .LBB32_24
; %bb.7:
	s_load_dwordx8 s[24:31], s[4:5], 0x20
	s_load_dword s0, s[4:5], 0x40
	s_mov_b32 s10, 0
	s_waitcnt lgkmcnt(0)
	s_mul_hi_u32 s1, s20, s24
	s_add_i32 s1, s1, s20
	s_lshr_b32 s11, s1, s25
	s_mul_i32 s1, s11, s26
	s_sub_i32 s1, s20, s1
	s_mul_hi_u32 s2, s1, s27
	s_add_i32 s2, s1, s2
	s_lshr_b32 s24, s2, s28
	s_mul_i32 s2, s24, s29
	s_sub_i32 s1, s1, s2
	;; [unrolled: 5-line block ×3, first 2 shown]
	s_mul_hi_u32 s1, s0, s16
	s_add_i32 s0, s0, s1
	s_lshr_b32 s26, s0, s17
	s_lshl_b32 s0, s26, 3
	s_lshl_b32 s25, s2, 1
	s_add_i32 s0, s0, s7
	s_cmp_lt_i32 s0, s12
	s_cselect_b64 s[0:1], -1, 0
	s_add_i32 s2, s25, s8
	s_cmp_lt_i32 s2, s14
	s_cselect_b64 s[2:3], -1, 0
	s_and_b64 s[0:1], s[0:1], s[2:3]
	s_andn2_b64 vcc, exec, s[0:1]
	s_cbranch_vccnz .LBB32_24
; %bb.8:
	s_load_dwordx4 s[0:3], s[4:5], 0x0
	s_lshl_b32 s21, s7, 1
	s_lshl_b32 s4, s9, 6
	s_mov_b32 s5, s10
	s_add_i32 s21, s21, s8
	s_lshl_b64 s[4:5], s[4:5], 2
	s_waitcnt lgkmcnt(0)
	s_add_u32 s22, s2, s4
	s_mul_i32 s4, s11, s12
	s_addc_u32 s23, s3, s5
	s_add_i32 s4, s4, s7
	s_mul_i32 s4, s4, s13
	s_mul_i32 s24, s24, s14
	s_add_i32 s4, s4, s8
	s_add_i32 s4, s4, s24
	s_mul_i32 s5, s13, s26
	s_add_i32 s4, s4, s25
	s_lshl_b32 s5, s5, 11
	s_lshl_b32 s4, s4, 8
	s_add_i32 s5, s5, s4
	v_or_b32_e32 v2, s5, v0
	v_ashrrev_i32_e32 v3, 31, v2
	v_lshlrev_b64 v[2:3], 2, v[2:3]
	v_mov_b32_e32 v1, s1
	v_add_co_u32_e32 v2, vcc, s0, v2
	v_addc_co_u32_e32 v3, vcc, v1, v3, vcc
	global_load_dword v5, v[2:3], off
	v_lshl_or_b32 v4, s21, 8, v0
	v_cvt_f32_u32_e32 v0, s9
	v_cvt_f32_ubyte0_e32 v1, 0
	s_lshl_b32 s0, s6, 4
	s_add_i32 s0, s21, s0
	v_mac_f32_e32 v0, 0x4f800000, v1
	v_rcp_f32_e32 v0, v0
	v_cvt_f32_u32_e32 v1, s9
	s_ashr_i32 s1, s0, 31
	s_lshl_b64 s[0:1], s[0:1], 3
	v_mul_f32_e32 v0, 0x5f7ffffc, v0
	v_rcp_iflag_f32_e32 v1, v1
	s_add_u32 s0, s2, s0
	v_mul_f32_e32 v9, 0x2f800000, v0
	s_addc_u32 s1, s3, s1
	v_trunc_f32_e32 v10, v9
	s_load_dwordx2 s[0:1], s[0:1], 0x0
	v_mac_f32_e32 v0, 0xcf800000, v10
	v_cvt_u32_f32_e32 v9, v0
	v_mul_f32_e32 v0, 0x4f7ffffe, v1
	v_cvt_u32_f32_e32 v10, v10
	v_cvt_u32_f32_e32 v11, v0
	s_add_i32 s8, s6, -1
	s_waitcnt lgkmcnt(0)
	v_mov_b32_e32 v6, s1
	v_mov_b32_e32 v7, s0
	;; [unrolled: 1-line block ×3, first 2 shown]
	s_mov_b32 s6, 0x3fb8aa3b
	s_mov_b32 s7, 0xc2ce8ed0
	;; [unrolled: 1-line block ×4, first 2 shown]
	v_mov_b32_e32 v12, 0x7f800000
	s_mul_hi_i32 s11, s8, s15
	s_cmp_lg_u64 s[10:11], 0
	s_mul_i32 s4, s8, s15
	s_cbranch_scc0 .LBB32_15
.LBB32_9:
	s_sub_u32 s0, 0, s9
	v_readfirstlane_b32 s5, v9
	v_readfirstlane_b32 s24, v10
	s_subb_u32 s1, 0, 0
	s_mul_hi_u32 s20, s0, s5
	s_mul_i32 s25, s0, s24
	s_mul_i32 s14, s1, s5
	s_add_i32 s20, s20, s25
	s_add_i32 s20, s20, s14
	s_mul_i32 s26, s0, s5
	s_mul_hi_u32 s14, s5, s20
	s_mul_i32 s25, s5, s20
	s_mul_hi_u32 s5, s5, s26
	s_add_u32 s5, s5, s25
	s_addc_u32 s14, 0, s14
	s_mul_hi_u32 s27, s24, s26
	s_mul_i32 s26, s24, s26
	s_add_u32 s5, s5, s26
	s_mul_hi_u32 s25, s24, s20
	s_addc_u32 s5, s14, s27
	s_addc_u32 s14, s25, 0
	s_mul_i32 s20, s24, s20
	s_add_u32 s5, s5, s20
	s_addc_u32 s14, 0, s14
	v_add_co_u32_e32 v0, vcc, s5, v9
	s_cmp_lg_u64 vcc, 0
	s_addc_u32 s5, s24, s14
	v_readfirstlane_b32 s20, v0
	s_mul_i32 s14, s0, s5
	s_mul_hi_u32 s24, s0, s20
	s_add_i32 s14, s24, s14
	s_mul_i32 s1, s1, s20
	s_add_i32 s14, s14, s1
	s_mul_i32 s0, s0, s20
	s_mul_hi_u32 s24, s5, s0
	s_mul_i32 s25, s5, s0
	s_mul_i32 s27, s20, s14
	s_mul_hi_u32 s0, s20, s0
	s_mul_hi_u32 s26, s20, s14
	s_add_u32 s0, s0, s27
	s_addc_u32 s20, 0, s26
	s_add_u32 s0, s0, s25
	s_mul_hi_u32 s1, s5, s14
	s_addc_u32 s0, s20, s24
	s_addc_u32 s1, s1, 0
	s_mul_i32 s14, s5, s14
	s_add_u32 s0, s0, s14
	s_addc_u32 s1, 0, s1
	v_add_co_u32_e32 v0, vcc, s0, v0
	s_cmp_lg_u64 vcc, 0
	s_addc_u32 s5, s5, s1
	s_ashr_i32 s0, s11, 31
	s_add_u32 s24, s4, s0
	s_mov_b32 s1, s0
	s_addc_u32 s25, s11, s0
	s_xor_b64 s[24:25], s[24:25], s[0:1]
	v_readfirstlane_b32 s14, v0
	s_mul_i32 s11, s24, s5
	s_mul_hi_u32 s20, s24, s14
	s_mul_hi_u32 s1, s24, s5
	s_add_u32 s11, s20, s11
	s_addc_u32 s1, 0, s1
	s_mul_hi_u32 s26, s25, s14
	s_mul_i32 s14, s25, s14
	s_add_u32 s11, s11, s14
	s_mul_hi_u32 s20, s25, s5
	s_addc_u32 s1, s1, s26
	s_addc_u32 s11, s20, 0
	s_mul_i32 s5, s25, s5
	s_add_u32 s1, s1, s5
	s_addc_u32 s5, 0, s11
	s_mul_i32 s5, s9, s5
	s_mul_hi_u32 s20, s9, s1
	s_add_i32 s20, s20, s5
	s_mul_i32 s5, s9, s1
	v_mov_b32_e32 v0, s5
	s_add_u32 s11, s1, 1
	s_add_u32 s14, s1, 2
	v_sub_co_u32_e32 v0, vcc, s24, v0
	s_cmp_lg_u64 vcc, 0
	s_subb_u32 s5, s25, s20
	v_subrev_co_u32_e32 v1, vcc, s9, v0
	s_cmp_lg_u64 vcc, 0
	s_subb_u32 s20, s5, 0
	v_cmp_le_u32_e32 vcc, s9, v1
	s_cmp_eq_u32 s20, 0
	v_cndmask_b32_e64 v1, 0, -1, vcc
	s_cselect_b64 vcc, -1, 0
	v_cndmask_b32_e32 v1, -1, v1, vcc
	v_mov_b32_e32 v13, s11
	v_mov_b32_e32 v14, s14
	v_cmp_ne_u32_e32 vcc, 0, v1
	v_cndmask_b32_e32 v1, v13, v14, vcc
	v_cmp_le_u32_e32 vcc, s9, v0
	s_cmp_eq_u32 s5, 0
	v_cndmask_b32_e64 v0, 0, -1, vcc
	s_cselect_b64 vcc, -1, 0
	v_cndmask_b32_e32 v0, -1, v0, vcc
	v_mov_b32_e32 v13, s1
	v_cmp_ne_u32_e32 vcc, 0, v0
	v_cndmask_b32_e32 v0, v13, v1, vcc
	v_xor_b32_e32 v0, s0, v0
	v_subrev_co_u32_e32 v0, vcc, s0, v0
	s_cbranch_execnz .LBB32_11
.LBB32_10:
	s_sub_i32 s0, 0, s9
	v_mul_lo_u32 v0, s0, v11
	v_mul_hi_u32 v0, v11, v0
	v_add_u32_e32 v0, v11, v0
	v_mul_hi_u32 v0, s4, v0
	v_mul_lo_u32 v13, v0, s9
	v_sub_u32_e32 v13, s4, v13
	v_add_u32_e32 v1, 1, v0
	v_subrev_u32_e32 v14, s9, v13
	v_cmp_le_u32_e32 vcc, s9, v13
	v_cndmask_b32_e32 v13, v13, v14, vcc
	v_cndmask_b32_e32 v0, v0, v1, vcc
	v_add_u32_e32 v1, 1, v0
	v_cmp_le_u32_e32 vcc, s9, v13
	v_cndmask_b32_e32 v0, v0, v1, vcc
.LBB32_11:
	v_cmp_ne_u32_e32 vcc, v8, v0
	s_cbranch_vccz .LBB32_14
; %bb.12:
	s_add_i32 s0, s8, s9
	s_lshl_b32 s0, s0, 4
	v_mul_hi_u32 v1, v0, s16
	s_add_i32 s0, s0, s21
	s_mov_b32 s1, s10
	v_add_u32_e32 v1, v1, v0
	s_lshl_b64 s[0:1], s[0:1], 3
	v_lshrrev_b32_e32 v1, s17, v1
	s_add_u32 s4, s2, s0
	v_mul_lo_u32 v13, v1, s18
	s_addc_u32 s5, s3, s1
	v_cmp_eq_u32_e32 vcc, v13, v0
	v_cmp_gt_u32_e64 s[0:1], s19, v1
	s_or_b64 s[0:1], s[0:1], vcc
	s_and_b64 vcc, exec, s[0:1]
	s_cbranch_vccnz .LBB32_16
; %bb.13:
	s_add_i32 s11, s8, -1
	s_mov_b64 s[0:1], 0
	s_branch .LBB32_17
.LBB32_14:
                                        ; implicit-def: $sgpr0_sgpr1
                                        ; implicit-def: $vgpr14
                                        ; implicit-def: $vgpr1
                                        ; implicit-def: $vgpr13
                                        ; implicit-def: $sgpr11
                                        ; implicit-def: $vgpr0
	s_branch .LBB32_18
.LBB32_15:
                                        ; implicit-def: $vgpr0_vgpr1
	s_branch .LBB32_10
.LBB32_16:
	s_mov_b64 s[0:1], -1
	s_mov_b32 s11, s8
	v_mov_b32_e32 v0, v8
.LBB32_17:
	v_lshl_add_u32 v14, s8, 12, v4
	v_ashrrev_i32_e32 v15, 31, v14
	v_lshlrev_b64 v[14:15], 2, v[14:15]
	v_mov_b32_e32 v1, s23
	v_add_co_u32_e32 v14, vcc, s22, v14
	v_addc_co_u32_e32 v15, vcc, v1, v15, vcc
	global_load_dword v14, v[14:15], off
	s_load_dwordx2 s[4:5], s[4:5], 0x0
	v_max_f32_e32 v1, v7, v7
	s_waitcnt lgkmcnt(0)
	v_max_f32_e64 v13, s4, s4
	v_max_f32_e32 v1, v1, v13
	v_sub_f32_e32 v13, v7, v1
	v_sub_f32_e32 v15, s4, v1
	v_mul_f32_e32 v16, 0x3fb8aa3b, v13
	v_mul_f32_e32 v17, 0x3fb8aa3b, v15
	v_fma_f32 v18, v13, s6, -v16
	v_rndne_f32_e32 v19, v16
	v_fma_f32 v20, v15, s6, -v17
	v_rndne_f32_e32 v21, v17
	v_fmac_f32_e32 v18, 0x32a5705f, v13
	v_sub_f32_e32 v16, v16, v19
	v_fmac_f32_e32 v20, 0x32a5705f, v15
	v_sub_f32_e32 v17, v17, v21
	v_add_f32_e32 v16, v16, v18
	v_cvt_i32_f32_e32 v19, v19
	v_add_f32_e32 v17, v17, v20
	v_exp_f32_e32 v16, v16
	v_cvt_i32_f32_e32 v21, v21
	v_exp_f32_e32 v17, v17
	v_cmp_ngt_f32_e32 vcc, s7, v13
	v_ldexp_f32 v16, v16, v19
	v_cndmask_b32_e32 v16, 0, v16, vcc
	v_ldexp_f32 v17, v17, v21
	v_cmp_ngt_f32_e32 vcc, s7, v15
	v_cndmask_b32_e32 v17, 0, v17, vcc
	v_cmp_nlt_f32_e32 vcc, s12, v13
	v_cndmask_b32_e32 v16, v12, v16, vcc
	v_cmp_nlt_f32_e32 vcc, s12, v15
	v_cndmask_b32_e32 v17, v12, v17, vcc
	v_cmp_le_f32_e32 vcc, s13, v13
	v_cndmask_b32_e32 v16, 0, v16, vcc
	v_cmp_le_f32_e32 vcc, s13, v15
	v_cndmask_b32_e32 v15, 0, v17, vcc
	v_mul_f32_e32 v13, s5, v15
	v_fmac_f32_e32 v13, v6, v16
	s_waitcnt vmcnt(0)
	v_mul_f32_e32 v14, v14, v15
	v_fmac_f32_e32 v14, v5, v16
	s_cbranch_execnz .LBB32_19
.LBB32_18:
	s_add_i32 s11, s8, -1
	s_mov_b64 s[0:1], 0
	v_mov_b32_e32 v0, v8
	v_mov_b32_e32 v13, v6
	;; [unrolled: 1-line block ×3, first 2 shown]
	s_waitcnt vmcnt(0)
	v_mov_b32_e32 v14, v5
.LBB32_19:
	s_andn2_b64 vcc, exec, s[0:1]
	s_cbranch_vccz .LBB32_23
; %bb.20:
	v_mov_b32_e32 v8, v0
	s_mov_b32 s8, s11
	v_mov_b32_e32 v6, v13
	v_mov_b32_e32 v7, v1
	s_waitcnt vmcnt(0)
	v_mov_b32_e32 v5, v14
	s_mul_hi_i32 s11, s8, s15
	s_cmp_lg_u64 s[10:11], 0
	s_mul_i32 s4, s8, s15
	s_cbranch_scc1 .LBB32_9
	s_branch .LBB32_15
.LBB32_21:
                                        ; implicit-def: $sgpr20_sgpr21
	s_load_dwordx4 s[16:19], s[4:5], 0x44
	s_branch .LBB32_2
.LBB32_22:
                                        ; implicit-def: $vgpr2_vgpr3
	s_branch .LBB32_5
.LBB32_23:
	v_div_scale_f32 v0, s[0:1], v13, v13, v14
	v_rcp_f32_e32 v1, v0
	v_div_scale_f32 v4, vcc, v14, v13, v14
	s_waitcnt vmcnt(0)
	v_fma_f32 v5, -v0, v1, 1.0
	v_fmac_f32_e32 v1, v5, v1
	v_mul_f32_e32 v5, v4, v1
	v_fma_f32 v6, -v0, v5, v4
	v_fmac_f32_e32 v5, v6, v1
	v_fma_f32 v0, -v0, v5, v4
	v_div_fmas_f32 v0, v0, v1, v5
	v_div_fixup_f32 v0, v0, v13, v14
	global_store_dword v[2:3], v0, off
.LBB32_24:
	s_endpgm
	.section	.rodata,"a",@progbits
	.p2align	6, 0x0
	.amdhsa_kernel _ZL33flash_attn_stream_k_fixup_generalILi256ELi8ELi2EEvPfPK15HIP_vector_typeIfLj2EEiiiiS1_IjLj3EES5_S5_S5_
		.amdhsa_group_segment_fixed_size 0
		.amdhsa_private_segment_fixed_size 0
		.amdhsa_kernarg_size 336
		.amdhsa_user_sgpr_count 6
		.amdhsa_user_sgpr_private_segment_buffer 1
		.amdhsa_user_sgpr_dispatch_ptr 0
		.amdhsa_user_sgpr_queue_ptr 0
		.amdhsa_user_sgpr_kernarg_segment_ptr 1
		.amdhsa_user_sgpr_dispatch_id 0
		.amdhsa_user_sgpr_flat_scratch_init 0
		.amdhsa_user_sgpr_kernarg_preload_length 0
		.amdhsa_user_sgpr_kernarg_preload_offset 0
		.amdhsa_user_sgpr_private_segment_size 0
		.amdhsa_uses_dynamic_stack 0
		.amdhsa_system_sgpr_private_segment_wavefront_offset 0
		.amdhsa_system_sgpr_workgroup_id_x 1
		.amdhsa_system_sgpr_workgroup_id_y 1
		.amdhsa_system_sgpr_workgroup_id_z 1
		.amdhsa_system_sgpr_workgroup_info 0
		.amdhsa_system_vgpr_workitem_id 0
		.amdhsa_next_free_vgpr 22
		.amdhsa_next_free_sgpr 32
		.amdhsa_accum_offset 24
		.amdhsa_reserve_vcc 1
		.amdhsa_reserve_flat_scratch 0
		.amdhsa_float_round_mode_32 0
		.amdhsa_float_round_mode_16_64 0
		.amdhsa_float_denorm_mode_32 3
		.amdhsa_float_denorm_mode_16_64 3
		.amdhsa_dx10_clamp 1
		.amdhsa_ieee_mode 1
		.amdhsa_fp16_overflow 0
		.amdhsa_tg_split 0
		.amdhsa_exception_fp_ieee_invalid_op 0
		.amdhsa_exception_fp_denorm_src 0
		.amdhsa_exception_fp_ieee_div_zero 0
		.amdhsa_exception_fp_ieee_overflow 0
		.amdhsa_exception_fp_ieee_underflow 0
		.amdhsa_exception_fp_ieee_inexact 0
		.amdhsa_exception_int_div_zero 0
	.end_amdhsa_kernel
	.section	.text._ZL33flash_attn_stream_k_fixup_generalILi256ELi8ELi2EEvPfPK15HIP_vector_typeIfLj2EEiiiiS1_IjLj3EES5_S5_S5_,"axG",@progbits,_ZL33flash_attn_stream_k_fixup_generalILi256ELi8ELi2EEvPfPK15HIP_vector_typeIfLj2EEiiiiS1_IjLj3EES5_S5_S5_,comdat
.Lfunc_end32:
	.size	_ZL33flash_attn_stream_k_fixup_generalILi256ELi8ELi2EEvPfPK15HIP_vector_typeIfLj2EEiiiiS1_IjLj3EES5_S5_S5_, .Lfunc_end32-_ZL33flash_attn_stream_k_fixup_generalILi256ELi8ELi2EEvPfPK15HIP_vector_typeIfLj2EEiiiiS1_IjLj3EES5_S5_S5_
                                        ; -- End function
	.section	.AMDGPU.csdata,"",@progbits
; Kernel info:
; codeLenInByte = 2824
; NumSgprs: 36
; NumVgprs: 22
; NumAgprs: 0
; TotalNumVgprs: 22
; ScratchSize: 0
; MemoryBound: 0
; FloatMode: 240
; IeeeMode: 1
; LDSByteSize: 0 bytes/workgroup (compile time only)
; SGPRBlocks: 4
; VGPRBlocks: 2
; NumSGPRsForWavesPerEU: 36
; NumVGPRsForWavesPerEU: 22
; AccumOffset: 24
; Occupancy: 8
; WaveLimiterHint : 0
; COMPUTE_PGM_RSRC2:SCRATCH_EN: 0
; COMPUTE_PGM_RSRC2:USER_SGPR: 6
; COMPUTE_PGM_RSRC2:TRAP_HANDLER: 0
; COMPUTE_PGM_RSRC2:TGID_X_EN: 1
; COMPUTE_PGM_RSRC2:TGID_Y_EN: 1
; COMPUTE_PGM_RSRC2:TGID_Z_EN: 1
; COMPUTE_PGM_RSRC2:TIDIG_COMP_CNT: 0
; COMPUTE_PGM_RSRC3_GFX90A:ACCUM_OFFSET: 5
; COMPUTE_PGM_RSRC3_GFX90A:TG_SPLIT: 0
	.section	.text._ZL26flash_attn_combine_resultsILi256EEvPKfPK15HIP_vector_typeIfLj2EEPfi,"axG",@progbits,_ZL26flash_attn_combine_resultsILi256EEvPKfPK15HIP_vector_typeIfLj2EEPfi,comdat
	.globl	_ZL26flash_attn_combine_resultsILi256EEvPKfPK15HIP_vector_typeIfLj2EEPfi ; -- Begin function _ZL26flash_attn_combine_resultsILi256EEvPKfPK15HIP_vector_typeIfLj2EEPfi
	.p2align	8
	.type	_ZL26flash_attn_combine_resultsILi256EEvPKfPK15HIP_vector_typeIfLj2EEPfi,@function
_ZL26flash_attn_combine_resultsILi256EEvPKfPK15HIP_vector_typeIfLj2EEPfi: ; @_ZL26flash_attn_combine_resultsILi256EEvPKfPK15HIP_vector_typeIfLj2EEPfi
; %bb.0:
	s_load_dwordx2 s[10:11], s[4:5], 0x20
	s_load_dword s17, s[4:5], 0x18
	s_load_dwordx4 s[0:3], s[4:5], 0x0
	s_load_dwordx2 s[14:15], s[4:5], 0x10
	s_waitcnt lgkmcnt(0)
	s_mul_i32 s4, s10, s8
	s_add_i32 s4, s4, s6
	s_mul_i32 s16, s4, s11
	s_add_i32 s16, s16, s7
	s_lshl_b32 s18, s17, 1
	s_mul_i32 s4, s16, s17
	v_cmp_gt_i32_e32 vcc, s18, v0
	s_and_saveexec_b64 s[6:7], vcc
	s_cbranch_execz .LBB33_13
; %bb.1:
	v_xad_u32 v1, v0, -1, s18
	s_movk_i32 s8, 0xff
	s_ashr_i32 s5, s4, 31
	v_cmp_lt_u32_e32 vcc, s8, v1
	s_mov_b64 s[10:11], -1
	v_mov_b32_e32 v2, v0
	s_and_saveexec_b64 s[8:9], vcc
	s_cbranch_execz .LBB33_10
; %bb.2:
	v_lshrrev_b32_e32 v6, 8, v1
	s_lshl_b64 s[10:11], s[4:5], 3
	v_add_u32_e32 v2, -1, v6
	s_add_u32 s19, s2, s10
	v_or_b32_e32 v1, 0x100, v0
	v_lshrrev_b32_e32 v3, 1, v2
	s_addc_u32 s20, s3, s11
	v_add_u32_e32 v7, 1, v3
	v_cmp_lt_u32_e32 vcc, 13, v2
	v_mov_b32_e32 v4, 0
	v_pk_mov_b32 v[2:3], v[0:1], v[0:1] op_sel:[0,1]
	s_and_saveexec_b64 s[10:11], vcc
	s_cbranch_execz .LBB33_6
; %bb.3:
	v_and_b32_e32 v8, -8, v7
	s_mov_b32 s21, 0
	v_lshl_add_u32 v9, v0, 2, 0
	s_mov_b64 s[12:13], 0
	v_mov_b32_e32 v10, s20
	v_mov_b32_e32 v5, 0
	v_pk_mov_b32 v[2:3], v[0:1], v[0:1] op_sel:[0,1]
.LBB33_4:                               ; =>This Inner Loop Header: Depth=1
	v_mov_b32_e32 v4, v2
	v_lshlrev_b64 v[26:27], 2, v[4:5]
	v_add_u32_e32 v12, 0x200, v3
	v_mov_b32_e32 v13, v5
	v_add_co_u32_e32 v26, vcc, s19, v26
	v_lshlrev_b64 v[12:13], 2, v[12:13]
	v_addc_co_u32_e32 v27, vcc, v10, v27, vcc
	v_add_u32_e32 v14, 0x400, v3
	v_mov_b32_e32 v15, v5
	v_add_co_u32_e32 v12, vcc, s19, v12
	v_lshlrev_b64 v[14:15], 2, v[14:15]
	v_addc_co_u32_e32 v13, vcc, v10, v13, vcc
	;; [unrolled: 5-line block ×7, first 2 shown]
	v_mov_b32_e32 v4, v3
	v_add_co_u32_e32 v24, vcc, s19, v24
	v_lshlrev_b64 v[28:29], 2, v[4:5]
	v_addc_co_u32_e32 v25, vcc, v10, v25, vcc
	v_add_u32_e32 v4, 0x200, v2
	v_add_co_u32_e32 v28, vcc, s19, v28
	v_addc_co_u32_e32 v29, vcc, v10, v29, vcc
	global_load_dword v1, v[26:27], off
	v_lshlrev_b64 v[26:27], 2, v[4:5]
	v_add_u32_e32 v4, 0x400, v2
	v_add_co_u32_e32 v26, vcc, s19, v26
	v_addc_co_u32_e32 v27, vcc, v10, v27, vcc
	v_lshlrev_b64 v[30:31], 2, v[4:5]
	v_add_u32_e32 v4, 0x600, v2
	global_load_dword v11, v[28:29], off
	global_load_dword v32, v[26:27], off
	;; [unrolled: 1-line block ×3, first 2 shown]
	v_add_co_u32_e32 v12, vcc, s19, v30
	v_addc_co_u32_e32 v13, vcc, v10, v31, vcc
	v_lshlrev_b64 v[26:27], 2, v[4:5]
	v_add_u32_e32 v4, 0x800, v2
	v_add_co_u32_e32 v26, vcc, s19, v26
	v_addc_co_u32_e32 v27, vcc, v10, v27, vcc
	v_lshlrev_b64 v[28:29], 2, v[4:5]
	v_add_u32_e32 v4, 0xa00, v2
	global_load_dword v30, v[12:13], off
	global_load_dword v31, v[14:15], off
	;; [unrolled: 1-line block ×4, first 2 shown]
	v_add_co_u32_e32 v12, vcc, s19, v28
	v_addc_co_u32_e32 v13, vcc, v10, v29, vcc
	v_lshlrev_b64 v[14:15], 2, v[4:5]
	v_add_u32_e32 v4, 0xc00, v2
	v_add_co_u32_e32 v14, vcc, s19, v14
	v_addc_co_u32_e32 v15, vcc, v10, v15, vcc
	v_lshlrev_b64 v[16:17], 2, v[4:5]
	v_add_u32_e32 v4, 0xe00, v2
	global_load_dword v26, v[12:13], off
	global_load_dword v27, v[18:19], off
	;; [unrolled: 1-line block ×4, first 2 shown]
	v_add_co_u32_e32 v12, vcc, s19, v16
	v_addc_co_u32_e32 v13, vcc, v10, v17, vcc
	v_lshlrev_b64 v[14:15], 2, v[4:5]
	v_add_co_u32_e32 v14, vcc, s19, v14
	v_addc_co_u32_e32 v15, vcc, v10, v15, vcc
	global_load_dword v16, v[12:13], off
	global_load_dword v17, v[22:23], off
	;; [unrolled: 1-line block ×4, first 2 shown]
	v_add_u32_e32 v8, -8, v8
	s_add_i32 s21, s21, 16
	v_cmp_eq_u32_e32 vcc, 0, v8
	v_add_u32_e32 v3, 0x1000, v3
	v_mov_b32_e32 v4, s21
	s_or_b64 s[12:13], vcc, s[12:13]
	v_add_u32_e32 v2, 0x1000, v2
	s_waitcnt vmcnt(14)
	ds_write2st64_b32 v9, v1, v11 offset1:4
	s_waitcnt vmcnt(12)
	ds_write2st64_b32 v9, v32, v33 offset0:8 offset1:12
	s_waitcnt vmcnt(10)
	ds_write2st64_b32 v9, v30, v31 offset0:16 offset1:20
	;; [unrolled: 2-line block ×7, first 2 shown]
	v_add_u32_e32 v9, 0x4000, v9
	s_andn2_b64 exec, exec, s[12:13]
	s_cbranch_execnz .LBB33_4
; %bb.5:
	s_or_b64 exec, exec, s[12:13]
.LBB33_6:
	s_or_b64 exec, exec, s[10:11]
	v_and_b32_e32 v1, 7, v7
	v_cmp_ne_u32_e32 vcc, 0, v1
	s_and_saveexec_b64 s[10:11], vcc
	s_cbranch_execz .LBB33_9
; %bb.7:
	v_lshlrev_b32_e32 v5, 2, v0
	v_lshl_or_b32 v4, v4, 10, v5
	v_add_u32_e32 v7, 0, v4
	s_mov_b64 s[12:13], 0
	v_mov_b32_e32 v8, s20
	v_mov_b32_e32 v5, 0
.LBB33_8:                               ; =>This Inner Loop Header: Depth=1
	v_mov_b32_e32 v4, v2
	v_lshlrev_b64 v[10:11], 2, v[4:5]
	v_mov_b32_e32 v4, v3
	v_add_co_u32_e32 v10, vcc, s19, v10
	v_addc_co_u32_e32 v11, vcc, v8, v11, vcc
	v_lshlrev_b64 v[12:13], 2, v[4:5]
	v_add_co_u32_e32 v12, vcc, s19, v12
	v_addc_co_u32_e32 v13, vcc, v8, v13, vcc
	global_load_dword v4, v[10:11], off
	global_load_dword v9, v[12:13], off
	v_add_u32_e32 v1, -1, v1
	v_cmp_eq_u32_e32 vcc, 0, v1
	v_add_u32_e32 v2, 0x200, v2
	v_add_u32_e32 v3, 0x200, v3
	s_or_b64 s[12:13], vcc, s[12:13]
	s_waitcnt vmcnt(0)
	ds_write2st64_b32 v7, v4, v9 offset1:4
	v_add_u32_e32 v7, 0x800, v7
	s_andn2_b64 exec, exec, s[12:13]
	s_cbranch_execnz .LBB33_8
.LBB33_9:
	s_or_b64 exec, exec, s[10:11]
	v_add_u32_e32 v1, 1, v6
	v_and_b32_e32 v3, 0x1fffffe, v1
	v_cmp_ne_u32_e32 vcc, v1, v3
	v_lshl_or_b32 v2, v3, 8, v0
	s_orn2_b64 s[10:11], vcc, exec
.LBB33_10:
	s_or_b64 exec, exec, s[8:9]
	s_and_b64 exec, exec, s[10:11]
	s_cbranch_execz .LBB33_13
; %bb.11:
	s_lshl_b64 s[8:9], s[4:5], 3
	v_mov_b32_e32 v3, 0
	s_add_u32 s2, s2, s8
	v_lshlrev_b64 v[4:5], 2, v[2:3]
	s_addc_u32 s3, s3, s9
	v_mov_b32_e32 v1, s3
	v_add_co_u32_e32 v4, vcc, s2, v4
	v_addc_co_u32_e32 v5, vcc, v1, v5, vcc
	v_lshl_add_u32 v1, v2, 2, 0
	s_mov_b64 s[2:3], 0
.LBB33_12:                              ; =>This Inner Loop Header: Depth=1
	global_load_dword v3, v[4:5], off
	v_add_co_u32_e32 v4, vcc, 0x400, v4
	v_add_u32_e32 v2, 0x100, v2
	v_addc_co_u32_e32 v5, vcc, 0, v5, vcc
	v_cmp_le_i32_e32 vcc, s18, v2
	s_or_b64 s[2:3], vcc, s[2:3]
	s_waitcnt vmcnt(0)
	ds_write_b32 v1, v3
	v_add_u32_e32 v1, 0x400, v1
	s_andn2_b64 exec, exec, s[2:3]
	s_cbranch_execnz .LBB33_12
.LBB33_13:
	s_or_b64 exec, exec, s[6:7]
	v_mov_b32_e32 v1, 0
	s_waitcnt lgkmcnt(0)
	s_barrier
	ds_read_b32 v1, v1
	s_cmp_lt_i32 s17, 2
	s_cbranch_scc1 .LBB33_21
; %bb.14:
	s_add_i32 s2, s17, -1
	s_add_i32 s3, s17, -2
	s_cmp_lt_u32 s3, 7
	s_cbranch_scc1 .LBB33_18
; %bb.15:
	s_mov_b32 s6, 0
	s_add_i32 s3, 0, 8
	s_and_b32 s5, s2, -8
.LBB33_16:                              ; =>This Inner Loop Header: Depth=1
	v_mov_b32_e32 v8, s3
	ds_read2_b32 v[2:3], v8 offset1:2
	ds_read2_b32 v[4:5], v8 offset0:4 offset1:6
	ds_read2_b32 v[6:7], v8 offset0:8 offset1:10
	;; [unrolled: 1-line block ×3, first 2 shown]
	s_mov_b32 s7, s6
	s_waitcnt lgkmcnt(3)
	v_max3_f32 v1, v1, v2, v3
	s_waitcnt lgkmcnt(2)
	v_max3_f32 v1, v1, v4, v5
	s_add_i32 s3, s3, 64
	s_add_i32 s6, s6, 8
	s_waitcnt lgkmcnt(1)
	v_max3_f32 v1, v1, v6, v7
	s_cmp_eq_u32 s5, s6
	s_waitcnt lgkmcnt(0)
	v_max3_f32 v1, v1, v8, v9
	s_cbranch_scc0 .LBB33_16
; %bb.17:
	s_add_i32 s3, s7, 9
	s_and_b32 s2, s2, 7
	s_cmp_eq_u32 s2, 0
	s_cbranch_scc0 .LBB33_19
	s_branch .LBB33_21
.LBB33_18:
	s_mov_b32 s3, 1
	s_and_b32 s2, s2, 7
	s_cmp_eq_u32 s2, 0
	s_cbranch_scc1 .LBB33_21
.LBB33_19:
	s_lshl_b32 s3, s3, 3
	s_add_i32 s3, s3, 0
.LBB33_20:                              ; =>This Inner Loop Header: Depth=1
	v_mov_b32_e32 v2, s3
	ds_read_b32 v2, v2
	s_waitcnt lgkmcnt(1)
	v_max_f32_e32 v1, v1, v1
	s_add_i32 s3, s3, 8
	s_add_i32 s2, s2, -1
	s_cmp_lg_u32 s2, 0
	s_waitcnt lgkmcnt(0)
	v_max_f32_e32 v2, v2, v2
	v_max_f32_e32 v1, v1, v2
	s_cbranch_scc1 .LBB33_20
.LBB33_21:
	s_cmp_lt_i32 s17, 1
	s_cbranch_scc1 .LBB33_26
; %bb.22:
	s_lshl_b32 s2, s4, 8
	s_ashr_i32 s3, s2, 31
	s_lshl_b64 s[2:3], s[2:3], 2
	s_add_u32 s18, s0, s2
	s_addc_u32 s19, s1, s3
	s_cmp_lt_u32 s17, 8
	v_mov_b32_e32 v6, 0
	s_cbranch_scc1 .LBB33_27
; %bb.23:
	s_and_b32 s20, s17, 0x7ffffff8
	v_or_b32_e32 v2, 0x700, v0
	s_mov_b32 s21, 0
	v_mov_b32_e32 v5, 0
	s_mov_b32 s22, 0x3fb8aa3b
	s_mov_b32 s23, 0xc2ce8ed0
	;; [unrolled: 1-line block ×3, first 2 shown]
	v_mov_b32_e32 v8, 0x7f800000
	v_mov_b32_e32 v9, s19
	s_mov_b32 s25, 0
	v_mov_b32_e32 v7, 0
	v_mov_b32_e32 v6, 0
.LBB33_24:                              ; =>This Inner Loop Header: Depth=1
	v_add_u32_e32 v4, 0xfffff900, v2
	v_lshlrev_b64 v[26:27], 2, v[4:5]
	v_mov_b32_e32 v3, v5
	v_add_co_u32_e32 v26, vcc, s18, v26
	v_lshlrev_b64 v[28:29], 2, v[2:3]
	v_addc_co_u32_e32 v27, vcc, v9, v27, vcc
	v_add_u32_e32 v4, 0xfffffa00, v2
	v_add_co_u32_e32 v28, vcc, s18, v28
	v_mov_b32_e32 v22, s21
	v_lshlrev_b64 v[30:31], 2, v[4:5]
	v_addc_co_u32_e32 v29, vcc, v9, v29, vcc
	ds_read2_b64 v[10:13], v22 offset1:1
	ds_read2_b64 v[14:17], v22 offset0:2 offset1:3
	ds_read2_b64 v[18:21], v22 offset0:4 offset1:5
	;; [unrolled: 1-line block ×3, first 2 shown]
	v_add_u32_e32 v4, 0xfffffb00, v2
	global_load_dword v3, v[26:27], off
	v_add_co_u32_e32 v26, vcc, s18, v30
	v_addc_co_u32_e32 v27, vcc, v9, v31, vcc
	v_lshlrev_b64 v[30:31], 2, v[4:5]
	v_add_u32_e32 v4, 0xfffffc00, v2
	v_add_co_u32_e32 v30, vcc, s18, v30
	v_addc_co_u32_e32 v31, vcc, v9, v31, vcc
	v_lshlrev_b64 v[32:33], 2, v[4:5]
	v_add_u32_e32 v4, 0xfffffd00, v2
	global_load_dword v34, v[26:27], off
	global_load_dword v35, v[30:31], off
	v_add_co_u32_e32 v26, vcc, s18, v32
	v_addc_co_u32_e32 v27, vcc, v9, v33, vcc
	v_lshlrev_b64 v[30:31], 2, v[4:5]
	v_add_u32_e32 v4, 0xfffffe00, v2
	v_add_co_u32_e32 v30, vcc, s18, v30
	v_addc_co_u32_e32 v31, vcc, v9, v31, vcc
	v_lshlrev_b64 v[32:33], 2, v[4:5]
	global_load_dword v36, v[26:27], off
	v_add_u32_e32 v4, 0xffffff00, v2
	global_load_dword v28, v[28:29], off
	v_add_co_u32_e32 v26, vcc, s18, v32
	v_addc_co_u32_e32 v27, vcc, v9, v33, vcc
	global_load_dword v42, v[30:31], off
	s_waitcnt lgkmcnt(3)
	v_sub_f32_e32 v12, v12, v1
	global_load_dword v26, v[26:27], off
	v_lshlrev_b64 v[30:31], 2, v[4:5]
	v_add_co_u32_e32 v30, vcc, s18, v30
	v_addc_co_u32_e32 v31, vcc, v9, v31, vcc
	global_load_dword v30, v[30:31], off
	s_waitcnt lgkmcnt(2)
	v_sub_f32_e32 v14, v14, v1
	v_sub_f32_e32 v10, v10, v1
	v_mul_f32_e32 v38, 0x3fb8aa3b, v12
	v_mul_f32_e32 v39, 0x3fb8aa3b, v14
	s_waitcnt lgkmcnt(1)
	v_sub_f32_e32 v18, v18, v1
	s_waitcnt lgkmcnt(0)
	v_sub_f32_e32 v22, v22, v1
	v_mul_f32_e32 v37, 0x3fb8aa3b, v10
	v_fma_f32 v45, v12, s22, -v38
	v_rndne_f32_e32 v46, v38
	v_fma_f32 v47, v14, s22, -v39
	v_rndne_f32_e32 v48, v39
	v_sub_f32_e32 v16, v16, v1
	v_sub_f32_e32 v20, v20, v1
	v_mul_f32_e32 v41, 0x3fb8aa3b, v18
	v_mul_f32_e32 v32, 0x3fb8aa3b, v22
	v_fma_f32 v33, v10, s22, -v37
	v_rndne_f32_e32 v44, v37
	v_fmac_f32_e32 v45, 0x32a5705f, v12
	v_sub_f32_e32 v38, v38, v46
	v_fmac_f32_e32 v47, 0x32a5705f, v14
	v_sub_f32_e32 v39, v39, v48
	v_mul_f32_e32 v40, 0x3fb8aa3b, v16
	v_mul_f32_e32 v43, 0x3fb8aa3b, v20
	v_fma_f32 v27, v18, s22, -v41
	v_rndne_f32_e32 v31, v41
	v_fmac_f32_e32 v33, 0x32a5705f, v10
	v_sub_f32_e32 v37, v37, v44
	v_add_f32_e32 v38, v38, v45
	v_fma_f32 v45, v22, s22, -v32
	v_add_f32_e32 v39, v39, v47
	v_rndne_f32_e32 v47, v32
	v_fma_f32 v49, v16, s22, -v40
	v_rndne_f32_e32 v50, v40
	v_fma_f32 v29, v20, s22, -v43
	v_add_f32_e32 v33, v37, v33
	v_rndne_f32_e32 v37, v43
	v_fmac_f32_e32 v27, 0x32a5705f, v18
	v_sub_f32_e32 v41, v41, v31
	v_fmac_f32_e32 v45, 0x32a5705f, v22
	v_sub_f32_e32 v32, v32, v47
	;; [unrolled: 2-line block ×3, first 2 shown]
	v_add_f32_e32 v27, v41, v27
	v_cvt_i32_f32_e32 v44, v44
	v_fmac_f32_e32 v29, 0x32a5705f, v20
	v_sub_f32_e32 v43, v43, v37
	v_add_f32_e32 v32, v32, v45
	v_exp_f32_e32 v33, v33
	v_add_f32_e32 v40, v40, v49
	v_cvt_i32_f32_e32 v46, v46
	v_cvt_i32_f32_e32 v31, v31
	v_cvt_i32_f32_e32 v47, v47
	v_add_f32_e32 v29, v43, v29
	v_exp_f32_e32 v38, v38
	v_exp_f32_e32 v27, v27
	;; [unrolled: 1-line block ×3, first 2 shown]
	v_sub_f32_e32 v24, v24, v1
	v_cvt_i32_f32_e32 v48, v48
	v_cvt_i32_f32_e32 v50, v50
	;; [unrolled: 1-line block ×3, first 2 shown]
	v_exp_f32_e32 v39, v39
	v_exp_f32_e32 v40, v40
	;; [unrolled: 1-line block ×3, first 2 shown]
	v_mul_f32_e32 v4, 0x3fb8aa3b, v24
	v_fma_f32 v49, v24, s22, -v4
	v_rndne_f32_e32 v41, v4
	v_ldexp_f32 v33, v33, v44
	v_cmp_ngt_f32_e64 s[12:13], s23, v10
	v_fmac_f32_e32 v49, 0x32a5705f, v24
	v_sub_f32_e32 v4, v4, v41
	v_ldexp_f32 v38, v38, v46
	v_cmp_ngt_f32_e32 vcc, s23, v12
	v_ldexp_f32 v27, v27, v31
	v_ldexp_f32 v31, v32, v47
	v_cndmask_b32_e64 v32, 0, v33, s[12:13]
	v_cmp_nlt_f32_e64 s[12:13], s24, v10
	v_add_f32_e32 v4, v4, v49
	v_ldexp_f32 v39, v39, v48
	v_cmp_ngt_f32_e64 s[0:1], s23, v14
	v_ldexp_f32 v40, v40, v50
	v_cmp_ngt_f32_e64 s[2:3], s23, v16
	v_cmp_ngt_f32_e64 s[4:5], s23, v18
	v_ldexp_f32 v29, v29, v37
	v_cmp_ngt_f32_e64 s[6:7], s23, v20
	v_cmp_ngt_f32_e64 s[8:9], s23, v22
	v_cndmask_b32_e32 v33, 0, v38, vcc
	v_cmp_nlt_f32_e32 vcc, s24, v12
	v_cndmask_b32_e64 v10, v8, v32, s[12:13]
	v_cvt_i32_f32_e32 v41, v41
	v_exp_f32_e32 v4, v4
	v_cndmask_b32_e64 v12, 0, v39, s[0:1]
	v_cmp_nlt_f32_e64 s[0:1], s24, v14
	v_cndmask_b32_e64 v14, 0, v40, s[2:3]
	v_cmp_nlt_f32_e64 s[2:3], s24, v16
	;; [unrolled: 2-line block ×5, first 2 shown]
	v_cndmask_b32_e32 v22, v8, v33, vcc
	v_fmac_f32_e32 v7, v10, v11
	s_waitcnt vmcnt(7)
	v_fmac_f32_e32 v6, v3, v10
	v_cndmask_b32_e64 v12, v8, v12, s[0:1]
	v_fmac_f32_e32 v7, v22, v13
	s_waitcnt vmcnt(6)
	v_fmac_f32_e32 v6, v34, v22
	v_cndmask_b32_e64 v14, v8, v14, s[2:3]
	v_fmac_f32_e32 v7, v12, v15
	s_waitcnt vmcnt(5)
	v_fmac_f32_e32 v6, v35, v12
	v_cndmask_b32_e64 v16, v8, v16, s[4:5]
	v_fmac_f32_e32 v7, v14, v17
	s_waitcnt vmcnt(4)
	v_fmac_f32_e32 v6, v36, v14
	v_ldexp_f32 v4, v4, v41
	v_cmp_ngt_f32_e64 s[10:11], s23, v24
	v_cndmask_b32_e64 v18, v8, v18, s[6:7]
	v_fmac_f32_e32 v7, v16, v19
	s_waitcnt vmcnt(2)
	v_fmac_f32_e32 v6, v42, v16
	v_cndmask_b32_e64 v4, 0, v4, s[10:11]
	v_cmp_nlt_f32_e64 s[10:11], s24, v24
	v_cndmask_b32_e64 v20, v8, v20, s[8:9]
	v_fmac_f32_e32 v7, v18, v21
	s_waitcnt vmcnt(1)
	v_fmac_f32_e32 v6, v26, v18
	s_add_i32 s25, s25, 8
	s_add_i32 s21, s21, 64
	v_cndmask_b32_e64 v4, v8, v4, s[10:11]
	v_fmac_f32_e32 v7, v20, v23
	s_waitcnt vmcnt(0)
	v_fmac_f32_e32 v6, v30, v20
	s_cmp_eq_u32 s20, s25
	v_add_u32_e32 v2, 0x800, v2
	v_fmac_f32_e32 v7, v4, v25
	v_fmac_f32_e32 v6, v28, v4
	s_cbranch_scc0 .LBB33_24
; %bb.25:
	s_and_b32 s0, s17, 7
	s_cmp_eq_u32 s0, 0
	s_cbranch_scc0 .LBB33_28
	s_branch .LBB33_30
.LBB33_26:
	s_waitcnt lgkmcnt(0)
	v_mov_b32_e32 v1, 0x7fc00000
	s_branch .LBB33_31
.LBB33_27:
	s_mov_b32 s20, 0
	v_mov_b32_e32 v7, 0
	s_and_b32 s0, s17, 7
	s_cmp_eq_u32 s0, 0
	s_cbranch_scc1 .LBB33_30
.LBB33_28:
	s_lshl_b32 s1, s20, 3
	v_lshl_or_b32 v2, s20, 8, v0
	s_add_i32 s1, s1, 0
	s_mov_b32 s2, 0x3fb8aa3b
	s_mov_b32 s3, 0xc2ce8ed0
	;; [unrolled: 1-line block ×3, first 2 shown]
	v_mov_b32_e32 v4, 0x7f800000
	v_mov_b32_e32 v3, 0
	v_mov_b32_e32 v5, s19
.LBB33_29:                              ; =>This Inner Loop Header: Depth=1
	v_lshlrev_b64 v[8:9], 2, v[2:3]
	v_add_co_u32_e32 v8, vcc, s18, v8
	v_addc_co_u32_e32 v9, vcc, v5, v9, vcc
	global_load_dword v10, v[8:9], off
	v_mov_b32_e32 v8, s1
	ds_read_b64 v[8:9], v8
	s_add_i32 s1, s1, 8
	s_add_i32 s0, s0, -1
	v_add_u32_e32 v2, 0x100, v2
	s_cmp_lg_u32 s0, 0
	s_waitcnt lgkmcnt(0)
	v_sub_f32_e32 v8, v8, v1
	v_mul_f32_e32 v11, 0x3fb8aa3b, v8
	v_fma_f32 v12, v8, s2, -v11
	v_rndne_f32_e32 v13, v11
	v_fmac_f32_e32 v12, 0x32a5705f, v8
	v_sub_f32_e32 v11, v11, v13
	v_add_f32_e32 v11, v11, v12
	v_cvt_i32_f32_e32 v13, v13
	v_exp_f32_e32 v11, v11
	v_cmp_ngt_f32_e32 vcc, s3, v8
	v_ldexp_f32 v11, v11, v13
	v_cndmask_b32_e32 v11, 0, v11, vcc
	v_cmp_nlt_f32_e32 vcc, s4, v8
	v_cndmask_b32_e32 v8, v4, v11, vcc
	v_fmac_f32_e32 v7, v8, v9
	s_waitcnt vmcnt(0)
	v_fmac_f32_e32 v6, v10, v8
	s_cbranch_scc1 .LBB33_29
.LBB33_30:
	s_waitcnt lgkmcnt(0)
	v_div_scale_f32 v1, s[0:1], v7, v7, v6
	v_rcp_f32_e32 v2, v1
	v_div_scale_f32 v3, vcc, v6, v7, v6
	v_fma_f32 v4, -v1, v2, 1.0
	v_fmac_f32_e32 v2, v4, v2
	v_mul_f32_e32 v4, v3, v2
	v_fma_f32 v5, -v1, v4, v3
	v_fmac_f32_e32 v4, v5, v2
	v_fma_f32 v1, -v1, v4, v3
	v_div_fmas_f32 v1, v1, v2, v4
	v_div_fixup_f32 v1, v1, v7, v6
.LBB33_31:
	s_lshl_b32 s0, s16, 8
	s_ashr_i32 s1, s0, 31
	s_lshl_b64 s[0:1], s[0:1], 2
	s_add_u32 s0, s14, s0
	s_addc_u32 s1, s15, s1
	v_lshlrev_b32_e32 v0, 2, v0
	global_store_dword v0, v1, s[0:1]
	s_endpgm
	.section	.rodata,"a",@progbits
	.p2align	6, 0x0
	.amdhsa_kernel _ZL26flash_attn_combine_resultsILi256EEvPKfPK15HIP_vector_typeIfLj2EEPfi
		.amdhsa_group_segment_fixed_size 0
		.amdhsa_private_segment_fixed_size 0
		.amdhsa_kernarg_size 288
		.amdhsa_user_sgpr_count 6
		.amdhsa_user_sgpr_private_segment_buffer 1
		.amdhsa_user_sgpr_dispatch_ptr 0
		.amdhsa_user_sgpr_queue_ptr 0
		.amdhsa_user_sgpr_kernarg_segment_ptr 1
		.amdhsa_user_sgpr_dispatch_id 0
		.amdhsa_user_sgpr_flat_scratch_init 0
		.amdhsa_user_sgpr_kernarg_preload_length 0
		.amdhsa_user_sgpr_kernarg_preload_offset 0
		.amdhsa_user_sgpr_private_segment_size 0
		.amdhsa_uses_dynamic_stack 0
		.amdhsa_system_sgpr_private_segment_wavefront_offset 0
		.amdhsa_system_sgpr_workgroup_id_x 1
		.amdhsa_system_sgpr_workgroup_id_y 1
		.amdhsa_system_sgpr_workgroup_id_z 1
		.amdhsa_system_sgpr_workgroup_info 0
		.amdhsa_system_vgpr_workitem_id 0
		.amdhsa_next_free_vgpr 51
		.amdhsa_next_free_sgpr 26
		.amdhsa_accum_offset 52
		.amdhsa_reserve_vcc 1
		.amdhsa_reserve_flat_scratch 0
		.amdhsa_float_round_mode_32 0
		.amdhsa_float_round_mode_16_64 0
		.amdhsa_float_denorm_mode_32 3
		.amdhsa_float_denorm_mode_16_64 3
		.amdhsa_dx10_clamp 1
		.amdhsa_ieee_mode 1
		.amdhsa_fp16_overflow 0
		.amdhsa_tg_split 0
		.amdhsa_exception_fp_ieee_invalid_op 0
		.amdhsa_exception_fp_denorm_src 0
		.amdhsa_exception_fp_ieee_div_zero 0
		.amdhsa_exception_fp_ieee_overflow 0
		.amdhsa_exception_fp_ieee_underflow 0
		.amdhsa_exception_fp_ieee_inexact 0
		.amdhsa_exception_int_div_zero 0
	.end_amdhsa_kernel
	.section	.text._ZL26flash_attn_combine_resultsILi256EEvPKfPK15HIP_vector_typeIfLj2EEPfi,"axG",@progbits,_ZL26flash_attn_combine_resultsILi256EEvPKfPK15HIP_vector_typeIfLj2EEPfi,comdat
.Lfunc_end33:
	.size	_ZL26flash_attn_combine_resultsILi256EEvPKfPK15HIP_vector_typeIfLj2EEPfi, .Lfunc_end33-_ZL26flash_attn_combine_resultsILi256EEvPKfPK15HIP_vector_typeIfLj2EEPfi
                                        ; -- End function
	.section	.AMDGPU.csdata,"",@progbits
; Kernel info:
; codeLenInByte = 3048
; NumSgprs: 30
; NumVgprs: 51
; NumAgprs: 0
; TotalNumVgprs: 51
; ScratchSize: 0
; MemoryBound: 0
; FloatMode: 240
; IeeeMode: 1
; LDSByteSize: 0 bytes/workgroup (compile time only)
; SGPRBlocks: 3
; VGPRBlocks: 6
; NumSGPRsForWavesPerEU: 30
; NumVGPRsForWavesPerEU: 51
; AccumOffset: 52
; Occupancy: 8
; WaveLimiterHint : 0
; COMPUTE_PGM_RSRC2:SCRATCH_EN: 0
; COMPUTE_PGM_RSRC2:USER_SGPR: 6
; COMPUTE_PGM_RSRC2:TRAP_HANDLER: 0
; COMPUTE_PGM_RSRC2:TGID_X_EN: 1
; COMPUTE_PGM_RSRC2:TGID_Y_EN: 1
; COMPUTE_PGM_RSRC2:TGID_Z_EN: 1
; COMPUTE_PGM_RSRC2:TIDIG_COMP_CNT: 0
; COMPUTE_PGM_RSRC3_GFX90A:ACCUM_OFFSET: 12
; COMPUTE_PGM_RSRC3_GFX90A:TG_SPLIT: 0
	.text
	.p2alignl 6, 3212836864
	.fill 256, 4, 3212836864
	.type	.str.1,@object                  ; @.str.1
	.section	.rodata.str1.1,"aMS",@progbits,1
.str.1:
	.asciz	"/root/src/amdgpu-assembly/repos/ggml-org__llama.cpp/ggml/src/ggml-cuda/template-instances/../fattn-mma-f16.cuh"
	.size	.str.1, 111

	.type	__FUNCTION__._ZL18flash_attn_ext_f16ILi64ELi64ELi8ELi2ELb1ELb0EEvPKcS1_S1_S1_S1_PKiPfP15HIP_vector_typeIfLj2EEffffjfiS5_IjLj3EEiiiiiiiiiiiliiliiiiil,@object ; @__FUNCTION__._ZL18flash_attn_ext_f16ILi64ELi64ELi8ELi2ELb1ELb0EEvPKcS1_S1_S1_S1_PKiPfP15HIP_vector_typeIfLj2EEffffjfiS5_IjLj3EEiiiiiiiiiiiliiliiiiil
__FUNCTION__._ZL18flash_attn_ext_f16ILi64ELi64ELi8ELi2ELb1ELb0EEvPKcS1_S1_S1_S1_PKiPfP15HIP_vector_typeIfLj2EEffffjfiS5_IjLj3EEiiiiiiiiiiiliiliiiiil:
	.asciz	"flash_attn_ext_f16"
	.size	__FUNCTION__._ZL18flash_attn_ext_f16ILi64ELi64ELi8ELi2ELb1ELb0EEvPKcS1_S1_S1_S1_PKiPfP15HIP_vector_typeIfLj2EEffffjfiS5_IjLj3EEiiiiiiiiiiiliiliiiiil, 19

	.type	.str.3,@object                  ; @.str.3
.str.3:
	.asciz	"%s:%d: ERROR: HIP kernel %s has no device code compatible with HIP arch %d.\n"
	.size	.str.3, 77

	.type	__hip_cuid_febff00e8d4337bd,@object ; @__hip_cuid_febff00e8d4337bd
	.section	.bss,"aw",@nobits
	.globl	__hip_cuid_febff00e8d4337bd
__hip_cuid_febff00e8d4337bd:
	.byte	0                               ; 0x0
	.size	__hip_cuid_febff00e8d4337bd, 1

	.ident	"AMD clang version 19.0.0git (https://github.com/RadeonOpenCompute/llvm-project roc-6.4.0 25133 c7fe45cf4b819c5991fe208aaa96edf142730f1d)"
	.section	".note.GNU-stack","",@progbits
	.addrsig
	.addrsig_sym __hip_cuid_febff00e8d4337bd
	.amdgpu_metadata
---
amdhsa.kernels:
  - .agpr_count:     0
    .args:
      - .address_space:  global
        .offset:         0
        .size:           8
        .value_kind:     global_buffer
      - .address_space:  global
        .offset:         8
        .size:           8
        .value_kind:     global_buffer
      - .address_space:  global
        .offset:         16
        .size:           8
        .value_kind:     global_buffer
      - .address_space:  global
        .offset:         24
        .size:           8
        .value_kind:     global_buffer
      - .address_space:  global
        .offset:         32
        .size:           8
        .value_kind:     global_buffer
      - .address_space:  global
        .offset:         40
        .size:           8
        .value_kind:     global_buffer
      - .address_space:  global
        .offset:         48
        .size:           8
        .value_kind:     global_buffer
      - .address_space:  global
        .offset:         56
        .size:           8
        .value_kind:     global_buffer
      - .offset:         64
        .size:           4
        .value_kind:     by_value
      - .offset:         68
        .size:           4
        .value_kind:     by_value
      - .offset:         72
        .size:           4
        .value_kind:     by_value
      - .offset:         76
        .size:           4
        .value_kind:     by_value
      - .offset:         80
        .size:           4
        .value_kind:     by_value
      - .offset:         84
        .size:           4
        .value_kind:     by_value
      - .offset:         88
        .size:           4
        .value_kind:     by_value
      - .offset:         92
        .size:           12
        .value_kind:     by_value
      - .offset:         104
        .size:           4
        .value_kind:     by_value
      - .offset:         108
        .size:           4
        .value_kind:     by_value
      - .offset:         112
        .size:           4
        .value_kind:     by_value
      - .offset:         116
        .size:           4
        .value_kind:     by_value
      - .offset:         120
        .size:           4
        .value_kind:     by_value
      - .offset:         124
        .size:           4
        .value_kind:     by_value
      - .offset:         128
        .size:           4
        .value_kind:     by_value
      - .offset:         132
        .size:           4
        .value_kind:     by_value
      - .offset:         136
        .size:           4
        .value_kind:     by_value
      - .offset:         140
        .size:           4
        .value_kind:     by_value
      - .offset:         144
        .size:           4
        .value_kind:     by_value
      - .offset:         152
        .size:           8
        .value_kind:     by_value
      - .offset:         160
        .size:           4
        .value_kind:     by_value
      - .offset:         164
        .size:           4
        .value_kind:     by_value
      - .offset:         168
        .size:           8
        .value_kind:     by_value
      - .offset:         176
        .size:           4
        .value_kind:     by_value
      - .offset:         180
        .size:           4
        .value_kind:     by_value
      - .offset:         184
        .size:           4
        .value_kind:     by_value
      - .offset:         188
        .size:           4
        .value_kind:     by_value
      - .offset:         192
        .size:           4
        .value_kind:     by_value
      - .offset:         200
        .size:           8
        .value_kind:     by_value
      - .offset:         208
        .size:           4
        .value_kind:     hidden_block_count_x
      - .offset:         212
        .size:           4
        .value_kind:     hidden_block_count_y
      - .offset:         216
        .size:           4
        .value_kind:     hidden_block_count_z
      - .offset:         220
        .size:           2
        .value_kind:     hidden_group_size_x
      - .offset:         222
        .size:           2
        .value_kind:     hidden_group_size_y
      - .offset:         224
        .size:           2
        .value_kind:     hidden_group_size_z
      - .offset:         226
        .size:           2
        .value_kind:     hidden_remainder_x
      - .offset:         228
        .size:           2
        .value_kind:     hidden_remainder_y
      - .offset:         230
        .size:           2
        .value_kind:     hidden_remainder_z
      - .offset:         248
        .size:           8
        .value_kind:     hidden_global_offset_x
      - .offset:         256
        .size:           8
        .value_kind:     hidden_global_offset_y
      - .offset:         264
        .size:           8
        .value_kind:     hidden_global_offset_z
      - .offset:         272
        .size:           2
        .value_kind:     hidden_grid_dims
      - .offset:         328
        .size:           4
        .value_kind:     hidden_dynamic_lds_size
    .group_segment_fixed_size: 0
    .kernarg_segment_align: 8
    .kernarg_segment_size: 464
    .language:       OpenCL C
    .language_version:
      - 2
      - 0
    .max_flat_workgroup_size: 256
    .name:           _ZL18flash_attn_ext_f16ILi64ELi64ELi8ELi2ELb0ELb0EEvPKcS1_S1_S1_S1_PKiPfP15HIP_vector_typeIfLj2EEffffjfiS5_IjLj3EEiiiiiiiiiiiliiliiiiil
    .private_segment_fixed_size: 0
    .sgpr_count:     100
    .sgpr_spill_count: 25
    .symbol:         _ZL18flash_attn_ext_f16ILi64ELi64ELi8ELi2ELb0ELb0EEvPKcS1_S1_S1_S1_PKiPfP15HIP_vector_typeIfLj2EEffffjfiS5_IjLj3EEiiiiiiiiiiiliiliiiiil.kd
    .uniform_work_group_size: 1
    .uses_dynamic_stack: false
    .vgpr_count:     148
    .vgpr_spill_count: 0
    .wavefront_size: 64
  - .agpr_count:     0
    .args:
      - .address_space:  global
        .offset:         0
        .size:           8
        .value_kind:     global_buffer
      - .address_space:  global
        .offset:         8
        .size:           8
        .value_kind:     global_buffer
      - .address_space:  global
        .offset:         16
        .size:           8
        .value_kind:     global_buffer
      - .address_space:  global
        .offset:         24
        .size:           8
        .value_kind:     global_buffer
      - .address_space:  global
        .offset:         32
        .size:           8
        .value_kind:     global_buffer
      - .address_space:  global
        .offset:         40
        .size:           8
        .value_kind:     global_buffer
      - .address_space:  global
        .offset:         48
        .size:           8
        .value_kind:     global_buffer
      - .address_space:  global
        .offset:         56
        .size:           8
        .value_kind:     global_buffer
      - .offset:         64
        .size:           4
        .value_kind:     by_value
      - .offset:         68
        .size:           4
        .value_kind:     by_value
      - .offset:         72
        .size:           4
        .value_kind:     by_value
      - .offset:         76
        .size:           4
        .value_kind:     by_value
      - .offset:         80
        .size:           4
        .value_kind:     by_value
      - .offset:         84
        .size:           4
        .value_kind:     by_value
      - .offset:         88
        .size:           4
        .value_kind:     by_value
      - .offset:         92
        .size:           12
        .value_kind:     by_value
      - .offset:         104
        .size:           4
        .value_kind:     by_value
      - .offset:         108
        .size:           4
        .value_kind:     by_value
      - .offset:         112
        .size:           4
        .value_kind:     by_value
      - .offset:         116
        .size:           4
        .value_kind:     by_value
      - .offset:         120
        .size:           4
        .value_kind:     by_value
      - .offset:         124
        .size:           4
        .value_kind:     by_value
      - .offset:         128
        .size:           4
        .value_kind:     by_value
      - .offset:         132
        .size:           4
        .value_kind:     by_value
      - .offset:         136
        .size:           4
        .value_kind:     by_value
      - .offset:         140
        .size:           4
        .value_kind:     by_value
      - .offset:         144
        .size:           4
        .value_kind:     by_value
      - .offset:         152
        .size:           8
        .value_kind:     by_value
      - .offset:         160
        .size:           4
        .value_kind:     by_value
      - .offset:         164
        .size:           4
        .value_kind:     by_value
      - .offset:         168
        .size:           8
        .value_kind:     by_value
      - .offset:         176
        .size:           4
        .value_kind:     by_value
      - .offset:         180
        .size:           4
        .value_kind:     by_value
      - .offset:         184
        .size:           4
        .value_kind:     by_value
      - .offset:         188
        .size:           4
        .value_kind:     by_value
      - .offset:         192
        .size:           4
        .value_kind:     by_value
      - .offset:         200
        .size:           8
        .value_kind:     by_value
      - .offset:         208
        .size:           4
        .value_kind:     hidden_block_count_x
      - .offset:         212
        .size:           4
        .value_kind:     hidden_block_count_y
      - .offset:         216
        .size:           4
        .value_kind:     hidden_block_count_z
      - .offset:         220
        .size:           2
        .value_kind:     hidden_group_size_x
      - .offset:         222
        .size:           2
        .value_kind:     hidden_group_size_y
      - .offset:         224
        .size:           2
        .value_kind:     hidden_group_size_z
      - .offset:         226
        .size:           2
        .value_kind:     hidden_remainder_x
      - .offset:         228
        .size:           2
        .value_kind:     hidden_remainder_y
      - .offset:         230
        .size:           2
        .value_kind:     hidden_remainder_z
      - .offset:         248
        .size:           8
        .value_kind:     hidden_global_offset_x
      - .offset:         256
        .size:           8
        .value_kind:     hidden_global_offset_y
      - .offset:         264
        .size:           8
        .value_kind:     hidden_global_offset_z
      - .offset:         272
        .size:           2
        .value_kind:     hidden_grid_dims
      - .offset:         288
        .size:           8
        .value_kind:     hidden_hostcall_buffer
    .group_segment_fixed_size: 0
    .kernarg_segment_align: 8
    .kernarg_segment_size: 464
    .language:       OpenCL C
    .language_version:
      - 2
      - 0
    .max_flat_workgroup_size: 256
    .name:           _ZL18flash_attn_ext_f16ILi64ELi64ELi8ELi2ELb1ELb0EEvPKcS1_S1_S1_S1_PKiPfP15HIP_vector_typeIfLj2EEffffjfiS5_IjLj3EEiiiiiiiiiiiliiliiiiil
    .private_segment_fixed_size: 16
    .sgpr_count:     40
    .sgpr_spill_count: 0
    .symbol:         _ZL18flash_attn_ext_f16ILi64ELi64ELi8ELi2ELb1ELb0EEvPKcS1_S1_S1_S1_PKiPfP15HIP_vector_typeIfLj2EEffffjfiS5_IjLj3EEiiiiiiiiiiiliiliiiiil.kd
    .uniform_work_group_size: 1
    .uses_dynamic_stack: false
    .vgpr_count:     39
    .vgpr_spill_count: 0
    .wavefront_size: 64
  - .agpr_count:     0
    .args:
      - .actual_access:  read_only
        .address_space:  global
        .offset:         0
        .size:           8
        .value_kind:     global_buffer
      - .actual_access:  write_only
        .address_space:  global
        .offset:         8
        .size:           8
        .value_kind:     global_buffer
      - .offset:         16
        .size:           4
        .value_kind:     by_value
      - .offset:         20
        .size:           4
        .value_kind:     by_value
      - .offset:         24
        .size:           4
        .value_kind:     by_value
      - .offset:         32
        .size:           4
        .value_kind:     hidden_block_count_x
      - .offset:         36
        .size:           4
        .value_kind:     hidden_block_count_y
      - .offset:         40
        .size:           4
        .value_kind:     hidden_block_count_z
      - .offset:         44
        .size:           2
        .value_kind:     hidden_group_size_x
      - .offset:         46
        .size:           2
        .value_kind:     hidden_group_size_y
      - .offset:         48
        .size:           2
        .value_kind:     hidden_group_size_z
      - .offset:         50
        .size:           2
        .value_kind:     hidden_remainder_x
      - .offset:         52
        .size:           2
        .value_kind:     hidden_remainder_y
      - .offset:         54
        .size:           2
        .value_kind:     hidden_remainder_z
      - .offset:         72
        .size:           8
        .value_kind:     hidden_global_offset_x
      - .offset:         80
        .size:           8
        .value_kind:     hidden_global_offset_y
      - .offset:         88
        .size:           8
        .value_kind:     hidden_global_offset_z
      - .offset:         96
        .size:           2
        .value_kind:     hidden_grid_dims
    .group_segment_fixed_size: 128
    .kernarg_segment_align: 8
    .kernarg_segment_size: 288
    .language:       OpenCL C
    .language_version:
      - 2
      - 0
    .max_flat_workgroup_size: 128
    .name:           _ZL25flash_attn_mask_to_KV_maxILi8EEvPK7__half2Piiii
    .private_segment_fixed_size: 0
    .sgpr_count:     54
    .sgpr_spill_count: 0
    .symbol:         _ZL25flash_attn_mask_to_KV_maxILi8EEvPK7__half2Piiii.kd
    .uniform_work_group_size: 1
    .uses_dynamic_stack: false
    .vgpr_count:     13
    .vgpr_spill_count: 0
    .wavefront_size: 64
  - .agpr_count:     0
    .args:
      - .address_space:  global
        .offset:         0
        .size:           8
        .value_kind:     global_buffer
      - .address_space:  global
        .offset:         8
        .size:           8
        .value_kind:     global_buffer
      - .offset:         16
        .size:           4
        .value_kind:     by_value
      - .offset:         20
        .size:           4
        .value_kind:     by_value
      - .offset:         24
        .size:           4
        .value_kind:     by_value
      - .offset:         28
        .size:           4
        .value_kind:     by_value
      - .offset:         32
        .size:           4
        .value_kind:     by_value
      - .offset:         36
        .size:           4
        .value_kind:     by_value
      - .offset:         40
        .size:           12
        .value_kind:     by_value
      - .offset:         52
        .size:           12
        .value_kind:     by_value
      - .offset:         64
        .size:           12
        .value_kind:     by_value
    .group_segment_fixed_size: 0
    .kernarg_segment_align: 8
    .kernarg_segment_size: 76
    .language:       OpenCL C
    .language_version:
      - 2
      - 0
    .max_flat_workgroup_size: 64
    .name:           _ZL33flash_attn_stream_k_fixup_uniformILi64ELi8ELi2EEvPfPK15HIP_vector_typeIfLj2EEiiiiiiS1_IjLj3EES5_S5_
    .private_segment_fixed_size: 0
    .sgpr_count:     24
    .sgpr_spill_count: 0
    .symbol:         _ZL33flash_attn_stream_k_fixup_uniformILi64ELi8ELi2EEvPfPK15HIP_vector_typeIfLj2EEiiiiiiS1_IjLj3EES5_S5_.kd
    .uniform_work_group_size: 1
    .uses_dynamic_stack: false
    .vgpr_count:     17
    .vgpr_spill_count: 0
    .wavefront_size: 64
  - .agpr_count:     0
    .args:
      - .address_space:  global
        .offset:         0
        .size:           8
        .value_kind:     global_buffer
      - .address_space:  global
        .offset:         8
        .size:           8
        .value_kind:     global_buffer
      - .offset:         16
        .size:           4
        .value_kind:     by_value
      - .offset:         20
        .size:           4
        .value_kind:     by_value
      - .offset:         24
        .size:           4
        .value_kind:     by_value
      - .offset:         28
        .size:           4
        .value_kind:     by_value
      - .offset:         32
        .size:           12
        .value_kind:     by_value
      - .offset:         44
        .size:           12
        .value_kind:     by_value
      - .offset:         56
        .size:           12
        .value_kind:     by_value
      - .offset:         68
        .size:           12
        .value_kind:     by_value
      - .offset:         80
        .size:           4
        .value_kind:     hidden_block_count_x
      - .offset:         84
        .size:           4
        .value_kind:     hidden_block_count_y
      - .offset:         88
        .size:           4
        .value_kind:     hidden_block_count_z
      - .offset:         92
        .size:           2
        .value_kind:     hidden_group_size_x
      - .offset:         94
        .size:           2
        .value_kind:     hidden_group_size_y
      - .offset:         96
        .size:           2
        .value_kind:     hidden_group_size_z
      - .offset:         98
        .size:           2
        .value_kind:     hidden_remainder_x
      - .offset:         100
        .size:           2
        .value_kind:     hidden_remainder_y
      - .offset:         102
        .size:           2
        .value_kind:     hidden_remainder_z
      - .offset:         120
        .size:           8
        .value_kind:     hidden_global_offset_x
      - .offset:         128
        .size:           8
        .value_kind:     hidden_global_offset_y
      - .offset:         136
        .size:           8
        .value_kind:     hidden_global_offset_z
      - .offset:         144
        .size:           2
        .value_kind:     hidden_grid_dims
    .group_segment_fixed_size: 0
    .kernarg_segment_align: 8
    .kernarg_segment_size: 336
    .language:       OpenCL C
    .language_version:
      - 2
      - 0
    .max_flat_workgroup_size: 64
    .name:           _ZL33flash_attn_stream_k_fixup_generalILi64ELi8ELi2EEvPfPK15HIP_vector_typeIfLj2EEiiiiS1_IjLj3EES5_S5_S5_
    .private_segment_fixed_size: 0
    .sgpr_count:     36
    .sgpr_spill_count: 0
    .symbol:         _ZL33flash_attn_stream_k_fixup_generalILi64ELi8ELi2EEvPfPK15HIP_vector_typeIfLj2EEiiiiS1_IjLj3EES5_S5_S5_.kd
    .uniform_work_group_size: 1
    .uses_dynamic_stack: false
    .vgpr_count:     22
    .vgpr_spill_count: 0
    .wavefront_size: 64
  - .agpr_count:     0
    .args:
      - .address_space:  global
        .offset:         0
        .size:           8
        .value_kind:     global_buffer
      - .address_space:  global
        .offset:         8
        .size:           8
        .value_kind:     global_buffer
      - .address_space:  global
        .offset:         16
        .size:           8
        .value_kind:     global_buffer
      - .offset:         24
        .size:           4
        .value_kind:     by_value
      - .offset:         32
        .size:           4
        .value_kind:     hidden_block_count_x
      - .offset:         36
        .size:           4
        .value_kind:     hidden_block_count_y
      - .offset:         40
        .size:           4
        .value_kind:     hidden_block_count_z
      - .offset:         44
        .size:           2
        .value_kind:     hidden_group_size_x
      - .offset:         46
        .size:           2
        .value_kind:     hidden_group_size_y
      - .offset:         48
        .size:           2
        .value_kind:     hidden_group_size_z
      - .offset:         50
        .size:           2
        .value_kind:     hidden_remainder_x
      - .offset:         52
        .size:           2
        .value_kind:     hidden_remainder_y
      - .offset:         54
        .size:           2
        .value_kind:     hidden_remainder_z
      - .offset:         72
        .size:           8
        .value_kind:     hidden_global_offset_x
      - .offset:         80
        .size:           8
        .value_kind:     hidden_global_offset_y
      - .offset:         88
        .size:           8
        .value_kind:     hidden_global_offset_z
      - .offset:         96
        .size:           2
        .value_kind:     hidden_grid_dims
      - .offset:         152
        .size:           4
        .value_kind:     hidden_dynamic_lds_size
    .group_segment_fixed_size: 0
    .kernarg_segment_align: 8
    .kernarg_segment_size: 288
    .language:       OpenCL C
    .language_version:
      - 2
      - 0
    .max_flat_workgroup_size: 64
    .name:           _ZL26flash_attn_combine_resultsILi64EEvPKfPK15HIP_vector_typeIfLj2EEPfi
    .private_segment_fixed_size: 0
    .sgpr_count:     30
    .sgpr_spill_count: 0
    .symbol:         _ZL26flash_attn_combine_resultsILi64EEvPKfPK15HIP_vector_typeIfLj2EEPfi.kd
    .uniform_work_group_size: 1
    .uses_dynamic_stack: false
    .vgpr_count:     51
    .vgpr_spill_count: 0
    .wavefront_size: 64
  - .agpr_count:     0
    .args:
      - .address_space:  global
        .offset:         0
        .size:           8
        .value_kind:     global_buffer
      - .address_space:  global
        .offset:         8
        .size:           8
        .value_kind:     global_buffer
      - .address_space:  global
        .offset:         16
        .size:           8
        .value_kind:     global_buffer
      - .address_space:  global
        .offset:         24
        .size:           8
        .value_kind:     global_buffer
      - .address_space:  global
        .offset:         32
        .size:           8
        .value_kind:     global_buffer
      - .address_space:  global
        .offset:         40
        .size:           8
        .value_kind:     global_buffer
      - .address_space:  global
        .offset:         48
        .size:           8
        .value_kind:     global_buffer
      - .address_space:  global
        .offset:         56
        .size:           8
        .value_kind:     global_buffer
      - .offset:         64
        .size:           4
        .value_kind:     by_value
      - .offset:         68
        .size:           4
        .value_kind:     by_value
      - .offset:         72
        .size:           4
        .value_kind:     by_value
      - .offset:         76
        .size:           4
        .value_kind:     by_value
      - .offset:         80
        .size:           4
        .value_kind:     by_value
      - .offset:         84
        .size:           4
        .value_kind:     by_value
      - .offset:         88
        .size:           4
        .value_kind:     by_value
      - .offset:         92
        .size:           12
        .value_kind:     by_value
      - .offset:         104
        .size:           4
        .value_kind:     by_value
      - .offset:         108
        .size:           4
        .value_kind:     by_value
      - .offset:         112
        .size:           4
        .value_kind:     by_value
      - .offset:         116
        .size:           4
        .value_kind:     by_value
      - .offset:         120
        .size:           4
        .value_kind:     by_value
      - .offset:         124
        .size:           4
        .value_kind:     by_value
      - .offset:         128
        .size:           4
        .value_kind:     by_value
      - .offset:         132
        .size:           4
        .value_kind:     by_value
      - .offset:         136
        .size:           4
        .value_kind:     by_value
      - .offset:         140
        .size:           4
        .value_kind:     by_value
      - .offset:         144
        .size:           4
        .value_kind:     by_value
      - .offset:         152
        .size:           8
        .value_kind:     by_value
      - .offset:         160
        .size:           4
        .value_kind:     by_value
      - .offset:         164
        .size:           4
        .value_kind:     by_value
      - .offset:         168
        .size:           8
        .value_kind:     by_value
      - .offset:         176
        .size:           4
        .value_kind:     by_value
      - .offset:         180
        .size:           4
        .value_kind:     by_value
      - .offset:         184
        .size:           4
        .value_kind:     by_value
      - .offset:         188
        .size:           4
        .value_kind:     by_value
      - .offset:         192
        .size:           4
        .value_kind:     by_value
      - .offset:         200
        .size:           8
        .value_kind:     by_value
      - .offset:         208
        .size:           4
        .value_kind:     hidden_block_count_x
      - .offset:         212
        .size:           4
        .value_kind:     hidden_block_count_y
      - .offset:         216
        .size:           4
        .value_kind:     hidden_block_count_z
      - .offset:         220
        .size:           2
        .value_kind:     hidden_group_size_x
      - .offset:         222
        .size:           2
        .value_kind:     hidden_group_size_y
      - .offset:         224
        .size:           2
        .value_kind:     hidden_group_size_z
      - .offset:         226
        .size:           2
        .value_kind:     hidden_remainder_x
      - .offset:         228
        .size:           2
        .value_kind:     hidden_remainder_y
      - .offset:         230
        .size:           2
        .value_kind:     hidden_remainder_z
      - .offset:         248
        .size:           8
        .value_kind:     hidden_global_offset_x
      - .offset:         256
        .size:           8
        .value_kind:     hidden_global_offset_y
      - .offset:         264
        .size:           8
        .value_kind:     hidden_global_offset_z
      - .offset:         272
        .size:           2
        .value_kind:     hidden_grid_dims
      - .offset:         328
        .size:           4
        .value_kind:     hidden_dynamic_lds_size
    .group_segment_fixed_size: 0
    .kernarg_segment_align: 8
    .kernarg_segment_size: 464
    .language:       OpenCL C
    .language_version:
      - 2
      - 0
    .max_flat_workgroup_size: 256
    .name:           _ZL18flash_attn_ext_f16ILi80ELi80ELi8ELi2ELb0ELb0EEvPKcS1_S1_S1_S1_PKiPfP15HIP_vector_typeIfLj2EEffffjfiS5_IjLj3EEiiiiiiiiiiiliiliiiiil
    .private_segment_fixed_size: 0
    .sgpr_count:     100
    .sgpr_spill_count: 27
    .symbol:         _ZL18flash_attn_ext_f16ILi80ELi80ELi8ELi2ELb0ELb0EEvPKcS1_S1_S1_S1_PKiPfP15HIP_vector_typeIfLj2EEffffjfiS5_IjLj3EEiiiiiiiiiiiliiliiiiil.kd
    .uniform_work_group_size: 1
    .uses_dynamic_stack: false
    .vgpr_count:     168
    .vgpr_spill_count: 0
    .wavefront_size: 64
  - .agpr_count:     0
    .args:
      - .address_space:  global
        .offset:         0
        .size:           8
        .value_kind:     global_buffer
      - .address_space:  global
        .offset:         8
        .size:           8
        .value_kind:     global_buffer
      - .address_space:  global
        .offset:         16
        .size:           8
        .value_kind:     global_buffer
      - .address_space:  global
        .offset:         24
        .size:           8
        .value_kind:     global_buffer
      - .address_space:  global
        .offset:         32
        .size:           8
        .value_kind:     global_buffer
      - .address_space:  global
        .offset:         40
        .size:           8
        .value_kind:     global_buffer
      - .address_space:  global
        .offset:         48
        .size:           8
        .value_kind:     global_buffer
      - .address_space:  global
        .offset:         56
        .size:           8
        .value_kind:     global_buffer
      - .offset:         64
        .size:           4
        .value_kind:     by_value
      - .offset:         68
        .size:           4
        .value_kind:     by_value
      - .offset:         72
        .size:           4
        .value_kind:     by_value
      - .offset:         76
        .size:           4
        .value_kind:     by_value
      - .offset:         80
        .size:           4
        .value_kind:     by_value
      - .offset:         84
        .size:           4
        .value_kind:     by_value
      - .offset:         88
        .size:           4
        .value_kind:     by_value
      - .offset:         92
        .size:           12
        .value_kind:     by_value
      - .offset:         104
        .size:           4
        .value_kind:     by_value
      - .offset:         108
        .size:           4
        .value_kind:     by_value
      - .offset:         112
        .size:           4
        .value_kind:     by_value
      - .offset:         116
        .size:           4
        .value_kind:     by_value
      - .offset:         120
        .size:           4
        .value_kind:     by_value
      - .offset:         124
        .size:           4
        .value_kind:     by_value
      - .offset:         128
        .size:           4
        .value_kind:     by_value
      - .offset:         132
        .size:           4
        .value_kind:     by_value
      - .offset:         136
        .size:           4
        .value_kind:     by_value
      - .offset:         140
        .size:           4
        .value_kind:     by_value
      - .offset:         144
        .size:           4
        .value_kind:     by_value
      - .offset:         152
        .size:           8
        .value_kind:     by_value
      - .offset:         160
        .size:           4
        .value_kind:     by_value
      - .offset:         164
        .size:           4
        .value_kind:     by_value
      - .offset:         168
        .size:           8
        .value_kind:     by_value
      - .offset:         176
        .size:           4
        .value_kind:     by_value
      - .offset:         180
        .size:           4
        .value_kind:     by_value
      - .offset:         184
        .size:           4
        .value_kind:     by_value
      - .offset:         188
        .size:           4
        .value_kind:     by_value
      - .offset:         192
        .size:           4
        .value_kind:     by_value
      - .offset:         200
        .size:           8
        .value_kind:     by_value
      - .offset:         208
        .size:           4
        .value_kind:     hidden_block_count_x
      - .offset:         212
        .size:           4
        .value_kind:     hidden_block_count_y
      - .offset:         216
        .size:           4
        .value_kind:     hidden_block_count_z
      - .offset:         220
        .size:           2
        .value_kind:     hidden_group_size_x
      - .offset:         222
        .size:           2
        .value_kind:     hidden_group_size_y
      - .offset:         224
        .size:           2
        .value_kind:     hidden_group_size_z
      - .offset:         226
        .size:           2
        .value_kind:     hidden_remainder_x
      - .offset:         228
        .size:           2
        .value_kind:     hidden_remainder_y
      - .offset:         230
        .size:           2
        .value_kind:     hidden_remainder_z
      - .offset:         248
        .size:           8
        .value_kind:     hidden_global_offset_x
      - .offset:         256
        .size:           8
        .value_kind:     hidden_global_offset_y
      - .offset:         264
        .size:           8
        .value_kind:     hidden_global_offset_z
      - .offset:         272
        .size:           2
        .value_kind:     hidden_grid_dims
      - .offset:         288
        .size:           8
        .value_kind:     hidden_hostcall_buffer
    .group_segment_fixed_size: 0
    .kernarg_segment_align: 8
    .kernarg_segment_size: 464
    .language:       OpenCL C
    .language_version:
      - 2
      - 0
    .max_flat_workgroup_size: 256
    .name:           _ZL18flash_attn_ext_f16ILi80ELi80ELi8ELi2ELb1ELb0EEvPKcS1_S1_S1_S1_PKiPfP15HIP_vector_typeIfLj2EEffffjfiS5_IjLj3EEiiiiiiiiiiiliiliiiiil
    .private_segment_fixed_size: 16
    .sgpr_count:     40
    .sgpr_spill_count: 0
    .symbol:         _ZL18flash_attn_ext_f16ILi80ELi80ELi8ELi2ELb1ELb0EEvPKcS1_S1_S1_S1_PKiPfP15HIP_vector_typeIfLj2EEffffjfiS5_IjLj3EEiiiiiiiiiiiliiliiiiil.kd
    .uniform_work_group_size: 1
    .uses_dynamic_stack: false
    .vgpr_count:     39
    .vgpr_spill_count: 0
    .wavefront_size: 64
  - .agpr_count:     0
    .args:
      - .address_space:  global
        .offset:         0
        .size:           8
        .value_kind:     global_buffer
      - .address_space:  global
        .offset:         8
        .size:           8
        .value_kind:     global_buffer
      - .offset:         16
        .size:           4
        .value_kind:     by_value
      - .offset:         20
        .size:           4
        .value_kind:     by_value
      - .offset:         24
        .size:           4
        .value_kind:     by_value
      - .offset:         28
        .size:           4
        .value_kind:     by_value
      - .offset:         32
        .size:           4
        .value_kind:     by_value
      - .offset:         36
        .size:           4
        .value_kind:     by_value
      - .offset:         40
        .size:           12
        .value_kind:     by_value
      - .offset:         52
        .size:           12
        .value_kind:     by_value
      - .offset:         64
        .size:           12
        .value_kind:     by_value
    .group_segment_fixed_size: 0
    .kernarg_segment_align: 8
    .kernarg_segment_size: 76
    .language:       OpenCL C
    .language_version:
      - 2
      - 0
    .max_flat_workgroup_size: 80
    .name:           _ZL33flash_attn_stream_k_fixup_uniformILi80ELi8ELi2EEvPfPK15HIP_vector_typeIfLj2EEiiiiiiS1_IjLj3EES5_S5_
    .private_segment_fixed_size: 0
    .sgpr_count:     24
    .sgpr_spill_count: 0
    .symbol:         _ZL33flash_attn_stream_k_fixup_uniformILi80ELi8ELi2EEvPfPK15HIP_vector_typeIfLj2EEiiiiiiS1_IjLj3EES5_S5_.kd
    .uniform_work_group_size: 1
    .uses_dynamic_stack: false
    .vgpr_count:     17
    .vgpr_spill_count: 0
    .wavefront_size: 64
  - .agpr_count:     0
    .args:
      - .address_space:  global
        .offset:         0
        .size:           8
        .value_kind:     global_buffer
      - .address_space:  global
        .offset:         8
        .size:           8
        .value_kind:     global_buffer
      - .offset:         16
        .size:           4
        .value_kind:     by_value
      - .offset:         20
        .size:           4
        .value_kind:     by_value
      - .offset:         24
        .size:           4
        .value_kind:     by_value
      - .offset:         28
        .size:           4
        .value_kind:     by_value
      - .offset:         32
        .size:           12
        .value_kind:     by_value
      - .offset:         44
        .size:           12
        .value_kind:     by_value
      - .offset:         56
        .size:           12
        .value_kind:     by_value
      - .offset:         68
        .size:           12
        .value_kind:     by_value
      - .offset:         80
        .size:           4
        .value_kind:     hidden_block_count_x
      - .offset:         84
        .size:           4
        .value_kind:     hidden_block_count_y
      - .offset:         88
        .size:           4
        .value_kind:     hidden_block_count_z
      - .offset:         92
        .size:           2
        .value_kind:     hidden_group_size_x
      - .offset:         94
        .size:           2
        .value_kind:     hidden_group_size_y
      - .offset:         96
        .size:           2
        .value_kind:     hidden_group_size_z
      - .offset:         98
        .size:           2
        .value_kind:     hidden_remainder_x
      - .offset:         100
        .size:           2
        .value_kind:     hidden_remainder_y
      - .offset:         102
        .size:           2
        .value_kind:     hidden_remainder_z
      - .offset:         120
        .size:           8
        .value_kind:     hidden_global_offset_x
      - .offset:         128
        .size:           8
        .value_kind:     hidden_global_offset_y
      - .offset:         136
        .size:           8
        .value_kind:     hidden_global_offset_z
      - .offset:         144
        .size:           2
        .value_kind:     hidden_grid_dims
    .group_segment_fixed_size: 0
    .kernarg_segment_align: 8
    .kernarg_segment_size: 336
    .language:       OpenCL C
    .language_version:
      - 2
      - 0
    .max_flat_workgroup_size: 80
    .name:           _ZL33flash_attn_stream_k_fixup_generalILi80ELi8ELi2EEvPfPK15HIP_vector_typeIfLj2EEiiiiS1_IjLj3EES5_S5_S5_
    .private_segment_fixed_size: 0
    .sgpr_count:     36
    .sgpr_spill_count: 0
    .symbol:         _ZL33flash_attn_stream_k_fixup_generalILi80ELi8ELi2EEvPfPK15HIP_vector_typeIfLj2EEiiiiS1_IjLj3EES5_S5_S5_.kd
    .uniform_work_group_size: 1
    .uses_dynamic_stack: false
    .vgpr_count:     22
    .vgpr_spill_count: 0
    .wavefront_size: 64
  - .agpr_count:     0
    .args:
      - .address_space:  global
        .offset:         0
        .size:           8
        .value_kind:     global_buffer
      - .address_space:  global
        .offset:         8
        .size:           8
        .value_kind:     global_buffer
      - .address_space:  global
        .offset:         16
        .size:           8
        .value_kind:     global_buffer
      - .offset:         24
        .size:           4
        .value_kind:     by_value
      - .offset:         32
        .size:           4
        .value_kind:     hidden_block_count_x
      - .offset:         36
        .size:           4
        .value_kind:     hidden_block_count_y
      - .offset:         40
        .size:           4
        .value_kind:     hidden_block_count_z
      - .offset:         44
        .size:           2
        .value_kind:     hidden_group_size_x
      - .offset:         46
        .size:           2
        .value_kind:     hidden_group_size_y
      - .offset:         48
        .size:           2
        .value_kind:     hidden_group_size_z
      - .offset:         50
        .size:           2
        .value_kind:     hidden_remainder_x
      - .offset:         52
        .size:           2
        .value_kind:     hidden_remainder_y
      - .offset:         54
        .size:           2
        .value_kind:     hidden_remainder_z
      - .offset:         72
        .size:           8
        .value_kind:     hidden_global_offset_x
      - .offset:         80
        .size:           8
        .value_kind:     hidden_global_offset_y
      - .offset:         88
        .size:           8
        .value_kind:     hidden_global_offset_z
      - .offset:         96
        .size:           2
        .value_kind:     hidden_grid_dims
      - .offset:         152
        .size:           4
        .value_kind:     hidden_dynamic_lds_size
    .group_segment_fixed_size: 0
    .kernarg_segment_align: 8
    .kernarg_segment_size: 288
    .language:       OpenCL C
    .language_version:
      - 2
      - 0
    .max_flat_workgroup_size: 80
    .name:           _ZL26flash_attn_combine_resultsILi80EEvPKfPK15HIP_vector_typeIfLj2EEPfi
    .private_segment_fixed_size: 0
    .sgpr_count:     33
    .sgpr_spill_count: 0
    .symbol:         _ZL26flash_attn_combine_resultsILi80EEvPKfPK15HIP_vector_typeIfLj2EEPfi.kd
    .uniform_work_group_size: 1
    .uses_dynamic_stack: false
    .vgpr_count:     51
    .vgpr_spill_count: 0
    .wavefront_size: 64
  - .agpr_count:     0
    .args:
      - .address_space:  global
        .offset:         0
        .size:           8
        .value_kind:     global_buffer
      - .address_space:  global
        .offset:         8
        .size:           8
        .value_kind:     global_buffer
      - .address_space:  global
        .offset:         16
        .size:           8
        .value_kind:     global_buffer
      - .address_space:  global
        .offset:         24
        .size:           8
        .value_kind:     global_buffer
      - .address_space:  global
        .offset:         32
        .size:           8
        .value_kind:     global_buffer
      - .address_space:  global
        .offset:         40
        .size:           8
        .value_kind:     global_buffer
      - .address_space:  global
        .offset:         48
        .size:           8
        .value_kind:     global_buffer
      - .address_space:  global
        .offset:         56
        .size:           8
        .value_kind:     global_buffer
      - .offset:         64
        .size:           4
        .value_kind:     by_value
      - .offset:         68
        .size:           4
        .value_kind:     by_value
      - .offset:         72
        .size:           4
        .value_kind:     by_value
      - .offset:         76
        .size:           4
        .value_kind:     by_value
      - .offset:         80
        .size:           4
        .value_kind:     by_value
      - .offset:         84
        .size:           4
        .value_kind:     by_value
      - .offset:         88
        .size:           4
        .value_kind:     by_value
      - .offset:         92
        .size:           12
        .value_kind:     by_value
      - .offset:         104
        .size:           4
        .value_kind:     by_value
      - .offset:         108
        .size:           4
        .value_kind:     by_value
      - .offset:         112
        .size:           4
        .value_kind:     by_value
      - .offset:         116
        .size:           4
        .value_kind:     by_value
      - .offset:         120
        .size:           4
        .value_kind:     by_value
      - .offset:         124
        .size:           4
        .value_kind:     by_value
      - .offset:         128
        .size:           4
        .value_kind:     by_value
      - .offset:         132
        .size:           4
        .value_kind:     by_value
      - .offset:         136
        .size:           4
        .value_kind:     by_value
      - .offset:         140
        .size:           4
        .value_kind:     by_value
      - .offset:         144
        .size:           4
        .value_kind:     by_value
      - .offset:         152
        .size:           8
        .value_kind:     by_value
      - .offset:         160
        .size:           4
        .value_kind:     by_value
      - .offset:         164
        .size:           4
        .value_kind:     by_value
      - .offset:         168
        .size:           8
        .value_kind:     by_value
      - .offset:         176
        .size:           4
        .value_kind:     by_value
      - .offset:         180
        .size:           4
        .value_kind:     by_value
      - .offset:         184
        .size:           4
        .value_kind:     by_value
      - .offset:         188
        .size:           4
        .value_kind:     by_value
      - .offset:         192
        .size:           4
        .value_kind:     by_value
      - .offset:         200
        .size:           8
        .value_kind:     by_value
      - .offset:         208
        .size:           4
        .value_kind:     hidden_block_count_x
      - .offset:         212
        .size:           4
        .value_kind:     hidden_block_count_y
      - .offset:         216
        .size:           4
        .value_kind:     hidden_block_count_z
      - .offset:         220
        .size:           2
        .value_kind:     hidden_group_size_x
      - .offset:         222
        .size:           2
        .value_kind:     hidden_group_size_y
      - .offset:         224
        .size:           2
        .value_kind:     hidden_group_size_z
      - .offset:         226
        .size:           2
        .value_kind:     hidden_remainder_x
      - .offset:         228
        .size:           2
        .value_kind:     hidden_remainder_y
      - .offset:         230
        .size:           2
        .value_kind:     hidden_remainder_z
      - .offset:         248
        .size:           8
        .value_kind:     hidden_global_offset_x
      - .offset:         256
        .size:           8
        .value_kind:     hidden_global_offset_y
      - .offset:         264
        .size:           8
        .value_kind:     hidden_global_offset_z
      - .offset:         272
        .size:           2
        .value_kind:     hidden_grid_dims
      - .offset:         328
        .size:           4
        .value_kind:     hidden_dynamic_lds_size
    .group_segment_fixed_size: 0
    .kernarg_segment_align: 8
    .kernarg_segment_size: 464
    .language:       OpenCL C
    .language_version:
      - 2
      - 0
    .max_flat_workgroup_size: 256
    .name:           _ZL18flash_attn_ext_f16ILi96ELi96ELi8ELi2ELb0ELb0EEvPKcS1_S1_S1_S1_PKiPfP15HIP_vector_typeIfLj2EEffffjfiS5_IjLj3EEiiiiiiiiiiiliiliiiiil
    .private_segment_fixed_size: 0
    .sgpr_count:     100
    .sgpr_spill_count: 24
    .symbol:         _ZL18flash_attn_ext_f16ILi96ELi96ELi8ELi2ELb0ELb0EEvPKcS1_S1_S1_S1_PKiPfP15HIP_vector_typeIfLj2EEffffjfiS5_IjLj3EEiiiiiiiiiiiliiliiiiil.kd
    .uniform_work_group_size: 1
    .uses_dynamic_stack: false
    .vgpr_count:     178
    .vgpr_spill_count: 0
    .wavefront_size: 64
  - .agpr_count:     0
    .args:
      - .address_space:  global
        .offset:         0
        .size:           8
        .value_kind:     global_buffer
      - .address_space:  global
        .offset:         8
        .size:           8
        .value_kind:     global_buffer
      - .address_space:  global
        .offset:         16
        .size:           8
        .value_kind:     global_buffer
      - .address_space:  global
        .offset:         24
        .size:           8
        .value_kind:     global_buffer
      - .address_space:  global
        .offset:         32
        .size:           8
        .value_kind:     global_buffer
      - .address_space:  global
        .offset:         40
        .size:           8
        .value_kind:     global_buffer
      - .address_space:  global
        .offset:         48
        .size:           8
        .value_kind:     global_buffer
      - .address_space:  global
        .offset:         56
        .size:           8
        .value_kind:     global_buffer
      - .offset:         64
        .size:           4
        .value_kind:     by_value
      - .offset:         68
        .size:           4
        .value_kind:     by_value
      - .offset:         72
        .size:           4
        .value_kind:     by_value
      - .offset:         76
        .size:           4
        .value_kind:     by_value
      - .offset:         80
        .size:           4
        .value_kind:     by_value
      - .offset:         84
        .size:           4
        .value_kind:     by_value
      - .offset:         88
        .size:           4
        .value_kind:     by_value
      - .offset:         92
        .size:           12
        .value_kind:     by_value
      - .offset:         104
        .size:           4
        .value_kind:     by_value
      - .offset:         108
        .size:           4
        .value_kind:     by_value
      - .offset:         112
        .size:           4
        .value_kind:     by_value
      - .offset:         116
        .size:           4
        .value_kind:     by_value
      - .offset:         120
        .size:           4
        .value_kind:     by_value
      - .offset:         124
        .size:           4
        .value_kind:     by_value
      - .offset:         128
        .size:           4
        .value_kind:     by_value
      - .offset:         132
        .size:           4
        .value_kind:     by_value
      - .offset:         136
        .size:           4
        .value_kind:     by_value
      - .offset:         140
        .size:           4
        .value_kind:     by_value
      - .offset:         144
        .size:           4
        .value_kind:     by_value
      - .offset:         152
        .size:           8
        .value_kind:     by_value
      - .offset:         160
        .size:           4
        .value_kind:     by_value
      - .offset:         164
        .size:           4
        .value_kind:     by_value
      - .offset:         168
        .size:           8
        .value_kind:     by_value
      - .offset:         176
        .size:           4
        .value_kind:     by_value
      - .offset:         180
        .size:           4
        .value_kind:     by_value
      - .offset:         184
        .size:           4
        .value_kind:     by_value
      - .offset:         188
        .size:           4
        .value_kind:     by_value
      - .offset:         192
        .size:           4
        .value_kind:     by_value
      - .offset:         200
        .size:           8
        .value_kind:     by_value
      - .offset:         208
        .size:           4
        .value_kind:     hidden_block_count_x
      - .offset:         212
        .size:           4
        .value_kind:     hidden_block_count_y
      - .offset:         216
        .size:           4
        .value_kind:     hidden_block_count_z
      - .offset:         220
        .size:           2
        .value_kind:     hidden_group_size_x
      - .offset:         222
        .size:           2
        .value_kind:     hidden_group_size_y
      - .offset:         224
        .size:           2
        .value_kind:     hidden_group_size_z
      - .offset:         226
        .size:           2
        .value_kind:     hidden_remainder_x
      - .offset:         228
        .size:           2
        .value_kind:     hidden_remainder_y
      - .offset:         230
        .size:           2
        .value_kind:     hidden_remainder_z
      - .offset:         248
        .size:           8
        .value_kind:     hidden_global_offset_x
      - .offset:         256
        .size:           8
        .value_kind:     hidden_global_offset_y
      - .offset:         264
        .size:           8
        .value_kind:     hidden_global_offset_z
      - .offset:         272
        .size:           2
        .value_kind:     hidden_grid_dims
      - .offset:         288
        .size:           8
        .value_kind:     hidden_hostcall_buffer
    .group_segment_fixed_size: 0
    .kernarg_segment_align: 8
    .kernarg_segment_size: 464
    .language:       OpenCL C
    .language_version:
      - 2
      - 0
    .max_flat_workgroup_size: 256
    .name:           _ZL18flash_attn_ext_f16ILi96ELi96ELi8ELi2ELb1ELb0EEvPKcS1_S1_S1_S1_PKiPfP15HIP_vector_typeIfLj2EEffffjfiS5_IjLj3EEiiiiiiiiiiiliiliiiiil
    .private_segment_fixed_size: 16
    .sgpr_count:     40
    .sgpr_spill_count: 0
    .symbol:         _ZL18flash_attn_ext_f16ILi96ELi96ELi8ELi2ELb1ELb0EEvPKcS1_S1_S1_S1_PKiPfP15HIP_vector_typeIfLj2EEffffjfiS5_IjLj3EEiiiiiiiiiiiliiliiiiil.kd
    .uniform_work_group_size: 1
    .uses_dynamic_stack: false
    .vgpr_count:     39
    .vgpr_spill_count: 0
    .wavefront_size: 64
  - .agpr_count:     0
    .args:
      - .address_space:  global
        .offset:         0
        .size:           8
        .value_kind:     global_buffer
      - .address_space:  global
        .offset:         8
        .size:           8
        .value_kind:     global_buffer
      - .offset:         16
        .size:           4
        .value_kind:     by_value
      - .offset:         20
        .size:           4
        .value_kind:     by_value
      - .offset:         24
        .size:           4
        .value_kind:     by_value
      - .offset:         28
        .size:           4
        .value_kind:     by_value
      - .offset:         32
        .size:           4
        .value_kind:     by_value
      - .offset:         36
        .size:           4
        .value_kind:     by_value
      - .offset:         40
        .size:           12
        .value_kind:     by_value
      - .offset:         52
        .size:           12
        .value_kind:     by_value
      - .offset:         64
        .size:           12
        .value_kind:     by_value
    .group_segment_fixed_size: 0
    .kernarg_segment_align: 8
    .kernarg_segment_size: 76
    .language:       OpenCL C
    .language_version:
      - 2
      - 0
    .max_flat_workgroup_size: 96
    .name:           _ZL33flash_attn_stream_k_fixup_uniformILi96ELi8ELi2EEvPfPK15HIP_vector_typeIfLj2EEiiiiiiS1_IjLj3EES5_S5_
    .private_segment_fixed_size: 0
    .sgpr_count:     24
    .sgpr_spill_count: 0
    .symbol:         _ZL33flash_attn_stream_k_fixup_uniformILi96ELi8ELi2EEvPfPK15HIP_vector_typeIfLj2EEiiiiiiS1_IjLj3EES5_S5_.kd
    .uniform_work_group_size: 1
    .uses_dynamic_stack: false
    .vgpr_count:     17
    .vgpr_spill_count: 0
    .wavefront_size: 64
  - .agpr_count:     0
    .args:
      - .address_space:  global
        .offset:         0
        .size:           8
        .value_kind:     global_buffer
      - .address_space:  global
        .offset:         8
        .size:           8
        .value_kind:     global_buffer
      - .offset:         16
        .size:           4
        .value_kind:     by_value
      - .offset:         20
        .size:           4
        .value_kind:     by_value
      - .offset:         24
        .size:           4
        .value_kind:     by_value
      - .offset:         28
        .size:           4
        .value_kind:     by_value
      - .offset:         32
        .size:           12
        .value_kind:     by_value
      - .offset:         44
        .size:           12
        .value_kind:     by_value
      - .offset:         56
        .size:           12
        .value_kind:     by_value
      - .offset:         68
        .size:           12
        .value_kind:     by_value
      - .offset:         80
        .size:           4
        .value_kind:     hidden_block_count_x
      - .offset:         84
        .size:           4
        .value_kind:     hidden_block_count_y
      - .offset:         88
        .size:           4
        .value_kind:     hidden_block_count_z
      - .offset:         92
        .size:           2
        .value_kind:     hidden_group_size_x
      - .offset:         94
        .size:           2
        .value_kind:     hidden_group_size_y
      - .offset:         96
        .size:           2
        .value_kind:     hidden_group_size_z
      - .offset:         98
        .size:           2
        .value_kind:     hidden_remainder_x
      - .offset:         100
        .size:           2
        .value_kind:     hidden_remainder_y
      - .offset:         102
        .size:           2
        .value_kind:     hidden_remainder_z
      - .offset:         120
        .size:           8
        .value_kind:     hidden_global_offset_x
      - .offset:         128
        .size:           8
        .value_kind:     hidden_global_offset_y
      - .offset:         136
        .size:           8
        .value_kind:     hidden_global_offset_z
      - .offset:         144
        .size:           2
        .value_kind:     hidden_grid_dims
    .group_segment_fixed_size: 0
    .kernarg_segment_align: 8
    .kernarg_segment_size: 336
    .language:       OpenCL C
    .language_version:
      - 2
      - 0
    .max_flat_workgroup_size: 96
    .name:           _ZL33flash_attn_stream_k_fixup_generalILi96ELi8ELi2EEvPfPK15HIP_vector_typeIfLj2EEiiiiS1_IjLj3EES5_S5_S5_
    .private_segment_fixed_size: 0
    .sgpr_count:     36
    .sgpr_spill_count: 0
    .symbol:         _ZL33flash_attn_stream_k_fixup_generalILi96ELi8ELi2EEvPfPK15HIP_vector_typeIfLj2EEiiiiS1_IjLj3EES5_S5_S5_.kd
    .uniform_work_group_size: 1
    .uses_dynamic_stack: false
    .vgpr_count:     22
    .vgpr_spill_count: 0
    .wavefront_size: 64
  - .agpr_count:     0
    .args:
      - .address_space:  global
        .offset:         0
        .size:           8
        .value_kind:     global_buffer
      - .address_space:  global
        .offset:         8
        .size:           8
        .value_kind:     global_buffer
      - .address_space:  global
        .offset:         16
        .size:           8
        .value_kind:     global_buffer
      - .offset:         24
        .size:           4
        .value_kind:     by_value
      - .offset:         32
        .size:           4
        .value_kind:     hidden_block_count_x
      - .offset:         36
        .size:           4
        .value_kind:     hidden_block_count_y
      - .offset:         40
        .size:           4
        .value_kind:     hidden_block_count_z
      - .offset:         44
        .size:           2
        .value_kind:     hidden_group_size_x
      - .offset:         46
        .size:           2
        .value_kind:     hidden_group_size_y
      - .offset:         48
        .size:           2
        .value_kind:     hidden_group_size_z
      - .offset:         50
        .size:           2
        .value_kind:     hidden_remainder_x
      - .offset:         52
        .size:           2
        .value_kind:     hidden_remainder_y
      - .offset:         54
        .size:           2
        .value_kind:     hidden_remainder_z
      - .offset:         72
        .size:           8
        .value_kind:     hidden_global_offset_x
      - .offset:         80
        .size:           8
        .value_kind:     hidden_global_offset_y
      - .offset:         88
        .size:           8
        .value_kind:     hidden_global_offset_z
      - .offset:         96
        .size:           2
        .value_kind:     hidden_grid_dims
      - .offset:         152
        .size:           4
        .value_kind:     hidden_dynamic_lds_size
    .group_segment_fixed_size: 0
    .kernarg_segment_align: 8
    .kernarg_segment_size: 288
    .language:       OpenCL C
    .language_version:
      - 2
      - 0
    .max_flat_workgroup_size: 96
    .name:           _ZL26flash_attn_combine_resultsILi96EEvPKfPK15HIP_vector_typeIfLj2EEPfi
    .private_segment_fixed_size: 0
    .sgpr_count:     33
    .sgpr_spill_count: 0
    .symbol:         _ZL26flash_attn_combine_resultsILi96EEvPKfPK15HIP_vector_typeIfLj2EEPfi.kd
    .uniform_work_group_size: 1
    .uses_dynamic_stack: false
    .vgpr_count:     51
    .vgpr_spill_count: 0
    .wavefront_size: 64
  - .agpr_count:     0
    .args:
      - .address_space:  global
        .offset:         0
        .size:           8
        .value_kind:     global_buffer
      - .address_space:  global
        .offset:         8
        .size:           8
        .value_kind:     global_buffer
      - .address_space:  global
        .offset:         16
        .size:           8
        .value_kind:     global_buffer
      - .address_space:  global
        .offset:         24
        .size:           8
        .value_kind:     global_buffer
      - .address_space:  global
        .offset:         32
        .size:           8
        .value_kind:     global_buffer
      - .address_space:  global
        .offset:         40
        .size:           8
        .value_kind:     global_buffer
      - .address_space:  global
        .offset:         48
        .size:           8
        .value_kind:     global_buffer
      - .address_space:  global
        .offset:         56
        .size:           8
        .value_kind:     global_buffer
      - .offset:         64
        .size:           4
        .value_kind:     by_value
      - .offset:         68
        .size:           4
        .value_kind:     by_value
      - .offset:         72
        .size:           4
        .value_kind:     by_value
      - .offset:         76
        .size:           4
        .value_kind:     by_value
      - .offset:         80
        .size:           4
        .value_kind:     by_value
      - .offset:         84
        .size:           4
        .value_kind:     by_value
      - .offset:         88
        .size:           4
        .value_kind:     by_value
      - .offset:         92
        .size:           12
        .value_kind:     by_value
      - .offset:         104
        .size:           4
        .value_kind:     by_value
      - .offset:         108
        .size:           4
        .value_kind:     by_value
      - .offset:         112
        .size:           4
        .value_kind:     by_value
      - .offset:         116
        .size:           4
        .value_kind:     by_value
      - .offset:         120
        .size:           4
        .value_kind:     by_value
      - .offset:         124
        .size:           4
        .value_kind:     by_value
      - .offset:         128
        .size:           4
        .value_kind:     by_value
      - .offset:         132
        .size:           4
        .value_kind:     by_value
      - .offset:         136
        .size:           4
        .value_kind:     by_value
      - .offset:         140
        .size:           4
        .value_kind:     by_value
      - .offset:         144
        .size:           4
        .value_kind:     by_value
      - .offset:         152
        .size:           8
        .value_kind:     by_value
      - .offset:         160
        .size:           4
        .value_kind:     by_value
      - .offset:         164
        .size:           4
        .value_kind:     by_value
      - .offset:         168
        .size:           8
        .value_kind:     by_value
      - .offset:         176
        .size:           4
        .value_kind:     by_value
      - .offset:         180
        .size:           4
        .value_kind:     by_value
      - .offset:         184
        .size:           4
        .value_kind:     by_value
      - .offset:         188
        .size:           4
        .value_kind:     by_value
      - .offset:         192
        .size:           4
        .value_kind:     by_value
      - .offset:         200
        .size:           8
        .value_kind:     by_value
      - .offset:         208
        .size:           4
        .value_kind:     hidden_block_count_x
      - .offset:         212
        .size:           4
        .value_kind:     hidden_block_count_y
      - .offset:         216
        .size:           4
        .value_kind:     hidden_block_count_z
      - .offset:         220
        .size:           2
        .value_kind:     hidden_group_size_x
      - .offset:         222
        .size:           2
        .value_kind:     hidden_group_size_y
      - .offset:         224
        .size:           2
        .value_kind:     hidden_group_size_z
      - .offset:         226
        .size:           2
        .value_kind:     hidden_remainder_x
      - .offset:         228
        .size:           2
        .value_kind:     hidden_remainder_y
      - .offset:         230
        .size:           2
        .value_kind:     hidden_remainder_z
      - .offset:         248
        .size:           8
        .value_kind:     hidden_global_offset_x
      - .offset:         256
        .size:           8
        .value_kind:     hidden_global_offset_y
      - .offset:         264
        .size:           8
        .value_kind:     hidden_global_offset_z
      - .offset:         272
        .size:           2
        .value_kind:     hidden_grid_dims
      - .offset:         328
        .size:           4
        .value_kind:     hidden_dynamic_lds_size
    .group_segment_fixed_size: 0
    .kernarg_segment_align: 8
    .kernarg_segment_size: 464
    .language:       OpenCL C
    .language_version:
      - 2
      - 0
    .max_flat_workgroup_size: 256
    .name:           _ZL18flash_attn_ext_f16ILi112ELi112ELi8ELi2ELb0ELb0EEvPKcS1_S1_S1_S1_PKiPfP15HIP_vector_typeIfLj2EEffffjfiS5_IjLj3EEiiiiiiiiiiiliiliiiiil
    .private_segment_fixed_size: 0
    .sgpr_count:     100
    .sgpr_spill_count: 28
    .symbol:         _ZL18flash_attn_ext_f16ILi112ELi112ELi8ELi2ELb0ELb0EEvPKcS1_S1_S1_S1_PKiPfP15HIP_vector_typeIfLj2EEffffjfiS5_IjLj3EEiiiiiiiiiiiliiliiiiil.kd
    .uniform_work_group_size: 1
    .uses_dynamic_stack: false
    .vgpr_count:     198
    .vgpr_spill_count: 0
    .wavefront_size: 64
  - .agpr_count:     0
    .args:
      - .address_space:  global
        .offset:         0
        .size:           8
        .value_kind:     global_buffer
      - .address_space:  global
        .offset:         8
        .size:           8
        .value_kind:     global_buffer
      - .address_space:  global
        .offset:         16
        .size:           8
        .value_kind:     global_buffer
      - .address_space:  global
        .offset:         24
        .size:           8
        .value_kind:     global_buffer
      - .address_space:  global
        .offset:         32
        .size:           8
        .value_kind:     global_buffer
      - .address_space:  global
        .offset:         40
        .size:           8
        .value_kind:     global_buffer
      - .address_space:  global
        .offset:         48
        .size:           8
        .value_kind:     global_buffer
      - .address_space:  global
        .offset:         56
        .size:           8
        .value_kind:     global_buffer
      - .offset:         64
        .size:           4
        .value_kind:     by_value
      - .offset:         68
        .size:           4
        .value_kind:     by_value
      - .offset:         72
        .size:           4
        .value_kind:     by_value
      - .offset:         76
        .size:           4
        .value_kind:     by_value
      - .offset:         80
        .size:           4
        .value_kind:     by_value
      - .offset:         84
        .size:           4
        .value_kind:     by_value
      - .offset:         88
        .size:           4
        .value_kind:     by_value
      - .offset:         92
        .size:           12
        .value_kind:     by_value
      - .offset:         104
        .size:           4
        .value_kind:     by_value
      - .offset:         108
        .size:           4
        .value_kind:     by_value
      - .offset:         112
        .size:           4
        .value_kind:     by_value
      - .offset:         116
        .size:           4
        .value_kind:     by_value
      - .offset:         120
        .size:           4
        .value_kind:     by_value
      - .offset:         124
        .size:           4
        .value_kind:     by_value
      - .offset:         128
        .size:           4
        .value_kind:     by_value
      - .offset:         132
        .size:           4
        .value_kind:     by_value
      - .offset:         136
        .size:           4
        .value_kind:     by_value
      - .offset:         140
        .size:           4
        .value_kind:     by_value
      - .offset:         144
        .size:           4
        .value_kind:     by_value
      - .offset:         152
        .size:           8
        .value_kind:     by_value
      - .offset:         160
        .size:           4
        .value_kind:     by_value
      - .offset:         164
        .size:           4
        .value_kind:     by_value
      - .offset:         168
        .size:           8
        .value_kind:     by_value
      - .offset:         176
        .size:           4
        .value_kind:     by_value
      - .offset:         180
        .size:           4
        .value_kind:     by_value
      - .offset:         184
        .size:           4
        .value_kind:     by_value
      - .offset:         188
        .size:           4
        .value_kind:     by_value
      - .offset:         192
        .size:           4
        .value_kind:     by_value
      - .offset:         200
        .size:           8
        .value_kind:     by_value
      - .offset:         208
        .size:           4
        .value_kind:     hidden_block_count_x
      - .offset:         212
        .size:           4
        .value_kind:     hidden_block_count_y
      - .offset:         216
        .size:           4
        .value_kind:     hidden_block_count_z
      - .offset:         220
        .size:           2
        .value_kind:     hidden_group_size_x
      - .offset:         222
        .size:           2
        .value_kind:     hidden_group_size_y
      - .offset:         224
        .size:           2
        .value_kind:     hidden_group_size_z
      - .offset:         226
        .size:           2
        .value_kind:     hidden_remainder_x
      - .offset:         228
        .size:           2
        .value_kind:     hidden_remainder_y
      - .offset:         230
        .size:           2
        .value_kind:     hidden_remainder_z
      - .offset:         248
        .size:           8
        .value_kind:     hidden_global_offset_x
      - .offset:         256
        .size:           8
        .value_kind:     hidden_global_offset_y
      - .offset:         264
        .size:           8
        .value_kind:     hidden_global_offset_z
      - .offset:         272
        .size:           2
        .value_kind:     hidden_grid_dims
      - .offset:         288
        .size:           8
        .value_kind:     hidden_hostcall_buffer
    .group_segment_fixed_size: 0
    .kernarg_segment_align: 8
    .kernarg_segment_size: 464
    .language:       OpenCL C
    .language_version:
      - 2
      - 0
    .max_flat_workgroup_size: 256
    .name:           _ZL18flash_attn_ext_f16ILi112ELi112ELi8ELi2ELb1ELb0EEvPKcS1_S1_S1_S1_PKiPfP15HIP_vector_typeIfLj2EEffffjfiS5_IjLj3EEiiiiiiiiiiiliiliiiiil
    .private_segment_fixed_size: 16
    .sgpr_count:     40
    .sgpr_spill_count: 0
    .symbol:         _ZL18flash_attn_ext_f16ILi112ELi112ELi8ELi2ELb1ELb0EEvPKcS1_S1_S1_S1_PKiPfP15HIP_vector_typeIfLj2EEffffjfiS5_IjLj3EEiiiiiiiiiiiliiliiiiil.kd
    .uniform_work_group_size: 1
    .uses_dynamic_stack: false
    .vgpr_count:     39
    .vgpr_spill_count: 0
    .wavefront_size: 64
  - .agpr_count:     0
    .args:
      - .address_space:  global
        .offset:         0
        .size:           8
        .value_kind:     global_buffer
      - .address_space:  global
        .offset:         8
        .size:           8
        .value_kind:     global_buffer
      - .offset:         16
        .size:           4
        .value_kind:     by_value
      - .offset:         20
        .size:           4
        .value_kind:     by_value
      - .offset:         24
        .size:           4
        .value_kind:     by_value
      - .offset:         28
        .size:           4
        .value_kind:     by_value
      - .offset:         32
        .size:           4
        .value_kind:     by_value
      - .offset:         36
        .size:           4
        .value_kind:     by_value
      - .offset:         40
        .size:           12
        .value_kind:     by_value
      - .offset:         52
        .size:           12
        .value_kind:     by_value
      - .offset:         64
        .size:           12
        .value_kind:     by_value
    .group_segment_fixed_size: 0
    .kernarg_segment_align: 8
    .kernarg_segment_size: 76
    .language:       OpenCL C
    .language_version:
      - 2
      - 0
    .max_flat_workgroup_size: 112
    .name:           _ZL33flash_attn_stream_k_fixup_uniformILi112ELi8ELi2EEvPfPK15HIP_vector_typeIfLj2EEiiiiiiS1_IjLj3EES5_S5_
    .private_segment_fixed_size: 0
    .sgpr_count:     24
    .sgpr_spill_count: 0
    .symbol:         _ZL33flash_attn_stream_k_fixup_uniformILi112ELi8ELi2EEvPfPK15HIP_vector_typeIfLj2EEiiiiiiS1_IjLj3EES5_S5_.kd
    .uniform_work_group_size: 1
    .uses_dynamic_stack: false
    .vgpr_count:     17
    .vgpr_spill_count: 0
    .wavefront_size: 64
  - .agpr_count:     0
    .args:
      - .address_space:  global
        .offset:         0
        .size:           8
        .value_kind:     global_buffer
      - .address_space:  global
        .offset:         8
        .size:           8
        .value_kind:     global_buffer
      - .offset:         16
        .size:           4
        .value_kind:     by_value
      - .offset:         20
        .size:           4
        .value_kind:     by_value
      - .offset:         24
        .size:           4
        .value_kind:     by_value
      - .offset:         28
        .size:           4
        .value_kind:     by_value
      - .offset:         32
        .size:           12
        .value_kind:     by_value
      - .offset:         44
        .size:           12
        .value_kind:     by_value
      - .offset:         56
        .size:           12
        .value_kind:     by_value
      - .offset:         68
        .size:           12
        .value_kind:     by_value
      - .offset:         80
        .size:           4
        .value_kind:     hidden_block_count_x
      - .offset:         84
        .size:           4
        .value_kind:     hidden_block_count_y
      - .offset:         88
        .size:           4
        .value_kind:     hidden_block_count_z
      - .offset:         92
        .size:           2
        .value_kind:     hidden_group_size_x
      - .offset:         94
        .size:           2
        .value_kind:     hidden_group_size_y
      - .offset:         96
        .size:           2
        .value_kind:     hidden_group_size_z
      - .offset:         98
        .size:           2
        .value_kind:     hidden_remainder_x
      - .offset:         100
        .size:           2
        .value_kind:     hidden_remainder_y
      - .offset:         102
        .size:           2
        .value_kind:     hidden_remainder_z
      - .offset:         120
        .size:           8
        .value_kind:     hidden_global_offset_x
      - .offset:         128
        .size:           8
        .value_kind:     hidden_global_offset_y
      - .offset:         136
        .size:           8
        .value_kind:     hidden_global_offset_z
      - .offset:         144
        .size:           2
        .value_kind:     hidden_grid_dims
    .group_segment_fixed_size: 0
    .kernarg_segment_align: 8
    .kernarg_segment_size: 336
    .language:       OpenCL C
    .language_version:
      - 2
      - 0
    .max_flat_workgroup_size: 112
    .name:           _ZL33flash_attn_stream_k_fixup_generalILi112ELi8ELi2EEvPfPK15HIP_vector_typeIfLj2EEiiiiS1_IjLj3EES5_S5_S5_
    .private_segment_fixed_size: 0
    .sgpr_count:     36
    .sgpr_spill_count: 0
    .symbol:         _ZL33flash_attn_stream_k_fixup_generalILi112ELi8ELi2EEvPfPK15HIP_vector_typeIfLj2EEiiiiS1_IjLj3EES5_S5_S5_.kd
    .uniform_work_group_size: 1
    .uses_dynamic_stack: false
    .vgpr_count:     22
    .vgpr_spill_count: 0
    .wavefront_size: 64
  - .agpr_count:     0
    .args:
      - .address_space:  global
        .offset:         0
        .size:           8
        .value_kind:     global_buffer
      - .address_space:  global
        .offset:         8
        .size:           8
        .value_kind:     global_buffer
      - .address_space:  global
        .offset:         16
        .size:           8
        .value_kind:     global_buffer
      - .offset:         24
        .size:           4
        .value_kind:     by_value
      - .offset:         32
        .size:           4
        .value_kind:     hidden_block_count_x
      - .offset:         36
        .size:           4
        .value_kind:     hidden_block_count_y
      - .offset:         40
        .size:           4
        .value_kind:     hidden_block_count_z
      - .offset:         44
        .size:           2
        .value_kind:     hidden_group_size_x
      - .offset:         46
        .size:           2
        .value_kind:     hidden_group_size_y
      - .offset:         48
        .size:           2
        .value_kind:     hidden_group_size_z
      - .offset:         50
        .size:           2
        .value_kind:     hidden_remainder_x
      - .offset:         52
        .size:           2
        .value_kind:     hidden_remainder_y
      - .offset:         54
        .size:           2
        .value_kind:     hidden_remainder_z
      - .offset:         72
        .size:           8
        .value_kind:     hidden_global_offset_x
      - .offset:         80
        .size:           8
        .value_kind:     hidden_global_offset_y
      - .offset:         88
        .size:           8
        .value_kind:     hidden_global_offset_z
      - .offset:         96
        .size:           2
        .value_kind:     hidden_grid_dims
      - .offset:         152
        .size:           4
        .value_kind:     hidden_dynamic_lds_size
    .group_segment_fixed_size: 0
    .kernarg_segment_align: 8
    .kernarg_segment_size: 288
    .language:       OpenCL C
    .language_version:
      - 2
      - 0
    .max_flat_workgroup_size: 112
    .name:           _ZL26flash_attn_combine_resultsILi112EEvPKfPK15HIP_vector_typeIfLj2EEPfi
    .private_segment_fixed_size: 0
    .sgpr_count:     33
    .sgpr_spill_count: 0
    .symbol:         _ZL26flash_attn_combine_resultsILi112EEvPKfPK15HIP_vector_typeIfLj2EEPfi.kd
    .uniform_work_group_size: 1
    .uses_dynamic_stack: false
    .vgpr_count:     51
    .vgpr_spill_count: 0
    .wavefront_size: 64
  - .agpr_count:     0
    .args:
      - .address_space:  global
        .offset:         0
        .size:           8
        .value_kind:     global_buffer
      - .address_space:  global
        .offset:         8
        .size:           8
        .value_kind:     global_buffer
      - .address_space:  global
        .offset:         16
        .size:           8
        .value_kind:     global_buffer
      - .address_space:  global
        .offset:         24
        .size:           8
        .value_kind:     global_buffer
      - .address_space:  global
        .offset:         32
        .size:           8
        .value_kind:     global_buffer
      - .address_space:  global
        .offset:         40
        .size:           8
        .value_kind:     global_buffer
      - .address_space:  global
        .offset:         48
        .size:           8
        .value_kind:     global_buffer
      - .address_space:  global
        .offset:         56
        .size:           8
        .value_kind:     global_buffer
      - .offset:         64
        .size:           4
        .value_kind:     by_value
      - .offset:         68
        .size:           4
        .value_kind:     by_value
      - .offset:         72
        .size:           4
        .value_kind:     by_value
      - .offset:         76
        .size:           4
        .value_kind:     by_value
      - .offset:         80
        .size:           4
        .value_kind:     by_value
      - .offset:         84
        .size:           4
        .value_kind:     by_value
      - .offset:         88
        .size:           4
        .value_kind:     by_value
      - .offset:         92
        .size:           12
        .value_kind:     by_value
      - .offset:         104
        .size:           4
        .value_kind:     by_value
      - .offset:         108
        .size:           4
        .value_kind:     by_value
      - .offset:         112
        .size:           4
        .value_kind:     by_value
      - .offset:         116
        .size:           4
        .value_kind:     by_value
      - .offset:         120
        .size:           4
        .value_kind:     by_value
      - .offset:         124
        .size:           4
        .value_kind:     by_value
      - .offset:         128
        .size:           4
        .value_kind:     by_value
      - .offset:         132
        .size:           4
        .value_kind:     by_value
      - .offset:         136
        .size:           4
        .value_kind:     by_value
      - .offset:         140
        .size:           4
        .value_kind:     by_value
      - .offset:         144
        .size:           4
        .value_kind:     by_value
      - .offset:         152
        .size:           8
        .value_kind:     by_value
      - .offset:         160
        .size:           4
        .value_kind:     by_value
      - .offset:         164
        .size:           4
        .value_kind:     by_value
      - .offset:         168
        .size:           8
        .value_kind:     by_value
      - .offset:         176
        .size:           4
        .value_kind:     by_value
      - .offset:         180
        .size:           4
        .value_kind:     by_value
      - .offset:         184
        .size:           4
        .value_kind:     by_value
      - .offset:         188
        .size:           4
        .value_kind:     by_value
      - .offset:         192
        .size:           4
        .value_kind:     by_value
      - .offset:         200
        .size:           8
        .value_kind:     by_value
      - .offset:         208
        .size:           4
        .value_kind:     hidden_block_count_x
      - .offset:         212
        .size:           4
        .value_kind:     hidden_block_count_y
      - .offset:         216
        .size:           4
        .value_kind:     hidden_block_count_z
      - .offset:         220
        .size:           2
        .value_kind:     hidden_group_size_x
      - .offset:         222
        .size:           2
        .value_kind:     hidden_group_size_y
      - .offset:         224
        .size:           2
        .value_kind:     hidden_group_size_z
      - .offset:         226
        .size:           2
        .value_kind:     hidden_remainder_x
      - .offset:         228
        .size:           2
        .value_kind:     hidden_remainder_y
      - .offset:         230
        .size:           2
        .value_kind:     hidden_remainder_z
      - .offset:         248
        .size:           8
        .value_kind:     hidden_global_offset_x
      - .offset:         256
        .size:           8
        .value_kind:     hidden_global_offset_y
      - .offset:         264
        .size:           8
        .value_kind:     hidden_global_offset_z
      - .offset:         272
        .size:           2
        .value_kind:     hidden_grid_dims
      - .offset:         328
        .size:           4
        .value_kind:     hidden_dynamic_lds_size
    .group_segment_fixed_size: 0
    .kernarg_segment_align: 8
    .kernarg_segment_size: 464
    .language:       OpenCL C
    .language_version:
      - 2
      - 0
    .max_flat_workgroup_size: 256
    .name:           _ZL18flash_attn_ext_f16ILi128ELi128ELi8ELi2ELb0ELb0EEvPKcS1_S1_S1_S1_PKiPfP15HIP_vector_typeIfLj2EEffffjfiS5_IjLj3EEiiiiiiiiiiiliiliiiiil
    .private_segment_fixed_size: 0
    .sgpr_count:     100
    .sgpr_spill_count: 21
    .symbol:         _ZL18flash_attn_ext_f16ILi128ELi128ELi8ELi2ELb0ELb0EEvPKcS1_S1_S1_S1_PKiPfP15HIP_vector_typeIfLj2EEffffjfiS5_IjLj3EEiiiiiiiiiiiliiliiiiil.kd
    .uniform_work_group_size: 1
    .uses_dynamic_stack: false
    .vgpr_count:     219
    .vgpr_spill_count: 0
    .wavefront_size: 64
  - .agpr_count:     0
    .args:
      - .address_space:  global
        .offset:         0
        .size:           8
        .value_kind:     global_buffer
      - .address_space:  global
        .offset:         8
        .size:           8
        .value_kind:     global_buffer
      - .address_space:  global
        .offset:         16
        .size:           8
        .value_kind:     global_buffer
      - .address_space:  global
        .offset:         24
        .size:           8
        .value_kind:     global_buffer
      - .address_space:  global
        .offset:         32
        .size:           8
        .value_kind:     global_buffer
      - .address_space:  global
        .offset:         40
        .size:           8
        .value_kind:     global_buffer
      - .address_space:  global
        .offset:         48
        .size:           8
        .value_kind:     global_buffer
      - .address_space:  global
        .offset:         56
        .size:           8
        .value_kind:     global_buffer
      - .offset:         64
        .size:           4
        .value_kind:     by_value
      - .offset:         68
        .size:           4
        .value_kind:     by_value
      - .offset:         72
        .size:           4
        .value_kind:     by_value
      - .offset:         76
        .size:           4
        .value_kind:     by_value
      - .offset:         80
        .size:           4
        .value_kind:     by_value
      - .offset:         84
        .size:           4
        .value_kind:     by_value
      - .offset:         88
        .size:           4
        .value_kind:     by_value
      - .offset:         92
        .size:           12
        .value_kind:     by_value
      - .offset:         104
        .size:           4
        .value_kind:     by_value
      - .offset:         108
        .size:           4
        .value_kind:     by_value
      - .offset:         112
        .size:           4
        .value_kind:     by_value
      - .offset:         116
        .size:           4
        .value_kind:     by_value
      - .offset:         120
        .size:           4
        .value_kind:     by_value
      - .offset:         124
        .size:           4
        .value_kind:     by_value
      - .offset:         128
        .size:           4
        .value_kind:     by_value
      - .offset:         132
        .size:           4
        .value_kind:     by_value
      - .offset:         136
        .size:           4
        .value_kind:     by_value
      - .offset:         140
        .size:           4
        .value_kind:     by_value
      - .offset:         144
        .size:           4
        .value_kind:     by_value
      - .offset:         152
        .size:           8
        .value_kind:     by_value
      - .offset:         160
        .size:           4
        .value_kind:     by_value
      - .offset:         164
        .size:           4
        .value_kind:     by_value
      - .offset:         168
        .size:           8
        .value_kind:     by_value
      - .offset:         176
        .size:           4
        .value_kind:     by_value
      - .offset:         180
        .size:           4
        .value_kind:     by_value
      - .offset:         184
        .size:           4
        .value_kind:     by_value
      - .offset:         188
        .size:           4
        .value_kind:     by_value
      - .offset:         192
        .size:           4
        .value_kind:     by_value
      - .offset:         200
        .size:           8
        .value_kind:     by_value
      - .offset:         208
        .size:           4
        .value_kind:     hidden_block_count_x
      - .offset:         212
        .size:           4
        .value_kind:     hidden_block_count_y
      - .offset:         216
        .size:           4
        .value_kind:     hidden_block_count_z
      - .offset:         220
        .size:           2
        .value_kind:     hidden_group_size_x
      - .offset:         222
        .size:           2
        .value_kind:     hidden_group_size_y
      - .offset:         224
        .size:           2
        .value_kind:     hidden_group_size_z
      - .offset:         226
        .size:           2
        .value_kind:     hidden_remainder_x
      - .offset:         228
        .size:           2
        .value_kind:     hidden_remainder_y
      - .offset:         230
        .size:           2
        .value_kind:     hidden_remainder_z
      - .offset:         248
        .size:           8
        .value_kind:     hidden_global_offset_x
      - .offset:         256
        .size:           8
        .value_kind:     hidden_global_offset_y
      - .offset:         264
        .size:           8
        .value_kind:     hidden_global_offset_z
      - .offset:         272
        .size:           2
        .value_kind:     hidden_grid_dims
      - .offset:         328
        .size:           4
        .value_kind:     hidden_dynamic_lds_size
    .group_segment_fixed_size: 0
    .kernarg_segment_align: 8
    .kernarg_segment_size: 464
    .language:       OpenCL C
    .language_version:
      - 2
      - 0
    .max_flat_workgroup_size: 256
    .name:           _ZL18flash_attn_ext_f16ILi128ELi128ELi8ELi2ELb1ELb0EEvPKcS1_S1_S1_S1_PKiPfP15HIP_vector_typeIfLj2EEffffjfiS5_IjLj3EEiiiiiiiiiiiliiliiiiil
    .private_segment_fixed_size: 0
    .sgpr_count:     100
    .sgpr_spill_count: 25
    .symbol:         _ZL18flash_attn_ext_f16ILi128ELi128ELi8ELi2ELb1ELb0EEvPKcS1_S1_S1_S1_PKiPfP15HIP_vector_typeIfLj2EEffffjfiS5_IjLj3EEiiiiiiiiiiiliiliiiiil.kd
    .uniform_work_group_size: 1
    .uses_dynamic_stack: false
    .vgpr_count:     211
    .vgpr_spill_count: 0
    .wavefront_size: 64
  - .agpr_count:     0
    .args:
      - .address_space:  global
        .offset:         0
        .size:           8
        .value_kind:     global_buffer
      - .address_space:  global
        .offset:         8
        .size:           8
        .value_kind:     global_buffer
      - .offset:         16
        .size:           4
        .value_kind:     by_value
      - .offset:         20
        .size:           4
        .value_kind:     by_value
      - .offset:         24
        .size:           4
        .value_kind:     by_value
      - .offset:         28
        .size:           4
        .value_kind:     by_value
      - .offset:         32
        .size:           4
        .value_kind:     by_value
      - .offset:         36
        .size:           4
        .value_kind:     by_value
      - .offset:         40
        .size:           12
        .value_kind:     by_value
      - .offset:         52
        .size:           12
        .value_kind:     by_value
      - .offset:         64
        .size:           12
        .value_kind:     by_value
    .group_segment_fixed_size: 0
    .kernarg_segment_align: 8
    .kernarg_segment_size: 76
    .language:       OpenCL C
    .language_version:
      - 2
      - 0
    .max_flat_workgroup_size: 128
    .name:           _ZL33flash_attn_stream_k_fixup_uniformILi128ELi8ELi2EEvPfPK15HIP_vector_typeIfLj2EEiiiiiiS1_IjLj3EES5_S5_
    .private_segment_fixed_size: 0
    .sgpr_count:     24
    .sgpr_spill_count: 0
    .symbol:         _ZL33flash_attn_stream_k_fixup_uniformILi128ELi8ELi2EEvPfPK15HIP_vector_typeIfLj2EEiiiiiiS1_IjLj3EES5_S5_.kd
    .uniform_work_group_size: 1
    .uses_dynamic_stack: false
    .vgpr_count:     17
    .vgpr_spill_count: 0
    .wavefront_size: 64
  - .agpr_count:     0
    .args:
      - .address_space:  global
        .offset:         0
        .size:           8
        .value_kind:     global_buffer
      - .address_space:  global
        .offset:         8
        .size:           8
        .value_kind:     global_buffer
      - .offset:         16
        .size:           4
        .value_kind:     by_value
      - .offset:         20
        .size:           4
        .value_kind:     by_value
      - .offset:         24
        .size:           4
        .value_kind:     by_value
      - .offset:         28
        .size:           4
        .value_kind:     by_value
      - .offset:         32
        .size:           12
        .value_kind:     by_value
      - .offset:         44
        .size:           12
        .value_kind:     by_value
      - .offset:         56
        .size:           12
        .value_kind:     by_value
      - .offset:         68
        .size:           12
        .value_kind:     by_value
      - .offset:         80
        .size:           4
        .value_kind:     hidden_block_count_x
      - .offset:         84
        .size:           4
        .value_kind:     hidden_block_count_y
      - .offset:         88
        .size:           4
        .value_kind:     hidden_block_count_z
      - .offset:         92
        .size:           2
        .value_kind:     hidden_group_size_x
      - .offset:         94
        .size:           2
        .value_kind:     hidden_group_size_y
      - .offset:         96
        .size:           2
        .value_kind:     hidden_group_size_z
      - .offset:         98
        .size:           2
        .value_kind:     hidden_remainder_x
      - .offset:         100
        .size:           2
        .value_kind:     hidden_remainder_y
      - .offset:         102
        .size:           2
        .value_kind:     hidden_remainder_z
      - .offset:         120
        .size:           8
        .value_kind:     hidden_global_offset_x
      - .offset:         128
        .size:           8
        .value_kind:     hidden_global_offset_y
      - .offset:         136
        .size:           8
        .value_kind:     hidden_global_offset_z
      - .offset:         144
        .size:           2
        .value_kind:     hidden_grid_dims
    .group_segment_fixed_size: 0
    .kernarg_segment_align: 8
    .kernarg_segment_size: 336
    .language:       OpenCL C
    .language_version:
      - 2
      - 0
    .max_flat_workgroup_size: 128
    .name:           _ZL33flash_attn_stream_k_fixup_generalILi128ELi8ELi2EEvPfPK15HIP_vector_typeIfLj2EEiiiiS1_IjLj3EES5_S5_S5_
    .private_segment_fixed_size: 0
    .sgpr_count:     36
    .sgpr_spill_count: 0
    .symbol:         _ZL33flash_attn_stream_k_fixup_generalILi128ELi8ELi2EEvPfPK15HIP_vector_typeIfLj2EEiiiiS1_IjLj3EES5_S5_S5_.kd
    .uniform_work_group_size: 1
    .uses_dynamic_stack: false
    .vgpr_count:     22
    .vgpr_spill_count: 0
    .wavefront_size: 64
  - .agpr_count:     0
    .args:
      - .address_space:  global
        .offset:         0
        .size:           8
        .value_kind:     global_buffer
      - .address_space:  global
        .offset:         8
        .size:           8
        .value_kind:     global_buffer
      - .address_space:  global
        .offset:         16
        .size:           8
        .value_kind:     global_buffer
      - .offset:         24
        .size:           4
        .value_kind:     by_value
      - .offset:         32
        .size:           4
        .value_kind:     hidden_block_count_x
      - .offset:         36
        .size:           4
        .value_kind:     hidden_block_count_y
      - .offset:         40
        .size:           4
        .value_kind:     hidden_block_count_z
      - .offset:         44
        .size:           2
        .value_kind:     hidden_group_size_x
      - .offset:         46
        .size:           2
        .value_kind:     hidden_group_size_y
      - .offset:         48
        .size:           2
        .value_kind:     hidden_group_size_z
      - .offset:         50
        .size:           2
        .value_kind:     hidden_remainder_x
      - .offset:         52
        .size:           2
        .value_kind:     hidden_remainder_y
      - .offset:         54
        .size:           2
        .value_kind:     hidden_remainder_z
      - .offset:         72
        .size:           8
        .value_kind:     hidden_global_offset_x
      - .offset:         80
        .size:           8
        .value_kind:     hidden_global_offset_y
      - .offset:         88
        .size:           8
        .value_kind:     hidden_global_offset_z
      - .offset:         96
        .size:           2
        .value_kind:     hidden_grid_dims
      - .offset:         152
        .size:           4
        .value_kind:     hidden_dynamic_lds_size
    .group_segment_fixed_size: 0
    .kernarg_segment_align: 8
    .kernarg_segment_size: 288
    .language:       OpenCL C
    .language_version:
      - 2
      - 0
    .max_flat_workgroup_size: 128
    .name:           _ZL26flash_attn_combine_resultsILi128EEvPKfPK15HIP_vector_typeIfLj2EEPfi
    .private_segment_fixed_size: 0
    .sgpr_count:     30
    .sgpr_spill_count: 0
    .symbol:         _ZL26flash_attn_combine_resultsILi128EEvPKfPK15HIP_vector_typeIfLj2EEPfi.kd
    .uniform_work_group_size: 1
    .uses_dynamic_stack: false
    .vgpr_count:     51
    .vgpr_spill_count: 0
    .wavefront_size: 64
  - .agpr_count:     74
    .args:
      - .address_space:  global
        .offset:         0
        .size:           8
        .value_kind:     global_buffer
      - .address_space:  global
        .offset:         8
        .size:           8
        .value_kind:     global_buffer
      - .address_space:  global
        .offset:         16
        .size:           8
        .value_kind:     global_buffer
      - .address_space:  global
        .offset:         24
        .size:           8
        .value_kind:     global_buffer
      - .address_space:  global
        .offset:         32
        .size:           8
        .value_kind:     global_buffer
      - .address_space:  global
        .offset:         40
        .size:           8
        .value_kind:     global_buffer
      - .address_space:  global
        .offset:         48
        .size:           8
        .value_kind:     global_buffer
      - .address_space:  global
        .offset:         56
        .size:           8
        .value_kind:     global_buffer
      - .offset:         64
        .size:           4
        .value_kind:     by_value
      - .offset:         68
        .size:           4
        .value_kind:     by_value
      - .offset:         72
        .size:           4
        .value_kind:     by_value
      - .offset:         76
        .size:           4
        .value_kind:     by_value
      - .offset:         80
        .size:           4
        .value_kind:     by_value
      - .offset:         84
        .size:           4
        .value_kind:     by_value
      - .offset:         88
        .size:           4
        .value_kind:     by_value
      - .offset:         92
        .size:           12
        .value_kind:     by_value
      - .offset:         104
        .size:           4
        .value_kind:     by_value
      - .offset:         108
        .size:           4
        .value_kind:     by_value
      - .offset:         112
        .size:           4
        .value_kind:     by_value
      - .offset:         116
        .size:           4
        .value_kind:     by_value
      - .offset:         120
        .size:           4
        .value_kind:     by_value
      - .offset:         124
        .size:           4
        .value_kind:     by_value
      - .offset:         128
        .size:           4
        .value_kind:     by_value
      - .offset:         132
        .size:           4
        .value_kind:     by_value
      - .offset:         136
        .size:           4
        .value_kind:     by_value
      - .offset:         140
        .size:           4
        .value_kind:     by_value
      - .offset:         144
        .size:           4
        .value_kind:     by_value
      - .offset:         152
        .size:           8
        .value_kind:     by_value
      - .offset:         160
        .size:           4
        .value_kind:     by_value
      - .offset:         164
        .size:           4
        .value_kind:     by_value
      - .offset:         168
        .size:           8
        .value_kind:     by_value
      - .offset:         176
        .size:           4
        .value_kind:     by_value
      - .offset:         180
        .size:           4
        .value_kind:     by_value
      - .offset:         184
        .size:           4
        .value_kind:     by_value
      - .offset:         188
        .size:           4
        .value_kind:     by_value
      - .offset:         192
        .size:           4
        .value_kind:     by_value
      - .offset:         200
        .size:           8
        .value_kind:     by_value
      - .offset:         208
        .size:           4
        .value_kind:     hidden_block_count_x
      - .offset:         212
        .size:           4
        .value_kind:     hidden_block_count_y
      - .offset:         216
        .size:           4
        .value_kind:     hidden_block_count_z
      - .offset:         220
        .size:           2
        .value_kind:     hidden_group_size_x
      - .offset:         222
        .size:           2
        .value_kind:     hidden_group_size_y
      - .offset:         224
        .size:           2
        .value_kind:     hidden_group_size_z
      - .offset:         226
        .size:           2
        .value_kind:     hidden_remainder_x
      - .offset:         228
        .size:           2
        .value_kind:     hidden_remainder_y
      - .offset:         230
        .size:           2
        .value_kind:     hidden_remainder_z
      - .offset:         248
        .size:           8
        .value_kind:     hidden_global_offset_x
      - .offset:         256
        .size:           8
        .value_kind:     hidden_global_offset_y
      - .offset:         264
        .size:           8
        .value_kind:     hidden_global_offset_z
      - .offset:         272
        .size:           2
        .value_kind:     hidden_grid_dims
      - .offset:         328
        .size:           4
        .value_kind:     hidden_dynamic_lds_size
    .group_segment_fixed_size: 0
    .kernarg_segment_align: 8
    .kernarg_segment_size: 464
    .language:       OpenCL C
    .language_version:
      - 2
      - 0
    .max_flat_workgroup_size: 256
    .name:           _ZL18flash_attn_ext_f16ILi256ELi256ELi8ELi2ELb0ELb0EEvPKcS1_S1_S1_S1_PKiPfP15HIP_vector_typeIfLj2EEffffjfiS5_IjLj3EEiiiiiiiiiiiliiliiiiil
    .private_segment_fixed_size: 0
    .sgpr_count:     100
    .sgpr_spill_count: 20
    .symbol:         _ZL18flash_attn_ext_f16ILi256ELi256ELi8ELi2ELb0ELb0EEvPKcS1_S1_S1_S1_PKiPfP15HIP_vector_typeIfLj2EEffffjfiS5_IjLj3EEiiiiiiiiiiiliiliiiiil.kd
    .uniform_work_group_size: 1
    .uses_dynamic_stack: false
    .vgpr_count:     330
    .vgpr_spill_count: 0
    .wavefront_size: 64
  - .agpr_count:     72
    .args:
      - .address_space:  global
        .offset:         0
        .size:           8
        .value_kind:     global_buffer
      - .address_space:  global
        .offset:         8
        .size:           8
        .value_kind:     global_buffer
      - .address_space:  global
        .offset:         16
        .size:           8
        .value_kind:     global_buffer
      - .address_space:  global
        .offset:         24
        .size:           8
        .value_kind:     global_buffer
      - .address_space:  global
        .offset:         32
        .size:           8
        .value_kind:     global_buffer
      - .address_space:  global
        .offset:         40
        .size:           8
        .value_kind:     global_buffer
      - .address_space:  global
        .offset:         48
        .size:           8
        .value_kind:     global_buffer
      - .address_space:  global
        .offset:         56
        .size:           8
        .value_kind:     global_buffer
      - .offset:         64
        .size:           4
        .value_kind:     by_value
      - .offset:         68
        .size:           4
        .value_kind:     by_value
      - .offset:         72
        .size:           4
        .value_kind:     by_value
      - .offset:         76
        .size:           4
        .value_kind:     by_value
      - .offset:         80
        .size:           4
        .value_kind:     by_value
      - .offset:         84
        .size:           4
        .value_kind:     by_value
      - .offset:         88
        .size:           4
        .value_kind:     by_value
      - .offset:         92
        .size:           12
        .value_kind:     by_value
      - .offset:         104
        .size:           4
        .value_kind:     by_value
      - .offset:         108
        .size:           4
        .value_kind:     by_value
      - .offset:         112
        .size:           4
        .value_kind:     by_value
      - .offset:         116
        .size:           4
        .value_kind:     by_value
      - .offset:         120
        .size:           4
        .value_kind:     by_value
      - .offset:         124
        .size:           4
        .value_kind:     by_value
      - .offset:         128
        .size:           4
        .value_kind:     by_value
      - .offset:         132
        .size:           4
        .value_kind:     by_value
      - .offset:         136
        .size:           4
        .value_kind:     by_value
      - .offset:         140
        .size:           4
        .value_kind:     by_value
      - .offset:         144
        .size:           4
        .value_kind:     by_value
      - .offset:         152
        .size:           8
        .value_kind:     by_value
      - .offset:         160
        .size:           4
        .value_kind:     by_value
      - .offset:         164
        .size:           4
        .value_kind:     by_value
      - .offset:         168
        .size:           8
        .value_kind:     by_value
      - .offset:         176
        .size:           4
        .value_kind:     by_value
      - .offset:         180
        .size:           4
        .value_kind:     by_value
      - .offset:         184
        .size:           4
        .value_kind:     by_value
      - .offset:         188
        .size:           4
        .value_kind:     by_value
      - .offset:         192
        .size:           4
        .value_kind:     by_value
      - .offset:         200
        .size:           8
        .value_kind:     by_value
      - .offset:         208
        .size:           4
        .value_kind:     hidden_block_count_x
      - .offset:         212
        .size:           4
        .value_kind:     hidden_block_count_y
      - .offset:         216
        .size:           4
        .value_kind:     hidden_block_count_z
      - .offset:         220
        .size:           2
        .value_kind:     hidden_group_size_x
      - .offset:         222
        .size:           2
        .value_kind:     hidden_group_size_y
      - .offset:         224
        .size:           2
        .value_kind:     hidden_group_size_z
      - .offset:         226
        .size:           2
        .value_kind:     hidden_remainder_x
      - .offset:         228
        .size:           2
        .value_kind:     hidden_remainder_y
      - .offset:         230
        .size:           2
        .value_kind:     hidden_remainder_z
      - .offset:         248
        .size:           8
        .value_kind:     hidden_global_offset_x
      - .offset:         256
        .size:           8
        .value_kind:     hidden_global_offset_y
      - .offset:         264
        .size:           8
        .value_kind:     hidden_global_offset_z
      - .offset:         272
        .size:           2
        .value_kind:     hidden_grid_dims
      - .offset:         328
        .size:           4
        .value_kind:     hidden_dynamic_lds_size
    .group_segment_fixed_size: 0
    .kernarg_segment_align: 8
    .kernarg_segment_size: 464
    .language:       OpenCL C
    .language_version:
      - 2
      - 0
    .max_flat_workgroup_size: 256
    .name:           _ZL18flash_attn_ext_f16ILi256ELi256ELi8ELi2ELb1ELb0EEvPKcS1_S1_S1_S1_PKiPfP15HIP_vector_typeIfLj2EEffffjfiS5_IjLj3EEiiiiiiiiiiiliiliiiiil
    .private_segment_fixed_size: 0
    .sgpr_count:     100
    .sgpr_spill_count: 25
    .symbol:         _ZL18flash_attn_ext_f16ILi256ELi256ELi8ELi2ELb1ELb0EEvPKcS1_S1_S1_S1_PKiPfP15HIP_vector_typeIfLj2EEffffjfiS5_IjLj3EEiiiiiiiiiiiliiliiiiil.kd
    .uniform_work_group_size: 1
    .uses_dynamic_stack: false
    .vgpr_count:     328
    .vgpr_spill_count: 0
    .wavefront_size: 64
  - .agpr_count:     0
    .args:
      - .address_space:  global
        .offset:         0
        .size:           8
        .value_kind:     global_buffer
      - .address_space:  global
        .offset:         8
        .size:           8
        .value_kind:     global_buffer
      - .offset:         16
        .size:           4
        .value_kind:     by_value
      - .offset:         20
        .size:           4
        .value_kind:     by_value
      - .offset:         24
        .size:           4
        .value_kind:     by_value
      - .offset:         28
        .size:           4
        .value_kind:     by_value
      - .offset:         32
        .size:           4
        .value_kind:     by_value
      - .offset:         36
        .size:           4
        .value_kind:     by_value
      - .offset:         40
        .size:           12
        .value_kind:     by_value
      - .offset:         52
        .size:           12
        .value_kind:     by_value
      - .offset:         64
        .size:           12
        .value_kind:     by_value
    .group_segment_fixed_size: 0
    .kernarg_segment_align: 8
    .kernarg_segment_size: 76
    .language:       OpenCL C
    .language_version:
      - 2
      - 0
    .max_flat_workgroup_size: 256
    .name:           _ZL33flash_attn_stream_k_fixup_uniformILi256ELi8ELi2EEvPfPK15HIP_vector_typeIfLj2EEiiiiiiS1_IjLj3EES5_S5_
    .private_segment_fixed_size: 0
    .sgpr_count:     24
    .sgpr_spill_count: 0
    .symbol:         _ZL33flash_attn_stream_k_fixup_uniformILi256ELi8ELi2EEvPfPK15HIP_vector_typeIfLj2EEiiiiiiS1_IjLj3EES5_S5_.kd
    .uniform_work_group_size: 1
    .uses_dynamic_stack: false
    .vgpr_count:     17
    .vgpr_spill_count: 0
    .wavefront_size: 64
  - .agpr_count:     0
    .args:
      - .address_space:  global
        .offset:         0
        .size:           8
        .value_kind:     global_buffer
      - .address_space:  global
        .offset:         8
        .size:           8
        .value_kind:     global_buffer
      - .offset:         16
        .size:           4
        .value_kind:     by_value
      - .offset:         20
        .size:           4
        .value_kind:     by_value
      - .offset:         24
        .size:           4
        .value_kind:     by_value
      - .offset:         28
        .size:           4
        .value_kind:     by_value
      - .offset:         32
        .size:           12
        .value_kind:     by_value
      - .offset:         44
        .size:           12
        .value_kind:     by_value
      - .offset:         56
        .size:           12
        .value_kind:     by_value
      - .offset:         68
        .size:           12
        .value_kind:     by_value
      - .offset:         80
        .size:           4
        .value_kind:     hidden_block_count_x
      - .offset:         84
        .size:           4
        .value_kind:     hidden_block_count_y
      - .offset:         88
        .size:           4
        .value_kind:     hidden_block_count_z
      - .offset:         92
        .size:           2
        .value_kind:     hidden_group_size_x
      - .offset:         94
        .size:           2
        .value_kind:     hidden_group_size_y
      - .offset:         96
        .size:           2
        .value_kind:     hidden_group_size_z
      - .offset:         98
        .size:           2
        .value_kind:     hidden_remainder_x
      - .offset:         100
        .size:           2
        .value_kind:     hidden_remainder_y
      - .offset:         102
        .size:           2
        .value_kind:     hidden_remainder_z
      - .offset:         120
        .size:           8
        .value_kind:     hidden_global_offset_x
      - .offset:         128
        .size:           8
        .value_kind:     hidden_global_offset_y
      - .offset:         136
        .size:           8
        .value_kind:     hidden_global_offset_z
      - .offset:         144
        .size:           2
        .value_kind:     hidden_grid_dims
    .group_segment_fixed_size: 0
    .kernarg_segment_align: 8
    .kernarg_segment_size: 336
    .language:       OpenCL C
    .language_version:
      - 2
      - 0
    .max_flat_workgroup_size: 256
    .name:           _ZL33flash_attn_stream_k_fixup_generalILi256ELi8ELi2EEvPfPK15HIP_vector_typeIfLj2EEiiiiS1_IjLj3EES5_S5_S5_
    .private_segment_fixed_size: 0
    .sgpr_count:     36
    .sgpr_spill_count: 0
    .symbol:         _ZL33flash_attn_stream_k_fixup_generalILi256ELi8ELi2EEvPfPK15HIP_vector_typeIfLj2EEiiiiS1_IjLj3EES5_S5_S5_.kd
    .uniform_work_group_size: 1
    .uses_dynamic_stack: false
    .vgpr_count:     22
    .vgpr_spill_count: 0
    .wavefront_size: 64
  - .agpr_count:     0
    .args:
      - .address_space:  global
        .offset:         0
        .size:           8
        .value_kind:     global_buffer
      - .address_space:  global
        .offset:         8
        .size:           8
        .value_kind:     global_buffer
      - .address_space:  global
        .offset:         16
        .size:           8
        .value_kind:     global_buffer
      - .offset:         24
        .size:           4
        .value_kind:     by_value
      - .offset:         32
        .size:           4
        .value_kind:     hidden_block_count_x
      - .offset:         36
        .size:           4
        .value_kind:     hidden_block_count_y
      - .offset:         40
        .size:           4
        .value_kind:     hidden_block_count_z
      - .offset:         44
        .size:           2
        .value_kind:     hidden_group_size_x
      - .offset:         46
        .size:           2
        .value_kind:     hidden_group_size_y
      - .offset:         48
        .size:           2
        .value_kind:     hidden_group_size_z
      - .offset:         50
        .size:           2
        .value_kind:     hidden_remainder_x
      - .offset:         52
        .size:           2
        .value_kind:     hidden_remainder_y
      - .offset:         54
        .size:           2
        .value_kind:     hidden_remainder_z
      - .offset:         72
        .size:           8
        .value_kind:     hidden_global_offset_x
      - .offset:         80
        .size:           8
        .value_kind:     hidden_global_offset_y
      - .offset:         88
        .size:           8
        .value_kind:     hidden_global_offset_z
      - .offset:         96
        .size:           2
        .value_kind:     hidden_grid_dims
      - .offset:         152
        .size:           4
        .value_kind:     hidden_dynamic_lds_size
    .group_segment_fixed_size: 0
    .kernarg_segment_align: 8
    .kernarg_segment_size: 288
    .language:       OpenCL C
    .language_version:
      - 2
      - 0
    .max_flat_workgroup_size: 256
    .name:           _ZL26flash_attn_combine_resultsILi256EEvPKfPK15HIP_vector_typeIfLj2EEPfi
    .private_segment_fixed_size: 0
    .sgpr_count:     30
    .sgpr_spill_count: 0
    .symbol:         _ZL26flash_attn_combine_resultsILi256EEvPKfPK15HIP_vector_typeIfLj2EEPfi.kd
    .uniform_work_group_size: 1
    .uses_dynamic_stack: false
    .vgpr_count:     51
    .vgpr_spill_count: 0
    .wavefront_size: 64
amdhsa.target:   amdgcn-amd-amdhsa--gfx90a
amdhsa.version:
  - 1
  - 2
...

	.end_amdgpu_metadata
